;; amdgpu-corpus repo=ROCm/rccl kind=compiled arch=gfx90a opt=O3
	.text
	.amdgcn_target "amdgcn-amd-amdhsa--gfx90a"
	.amdhsa_code_object_version 6
	.p2align	2                               ; -- Begin function __ockl_fprintf_append_string_n
	.type	__ockl_fprintf_append_string_n,@function
__ockl_fprintf_append_string_n:         ; @__ockl_fprintf_append_string_n
; %bb.0:
	s_waitcnt vmcnt(0) expcnt(0) lgkmcnt(0)
	v_mov_b32_e32 v9, v3
	v_mov_b32_e32 v8, v2
	v_or_b32_e32 v2, 2, v0
	v_cmp_eq_u32_e32 vcc, 0, v6
	s_mov_b32 s22, 0
	v_cndmask_b32_e32 v0, v2, v0, vcc
	s_mov_b64 s[6:7], 0
	v_cmp_ne_u64_e32 vcc, 0, v[8:9]
	v_mbcnt_lo_u32_b32 v2, -1, 0
	s_and_saveexec_b64 s[4:5], vcc
	s_xor_b64 s[10:11], exec, s[4:5]
	s_cbranch_execz .LBB0_86
; %bb.1:
	s_load_dwordx2 s[12:13], s[8:9], 0x50
	v_and_b32_e32 v6, 2, v0
	v_mov_b32_e32 v31, 0
	v_and_b32_e32 v0, -3, v0
	v_mbcnt_hi_u32_b32 v32, -1, v2
	s_movk_i32 s23, 0xff1f
	v_mov_b32_e32 v12, 2
	v_mov_b32_e32 v13, 1
	s_branch .LBB0_3
.LBB0_2:                                ;   in Loop: Header=BB0_3 Depth=1
	s_or_b64 exec, exec, s[16:17]
	v_sub_co_u32_e32 v4, vcc, v4, v34
	v_subb_co_u32_e32 v5, vcc, v5, v35, vcc
	v_cmp_eq_u64_e32 vcc, 0, v[4:5]
	s_or_b64 s[6:7], vcc, s[6:7]
	v_add_co_u32_e32 v8, vcc, v8, v34
	v_addc_co_u32_e32 v9, vcc, v9, v35, vcc
	s_andn2_b64 exec, exec, s[6:7]
	s_cbranch_execz .LBB0_85
.LBB0_3:                                ; =>This Loop Header: Depth=1
                                        ;     Child Loop BB0_6 Depth 2
                                        ;     Child Loop BB0_14 Depth 2
	;; [unrolled: 1-line block ×11, first 2 shown]
	v_cmp_gt_u64_e32 vcc, 56, v[4:5]
	v_cndmask_b32_e32 v35, 0, v5, vcc
	v_cndmask_b32_e32 v34, 56, v4, vcc
	v_cmp_gt_u64_e32 vcc, 8, v[4:5]
                                        ; implicit-def: $vgpr2_vgpr3
                                        ; implicit-def: $sgpr14
	s_and_saveexec_b64 s[4:5], vcc
	s_xor_b64 s[4:5], exec, s[4:5]
	s_cbranch_execz .LBB0_9
; %bb.4:                                ;   in Loop: Header=BB0_3 Depth=1
	s_mov_b64 s[16:17], 0
	v_cmp_ne_u64_e32 vcc, 0, v[4:5]
	s_waitcnt vmcnt(0)
	v_pk_mov_b32 v[2:3], 0, 0
	s_and_saveexec_b64 s[14:15], vcc
	s_cbranch_execz .LBB0_8
; %bb.5:                                ;   in Loop: Header=BB0_3 Depth=1
	v_lshlrev_b64 v[10:11], 3, v[34:35]
	v_pk_mov_b32 v[2:3], 0, 0
	v_pk_mov_b32 v[14:15], v[8:9], v[8:9] op_sel:[0,1]
	s_mov_b64 s[18:19], 0
.LBB0_6:                                ;   Parent Loop BB0_3 Depth=1
                                        ; =>  This Inner Loop Header: Depth=2
	flat_load_ubyte v7, v[14:15]
	v_mov_b32_e32 v17, s22
	v_add_co_u32_e32 v14, vcc, 1, v14
	v_addc_co_u32_e32 v15, vcc, 0, v15, vcc
	s_waitcnt vmcnt(0) lgkmcnt(0)
	v_and_b32_e32 v16, 0xffff, v7
	v_lshlrev_b64 v[16:17], s18, v[16:17]
	s_add_u32 s18, s18, 8
	s_addc_u32 s19, s19, 0
	v_cmp_eq_u32_e32 vcc, s18, v10
	v_or_b32_e32 v3, v17, v3
	s_or_b64 s[16:17], vcc, s[16:17]
	v_or_b32_e32 v2, v16, v2
	s_andn2_b64 exec, exec, s[16:17]
	s_cbranch_execnz .LBB0_6
; %bb.7:                                ;   in Loop: Header=BB0_3 Depth=1
	s_or_b64 exec, exec, s[16:17]
.LBB0_8:                                ;   in Loop: Header=BB0_3 Depth=1
	s_or_b64 exec, exec, s[14:15]
	s_mov_b32 s14, 0
.LBB0_9:                                ;   in Loop: Header=BB0_3 Depth=1
	s_or_saveexec_b64 s[4:5], s[4:5]
	v_mov_b32_e32 v7, s14
	v_pk_mov_b32 v[10:11], v[8:9], v[8:9] op_sel:[0,1]
	s_xor_b64 exec, exec, s[4:5]
	s_cbranch_execz .LBB0_11
; %bb.10:                               ;   in Loop: Header=BB0_3 Depth=1
	s_waitcnt vmcnt(0)
	flat_load_dwordx2 v[2:3], v[8:9]
	v_add_u32_e32 v7, -8, v34
	s_waitcnt vmcnt(0) lgkmcnt(0)
	v_and_b32_e32 v10, 0xff, v3
	v_and_b32_e32 v11, 0xff00, v3
	;; [unrolled: 1-line block ×4, first 2 shown]
	v_or_b32_e32 v10, v10, v11
	v_or3_b32 v3, v10, v14, v3
	v_add_co_u32_e32 v10, vcc, 8, v8
	v_or3_b32 v2, v2, 0, 0
	v_addc_co_u32_e32 v11, vcc, 0, v9, vcc
.LBB0_11:                               ;   in Loop: Header=BB0_3 Depth=1
	s_or_b64 exec, exec, s[4:5]
	v_cmp_gt_u32_e32 vcc, 8, v7
                                        ; implicit-def: $vgpr14_vgpr15
                                        ; implicit-def: $sgpr14
	s_and_saveexec_b64 s[4:5], vcc
	s_xor_b64 s[4:5], exec, s[4:5]
	s_cbranch_execz .LBB0_17
; %bb.12:                               ;   in Loop: Header=BB0_3 Depth=1
	v_cmp_ne_u32_e32 vcc, 0, v7
	v_pk_mov_b32 v[14:15], 0, 0
	s_and_saveexec_b64 s[14:15], vcc
	s_cbranch_execz .LBB0_16
; %bb.13:                               ;   in Loop: Header=BB0_3 Depth=1
	s_mov_b64 s[16:17], 0
	v_pk_mov_b32 v[14:15], 0, 0
	s_mov_b64 s[18:19], 0
	s_mov_b64 s[20:21], 0
.LBB0_14:                               ;   Parent Loop BB0_3 Depth=1
                                        ; =>  This Inner Loop Header: Depth=2
	v_mov_b32_e32 v17, s21
	v_add_co_u32_e32 v16, vcc, s20, v10
	v_addc_co_u32_e32 v17, vcc, v11, v17, vcc
	flat_load_ubyte v16, v[16:17]
	s_add_u32 s20, s20, 1
	v_mov_b32_e32 v17, s22
	s_addc_u32 s21, s21, 0
	v_cmp_eq_u32_e32 vcc, s20, v7
	s_waitcnt vmcnt(0) lgkmcnt(0)
	v_and_b32_e32 v16, 0xffff, v16
	v_lshlrev_b64 v[16:17], s18, v[16:17]
	s_add_u32 s18, s18, 8
	s_addc_u32 s19, s19, 0
	v_or_b32_e32 v15, v17, v15
	s_or_b64 s[16:17], vcc, s[16:17]
	v_or_b32_e32 v14, v16, v14
	s_andn2_b64 exec, exec, s[16:17]
	s_cbranch_execnz .LBB0_14
; %bb.15:                               ;   in Loop: Header=BB0_3 Depth=1
	s_or_b64 exec, exec, s[16:17]
.LBB0_16:                               ;   in Loop: Header=BB0_3 Depth=1
	s_or_b64 exec, exec, s[14:15]
	s_mov_b32 s14, 0
                                        ; implicit-def: $vgpr7
.LBB0_17:                               ;   in Loop: Header=BB0_3 Depth=1
	s_or_saveexec_b64 s[4:5], s[4:5]
	v_mov_b32_e32 v18, s14
	s_xor_b64 exec, exec, s[4:5]
	s_cbranch_execz .LBB0_19
; %bb.18:                               ;   in Loop: Header=BB0_3 Depth=1
	flat_load_dwordx2 v[14:15], v[10:11]
	v_add_u32_e32 v18, -8, v7
	v_add_co_u32_e32 v10, vcc, 8, v10
	v_addc_co_u32_e32 v11, vcc, 0, v11, vcc
	s_waitcnt vmcnt(0) lgkmcnt(0)
	v_and_b32_e32 v7, 0xff, v15
	v_and_b32_e32 v16, 0xff00, v15
	;; [unrolled: 1-line block ×4, first 2 shown]
	v_or_b32_e32 v7, v7, v16
	v_or3_b32 v14, v14, 0, 0
	v_or3_b32 v15, v7, v17, v15
.LBB0_19:                               ;   in Loop: Header=BB0_3 Depth=1
	s_or_b64 exec, exec, s[4:5]
	v_cmp_gt_u32_e32 vcc, 8, v18
                                        ; implicit-def: $sgpr14
	s_and_saveexec_b64 s[4:5], vcc
	s_xor_b64 s[4:5], exec, s[4:5]
	s_cbranch_execz .LBB0_25
; %bb.20:                               ;   in Loop: Header=BB0_3 Depth=1
	v_cmp_ne_u32_e32 vcc, 0, v18
	v_pk_mov_b32 v[16:17], 0, 0
	s_and_saveexec_b64 s[14:15], vcc
	s_cbranch_execz .LBB0_24
; %bb.21:                               ;   in Loop: Header=BB0_3 Depth=1
	s_mov_b64 s[16:17], 0
	v_pk_mov_b32 v[16:17], 0, 0
	s_mov_b64 s[18:19], 0
	s_mov_b64 s[20:21], 0
.LBB0_22:                               ;   Parent Loop BB0_3 Depth=1
                                        ; =>  This Inner Loop Header: Depth=2
	v_mov_b32_e32 v7, s21
	v_add_co_u32_e32 v20, vcc, s20, v10
	v_addc_co_u32_e32 v21, vcc, v11, v7, vcc
	flat_load_ubyte v7, v[20:21]
	s_add_u32 s20, s20, 1
	v_mov_b32_e32 v21, s22
	s_addc_u32 s21, s21, 0
	v_cmp_eq_u32_e32 vcc, s20, v18
	s_waitcnt vmcnt(0) lgkmcnt(0)
	v_and_b32_e32 v20, 0xffff, v7
	v_lshlrev_b64 v[20:21], s18, v[20:21]
	s_add_u32 s18, s18, 8
	s_addc_u32 s19, s19, 0
	v_or_b32_e32 v17, v21, v17
	s_or_b64 s[16:17], vcc, s[16:17]
	v_or_b32_e32 v16, v20, v16
	s_andn2_b64 exec, exec, s[16:17]
	s_cbranch_execnz .LBB0_22
; %bb.23:                               ;   in Loop: Header=BB0_3 Depth=1
	s_or_b64 exec, exec, s[16:17]
.LBB0_24:                               ;   in Loop: Header=BB0_3 Depth=1
	s_or_b64 exec, exec, s[14:15]
	s_mov_b32 s14, 0
                                        ; implicit-def: $vgpr18
.LBB0_25:                               ;   in Loop: Header=BB0_3 Depth=1
	s_or_saveexec_b64 s[4:5], s[4:5]
	v_mov_b32_e32 v7, s14
	s_xor_b64 exec, exec, s[4:5]
	s_cbranch_execz .LBB0_27
; %bb.26:                               ;   in Loop: Header=BB0_3 Depth=1
	flat_load_dwordx2 v[16:17], v[10:11]
	v_add_u32_e32 v7, -8, v18
	v_add_co_u32_e32 v10, vcc, 8, v10
	v_addc_co_u32_e32 v11, vcc, 0, v11, vcc
	s_waitcnt vmcnt(0) lgkmcnt(0)
	v_and_b32_e32 v18, 0xff, v17
	v_and_b32_e32 v19, 0xff00, v17
	;; [unrolled: 1-line block ×4, first 2 shown]
	v_or_b32_e32 v18, v18, v19
	v_or3_b32 v16, v16, 0, 0
	v_or3_b32 v17, v18, v20, v17
.LBB0_27:                               ;   in Loop: Header=BB0_3 Depth=1
	s_or_b64 exec, exec, s[4:5]
	v_cmp_gt_u32_e32 vcc, 8, v7
                                        ; implicit-def: $vgpr18_vgpr19
                                        ; implicit-def: $sgpr14
	s_and_saveexec_b64 s[4:5], vcc
	s_xor_b64 s[4:5], exec, s[4:5]
	s_cbranch_execz .LBB0_33
; %bb.28:                               ;   in Loop: Header=BB0_3 Depth=1
	v_cmp_ne_u32_e32 vcc, 0, v7
	v_pk_mov_b32 v[18:19], 0, 0
	s_and_saveexec_b64 s[14:15], vcc
	s_cbranch_execz .LBB0_32
; %bb.29:                               ;   in Loop: Header=BB0_3 Depth=1
	s_mov_b64 s[16:17], 0
	v_pk_mov_b32 v[18:19], 0, 0
	s_mov_b64 s[18:19], 0
	s_mov_b64 s[20:21], 0
.LBB0_30:                               ;   Parent Loop BB0_3 Depth=1
                                        ; =>  This Inner Loop Header: Depth=2
	v_mov_b32_e32 v21, s21
	v_add_co_u32_e32 v20, vcc, s20, v10
	v_addc_co_u32_e32 v21, vcc, v11, v21, vcc
	flat_load_ubyte v20, v[20:21]
	s_add_u32 s20, s20, 1
	v_mov_b32_e32 v21, s22
	s_addc_u32 s21, s21, 0
	v_cmp_eq_u32_e32 vcc, s20, v7
	s_waitcnt vmcnt(0) lgkmcnt(0)
	v_and_b32_e32 v20, 0xffff, v20
	v_lshlrev_b64 v[20:21], s18, v[20:21]
	s_add_u32 s18, s18, 8
	s_addc_u32 s19, s19, 0
	v_or_b32_e32 v19, v21, v19
	s_or_b64 s[16:17], vcc, s[16:17]
	v_or_b32_e32 v18, v20, v18
	s_andn2_b64 exec, exec, s[16:17]
	s_cbranch_execnz .LBB0_30
; %bb.31:                               ;   in Loop: Header=BB0_3 Depth=1
	s_or_b64 exec, exec, s[16:17]
.LBB0_32:                               ;   in Loop: Header=BB0_3 Depth=1
	s_or_b64 exec, exec, s[14:15]
	s_mov_b32 s14, 0
                                        ; implicit-def: $vgpr7
.LBB0_33:                               ;   in Loop: Header=BB0_3 Depth=1
	s_or_saveexec_b64 s[4:5], s[4:5]
	v_mov_b32_e32 v22, s14
	s_xor_b64 exec, exec, s[4:5]
	s_cbranch_execz .LBB0_35
; %bb.34:                               ;   in Loop: Header=BB0_3 Depth=1
	flat_load_dwordx2 v[18:19], v[10:11]
	v_add_u32_e32 v22, -8, v7
	v_add_co_u32_e32 v10, vcc, 8, v10
	v_addc_co_u32_e32 v11, vcc, 0, v11, vcc
	s_waitcnt vmcnt(0) lgkmcnt(0)
	v_and_b32_e32 v7, 0xff, v19
	v_and_b32_e32 v20, 0xff00, v19
	;; [unrolled: 1-line block ×4, first 2 shown]
	v_or_b32_e32 v7, v7, v20
	v_or3_b32 v18, v18, 0, 0
	v_or3_b32 v19, v7, v21, v19
.LBB0_35:                               ;   in Loop: Header=BB0_3 Depth=1
	s_or_b64 exec, exec, s[4:5]
	v_cmp_gt_u32_e32 vcc, 8, v22
                                        ; implicit-def: $sgpr14
	s_and_saveexec_b64 s[4:5], vcc
	s_xor_b64 s[4:5], exec, s[4:5]
	s_cbranch_execz .LBB0_41
; %bb.36:                               ;   in Loop: Header=BB0_3 Depth=1
	v_cmp_ne_u32_e32 vcc, 0, v22
	v_pk_mov_b32 v[20:21], 0, 0
	s_and_saveexec_b64 s[14:15], vcc
	s_cbranch_execz .LBB0_40
; %bb.37:                               ;   in Loop: Header=BB0_3 Depth=1
	s_mov_b64 s[16:17], 0
	v_pk_mov_b32 v[20:21], 0, 0
	s_mov_b64 s[18:19], 0
	s_mov_b64 s[20:21], 0
.LBB0_38:                               ;   Parent Loop BB0_3 Depth=1
                                        ; =>  This Inner Loop Header: Depth=2
	v_mov_b32_e32 v7, s21
	v_add_co_u32_e32 v24, vcc, s20, v10
	v_addc_co_u32_e32 v25, vcc, v11, v7, vcc
	flat_load_ubyte v7, v[24:25]
	s_add_u32 s20, s20, 1
	v_mov_b32_e32 v25, s22
	s_addc_u32 s21, s21, 0
	v_cmp_eq_u32_e32 vcc, s20, v22
	s_waitcnt vmcnt(0) lgkmcnt(0)
	v_and_b32_e32 v24, 0xffff, v7
	v_lshlrev_b64 v[24:25], s18, v[24:25]
	s_add_u32 s18, s18, 8
	s_addc_u32 s19, s19, 0
	v_or_b32_e32 v21, v25, v21
	s_or_b64 s[16:17], vcc, s[16:17]
	v_or_b32_e32 v20, v24, v20
	s_andn2_b64 exec, exec, s[16:17]
	s_cbranch_execnz .LBB0_38
; %bb.39:                               ;   in Loop: Header=BB0_3 Depth=1
	s_or_b64 exec, exec, s[16:17]
.LBB0_40:                               ;   in Loop: Header=BB0_3 Depth=1
	s_or_b64 exec, exec, s[14:15]
	s_mov_b32 s14, 0
                                        ; implicit-def: $vgpr22
.LBB0_41:                               ;   in Loop: Header=BB0_3 Depth=1
	s_or_saveexec_b64 s[4:5], s[4:5]
	v_mov_b32_e32 v7, s14
	s_xor_b64 exec, exec, s[4:5]
	s_cbranch_execz .LBB0_43
; %bb.42:                               ;   in Loop: Header=BB0_3 Depth=1
	flat_load_dwordx2 v[20:21], v[10:11]
	v_add_u32_e32 v7, -8, v22
	v_add_co_u32_e32 v10, vcc, 8, v10
	v_addc_co_u32_e32 v11, vcc, 0, v11, vcc
	s_waitcnt vmcnt(0) lgkmcnt(0)
	v_and_b32_e32 v22, 0xff, v21
	v_and_b32_e32 v23, 0xff00, v21
	;; [unrolled: 1-line block ×4, first 2 shown]
	v_or_b32_e32 v22, v22, v23
	v_or3_b32 v20, v20, 0, 0
	v_or3_b32 v21, v22, v24, v21
.LBB0_43:                               ;   in Loop: Header=BB0_3 Depth=1
	s_or_b64 exec, exec, s[4:5]
	v_cmp_gt_u32_e32 vcc, 8, v7
                                        ; implicit-def: $vgpr22_vgpr23
                                        ; implicit-def: $sgpr14
	s_and_saveexec_b64 s[4:5], vcc
	s_xor_b64 s[4:5], exec, s[4:5]
	s_cbranch_execz .LBB0_49
; %bb.44:                               ;   in Loop: Header=BB0_3 Depth=1
	v_cmp_ne_u32_e32 vcc, 0, v7
	v_pk_mov_b32 v[22:23], 0, 0
	s_and_saveexec_b64 s[14:15], vcc
	s_cbranch_execz .LBB0_48
; %bb.45:                               ;   in Loop: Header=BB0_3 Depth=1
	s_mov_b64 s[16:17], 0
	v_pk_mov_b32 v[22:23], 0, 0
	s_mov_b64 s[18:19], 0
	s_mov_b64 s[20:21], 0
.LBB0_46:                               ;   Parent Loop BB0_3 Depth=1
                                        ; =>  This Inner Loop Header: Depth=2
	v_mov_b32_e32 v25, s21
	v_add_co_u32_e32 v24, vcc, s20, v10
	v_addc_co_u32_e32 v25, vcc, v11, v25, vcc
	flat_load_ubyte v24, v[24:25]
	s_add_u32 s20, s20, 1
	v_mov_b32_e32 v25, s22
	s_addc_u32 s21, s21, 0
	v_cmp_eq_u32_e32 vcc, s20, v7
	s_waitcnt vmcnt(0) lgkmcnt(0)
	v_and_b32_e32 v24, 0xffff, v24
	v_lshlrev_b64 v[24:25], s18, v[24:25]
	s_add_u32 s18, s18, 8
	s_addc_u32 s19, s19, 0
	v_or_b32_e32 v23, v25, v23
	s_or_b64 s[16:17], vcc, s[16:17]
	v_or_b32_e32 v22, v24, v22
	s_andn2_b64 exec, exec, s[16:17]
	s_cbranch_execnz .LBB0_46
; %bb.47:                               ;   in Loop: Header=BB0_3 Depth=1
	s_or_b64 exec, exec, s[16:17]
.LBB0_48:                               ;   in Loop: Header=BB0_3 Depth=1
	s_or_b64 exec, exec, s[14:15]
	s_mov_b32 s14, 0
                                        ; implicit-def: $vgpr7
.LBB0_49:                               ;   in Loop: Header=BB0_3 Depth=1
	s_or_saveexec_b64 s[4:5], s[4:5]
	v_mov_b32_e32 v26, s14
	s_xor_b64 exec, exec, s[4:5]
	s_cbranch_execz .LBB0_51
; %bb.50:                               ;   in Loop: Header=BB0_3 Depth=1
	flat_load_dwordx2 v[22:23], v[10:11]
	v_add_u32_e32 v26, -8, v7
	v_add_co_u32_e32 v10, vcc, 8, v10
	v_addc_co_u32_e32 v11, vcc, 0, v11, vcc
	s_waitcnt vmcnt(0) lgkmcnt(0)
	v_and_b32_e32 v7, 0xff, v23
	v_and_b32_e32 v24, 0xff00, v23
	v_and_b32_e32 v25, 0xff0000, v23
	v_and_b32_e32 v23, 0xff000000, v23
	v_or_b32_e32 v7, v7, v24
	v_or3_b32 v22, v22, 0, 0
	v_or3_b32 v23, v7, v25, v23
.LBB0_51:                               ;   in Loop: Header=BB0_3 Depth=1
	s_or_b64 exec, exec, s[4:5]
	v_cmp_gt_u32_e32 vcc, 8, v26
	s_and_saveexec_b64 s[4:5], vcc
	s_xor_b64 s[4:5], exec, s[4:5]
	s_cbranch_execz .LBB0_57
; %bb.52:                               ;   in Loop: Header=BB0_3 Depth=1
	v_cmp_ne_u32_e32 vcc, 0, v26
	v_pk_mov_b32 v[24:25], 0, 0
	s_and_saveexec_b64 s[14:15], vcc
	s_cbranch_execz .LBB0_56
; %bb.53:                               ;   in Loop: Header=BB0_3 Depth=1
	s_mov_b64 s[16:17], 0
	v_pk_mov_b32 v[24:25], 0, 0
	s_mov_b64 s[18:19], 0
.LBB0_54:                               ;   Parent Loop BB0_3 Depth=1
                                        ; =>  This Inner Loop Header: Depth=2
	flat_load_ubyte v7, v[10:11]
	v_mov_b32_e32 v29, s22
	v_add_co_u32_e32 v10, vcc, 1, v10
	v_add_u32_e32 v26, -1, v26
	v_addc_co_u32_e32 v11, vcc, 0, v11, vcc
	v_cmp_eq_u32_e32 vcc, 0, v26
	s_waitcnt vmcnt(0) lgkmcnt(0)
	v_and_b32_e32 v28, 0xffff, v7
	v_lshlrev_b64 v[28:29], s18, v[28:29]
	s_add_u32 s18, s18, 8
	s_addc_u32 s19, s19, 0
	v_or_b32_e32 v25, v29, v25
	s_or_b64 s[16:17], vcc, s[16:17]
	v_or_b32_e32 v24, v28, v24
	s_andn2_b64 exec, exec, s[16:17]
	s_cbranch_execnz .LBB0_54
; %bb.55:                               ;   in Loop: Header=BB0_3 Depth=1
	s_or_b64 exec, exec, s[16:17]
.LBB0_56:                               ;   in Loop: Header=BB0_3 Depth=1
	s_or_b64 exec, exec, s[14:15]
                                        ; implicit-def: $vgpr10_vgpr11
.LBB0_57:                               ;   in Loop: Header=BB0_3 Depth=1
	s_andn2_saveexec_b64 s[4:5], s[4:5]
	s_cbranch_execz .LBB0_59
; %bb.58:                               ;   in Loop: Header=BB0_3 Depth=1
	flat_load_dwordx2 v[10:11], v[10:11]
	s_waitcnt vmcnt(0) lgkmcnt(0)
	v_and_b32_e32 v7, 0xff, v11
	v_and_b32_e32 v24, 0xff00, v11
	;; [unrolled: 1-line block ×4, first 2 shown]
	v_or_b32_e32 v7, v7, v24
	v_or3_b32 v25, v7, v25, v11
	v_or3_b32 v24, v10, 0, 0
.LBB0_59:                               ;   in Loop: Header=BB0_3 Depth=1
	s_or_b64 exec, exec, s[4:5]
	v_readfirstlane_b32 s4, v32
	v_cmp_eq_u32_e64 s[4:5], s4, v32
	v_pk_mov_b32 v[10:11], 0, 0
	s_and_saveexec_b64 s[14:15], s[4:5]
	s_cbranch_execz .LBB0_65
; %bb.60:                               ;   in Loop: Header=BB0_3 Depth=1
	s_waitcnt lgkmcnt(0)
	global_load_dwordx2 v[28:29], v31, s[12:13] offset:24 glc
	s_waitcnt vmcnt(0)
	buffer_invl2
	buffer_wbinvl1_vol
	global_load_dwordx2 v[10:11], v31, s[12:13] offset:40
	global_load_dwordx2 v[26:27], v31, s[12:13]
	s_waitcnt vmcnt(1)
	v_and_b32_e32 v7, v10, v28
	v_and_b32_e32 v10, v11, v29
	v_mul_lo_u32 v10, v10, 24
	v_mul_hi_u32 v11, v7, 24
	v_mul_lo_u32 v7, v7, 24
	v_add_u32_e32 v11, v11, v10
	s_waitcnt vmcnt(0)
	v_add_co_u32_e32 v10, vcc, v26, v7
	v_addc_co_u32_e32 v11, vcc, v27, v11, vcc
	global_load_dwordx2 v[26:27], v[10:11], off glc
	s_waitcnt vmcnt(0)
	global_atomic_cmpswap_x2 v[10:11], v31, v[26:29], s[12:13] offset:24 glc
	s_waitcnt vmcnt(0)
	buffer_invl2
	buffer_wbinvl1_vol
	v_cmp_ne_u64_e32 vcc, v[10:11], v[28:29]
	s_and_saveexec_b64 s[16:17], vcc
	s_cbranch_execz .LBB0_64
; %bb.61:                               ;   in Loop: Header=BB0_3 Depth=1
	s_mov_b64 s[18:19], 0
.LBB0_62:                               ;   Parent Loop BB0_3 Depth=1
                                        ; =>  This Inner Loop Header: Depth=2
	s_sleep 1
	global_load_dwordx2 v[26:27], v31, s[12:13] offset:40
	global_load_dwordx2 v[36:37], v31, s[12:13]
	v_pk_mov_b32 v[28:29], v[10:11], v[10:11] op_sel:[0,1]
	s_waitcnt vmcnt(1)
	v_and_b32_e32 v10, v26, v28
	s_waitcnt vmcnt(0)
	v_mad_u64_u32 v[10:11], s[20:21], v10, 24, v[36:37]
	v_and_b32_e32 v7, v27, v29
	v_mov_b32_e32 v26, v11
	v_mad_u64_u32 v[26:27], s[20:21], v7, 24, v[26:27]
	v_mov_b32_e32 v11, v26
	global_load_dwordx2 v[26:27], v[10:11], off glc
	s_waitcnt vmcnt(0)
	global_atomic_cmpswap_x2 v[10:11], v31, v[26:29], s[12:13] offset:24 glc
	s_waitcnt vmcnt(0)
	buffer_invl2
	buffer_wbinvl1_vol
	v_cmp_eq_u64_e32 vcc, v[10:11], v[28:29]
	s_or_b64 s[18:19], vcc, s[18:19]
	s_andn2_b64 exec, exec, s[18:19]
	s_cbranch_execnz .LBB0_62
; %bb.63:                               ;   in Loop: Header=BB0_3 Depth=1
	s_or_b64 exec, exec, s[18:19]
.LBB0_64:                               ;   in Loop: Header=BB0_3 Depth=1
	s_or_b64 exec, exec, s[16:17]
.LBB0_65:                               ;   in Loop: Header=BB0_3 Depth=1
	s_or_b64 exec, exec, s[14:15]
	s_waitcnt lgkmcnt(0)
	global_load_dwordx2 v[36:37], v31, s[12:13] offset:40
	global_load_dwordx4 v[26:29], v31, s[12:13]
	v_readfirstlane_b32 s14, v10
	v_readfirstlane_b32 s15, v11
	s_mov_b64 s[16:17], exec
	s_waitcnt vmcnt(1)
	v_readfirstlane_b32 s18, v36
	v_readfirstlane_b32 s19, v37
	s_and_b64 s[18:19], s[14:15], s[18:19]
	s_mul_i32 s20, s19, 24
	s_mul_hi_u32 s21, s18, 24
	s_mul_i32 s24, s18, 24
	s_add_i32 s20, s21, s20
	v_mov_b32_e32 v7, s20
	s_waitcnt vmcnt(0)
	v_add_co_u32_e32 v36, vcc, s24, v26
	v_addc_co_u32_e32 v37, vcc, v27, v7, vcc
	s_and_saveexec_b64 s[20:21], s[4:5]
	s_cbranch_execz .LBB0_67
; %bb.66:                               ;   in Loop: Header=BB0_3 Depth=1
	v_pk_mov_b32 v[10:11], s[16:17], s[16:17] op_sel:[0,1]
	global_store_dwordx4 v[36:37], v[10:13], off offset:8
.LBB0_67:                               ;   in Loop: Header=BB0_3 Depth=1
	s_or_b64 exec, exec, s[20:21]
	s_lshl_b64 s[16:17], s[18:19], 12
	v_mov_b32_e32 v7, s17
	v_add_co_u32_e32 v10, vcc, s16, v28
	v_addc_co_u32_e32 v7, vcc, v29, v7, vcc
	v_or_b32_e32 v11, 0, v1
	v_cmp_lt_u64_e32 vcc, 56, v[4:5]
	v_or_b32_e32 v28, v0, v6
	v_cndmask_b32_e32 v1, v11, v1, vcc
	v_lshl_add_u32 v11, v34, 2, 28
	v_cndmask_b32_e32 v0, v28, v0, vcc
	v_and_b32_e32 v11, 0x1e0, v11
	v_and_or_b32 v0, v0, s23, v11
	v_lshlrev_b32_e32 v11, 6, v32
	v_readfirstlane_b32 s16, v10
	v_readfirstlane_b32 s17, v7
	s_nop 4
	global_store_dwordx4 v11, v[0:3], s[16:17]
	global_store_dwordx4 v11, v[14:17], s[16:17] offset:16
	global_store_dwordx4 v11, v[18:21], s[16:17] offset:32
	;; [unrolled: 1-line block ×3, first 2 shown]
	s_and_saveexec_b64 s[16:17], s[4:5]
	s_cbranch_execz .LBB0_75
; %bb.68:                               ;   in Loop: Header=BB0_3 Depth=1
	global_load_dwordx2 v[18:19], v31, s[12:13] offset:32 glc
	global_load_dwordx2 v[0:1], v31, s[12:13] offset:40
	v_mov_b32_e32 v16, s14
	v_mov_b32_e32 v17, s15
	s_waitcnt vmcnt(0)
	v_readfirstlane_b32 s18, v0
	v_readfirstlane_b32 s19, v1
	s_and_b64 s[18:19], s[18:19], s[14:15]
	s_mul_i32 s19, s19, 24
	s_mul_hi_u32 s20, s18, 24
	s_mul_i32 s18, s18, 24
	s_add_i32 s19, s20, s19
	v_mov_b32_e32 v0, s19
	v_add_co_u32_e32 v14, vcc, s18, v26
	v_addc_co_u32_e32 v15, vcc, v27, v0, vcc
	global_store_dwordx2 v[14:15], v[18:19], off
	buffer_wbl2
	s_waitcnt vmcnt(0)
	global_atomic_cmpswap_x2 v[2:3], v31, v[16:19], s[12:13] offset:32 glc
	s_waitcnt vmcnt(0)
	v_cmp_ne_u64_e32 vcc, v[2:3], v[18:19]
	s_and_saveexec_b64 s[18:19], vcc
	s_cbranch_execz .LBB0_71
; %bb.69:                               ;   in Loop: Header=BB0_3 Depth=1
	s_mov_b64 s[20:21], 0
.LBB0_70:                               ;   Parent Loop BB0_3 Depth=1
                                        ; =>  This Inner Loop Header: Depth=2
	s_sleep 1
	global_store_dwordx2 v[14:15], v[2:3], off
	v_mov_b32_e32 v0, s14
	v_mov_b32_e32 v1, s15
	buffer_wbl2
	s_waitcnt vmcnt(0)
	global_atomic_cmpswap_x2 v[0:1], v31, v[0:3], s[12:13] offset:32 glc
	s_waitcnt vmcnt(0)
	v_cmp_eq_u64_e32 vcc, v[0:1], v[2:3]
	s_or_b64 s[20:21], vcc, s[20:21]
	v_pk_mov_b32 v[2:3], v[0:1], v[0:1] op_sel:[0,1]
	s_andn2_b64 exec, exec, s[20:21]
	s_cbranch_execnz .LBB0_70
.LBB0_71:                               ;   in Loop: Header=BB0_3 Depth=1
	s_or_b64 exec, exec, s[18:19]
	global_load_dwordx2 v[0:1], v31, s[12:13] offset:16
	s_mov_b64 s[20:21], exec
	v_mbcnt_lo_u32_b32 v2, s20, 0
	v_mbcnt_hi_u32_b32 v2, s21, v2
	v_cmp_eq_u32_e32 vcc, 0, v2
	s_and_saveexec_b64 s[18:19], vcc
	s_cbranch_execz .LBB0_73
; %bb.72:                               ;   in Loop: Header=BB0_3 Depth=1
	s_bcnt1_i32_b64 s20, s[20:21]
	v_mov_b32_e32 v30, s20
	buffer_wbl2
	s_waitcnt vmcnt(0)
	global_atomic_add_x2 v[0:1], v[30:31], off offset:8
.LBB0_73:                               ;   in Loop: Header=BB0_3 Depth=1
	s_or_b64 exec, exec, s[18:19]
	s_waitcnt vmcnt(0)
	global_load_dwordx2 v[2:3], v[0:1], off offset:16
	s_waitcnt vmcnt(0)
	v_cmp_eq_u64_e32 vcc, 0, v[2:3]
	s_cbranch_vccnz .LBB0_75
; %bb.74:                               ;   in Loop: Header=BB0_3 Depth=1
	global_load_dword v30, v[0:1], off offset:24
	s_waitcnt vmcnt(0)
	v_and_b32_e32 v0, 0xffffff, v30
	v_readfirstlane_b32 m0, v0
	buffer_wbl2
	global_store_dwordx2 v[2:3], v[30:31], off
	s_sendmsg sendmsg(MSG_INTERRUPT)
.LBB0_75:                               ;   in Loop: Header=BB0_3 Depth=1
	s_or_b64 exec, exec, s[16:17]
	v_add_co_u32_e32 v0, vcc, v10, v11
	v_addc_co_u32_e32 v1, vcc, 0, v7, vcc
	s_branch .LBB0_79
.LBB0_76:                               ;   in Loop: Header=BB0_79 Depth=2
	s_or_b64 exec, exec, s[16:17]
	v_readfirstlane_b32 s16, v2
	s_cmp_eq_u32 s16, 0
	s_cbranch_scc1 .LBB0_78
; %bb.77:                               ;   in Loop: Header=BB0_79 Depth=2
	s_sleep 1
	s_cbranch_execnz .LBB0_79
	s_branch .LBB0_81
.LBB0_78:                               ;   in Loop: Header=BB0_3 Depth=1
	s_branch .LBB0_81
.LBB0_79:                               ;   Parent Loop BB0_3 Depth=1
                                        ; =>  This Inner Loop Header: Depth=2
	v_mov_b32_e32 v2, 1
	s_and_saveexec_b64 s[16:17], s[4:5]
	s_cbranch_execz .LBB0_76
; %bb.80:                               ;   in Loop: Header=BB0_79 Depth=2
	global_load_dword v2, v[36:37], off offset:20 glc
	s_waitcnt vmcnt(0)
	buffer_invl2
	buffer_wbinvl1_vol
	v_and_b32_e32 v2, 1, v2
	s_branch .LBB0_76
.LBB0_81:                               ;   in Loop: Header=BB0_3 Depth=1
	global_load_dwordx4 v[0:3], v[0:1], off
	s_and_saveexec_b64 s[16:17], s[4:5]
	s_cbranch_execz .LBB0_2
; %bb.82:                               ;   in Loop: Header=BB0_3 Depth=1
	global_load_dwordx2 v[2:3], v31, s[12:13] offset:40
	global_load_dwordx2 v[10:11], v31, s[12:13] offset:24 glc
	global_load_dwordx2 v[18:19], v31, s[12:13]
	v_mov_b32_e32 v7, s15
	s_waitcnt vmcnt(2)
	v_add_co_u32_e32 v17, vcc, 1, v2
	v_addc_co_u32_e32 v20, vcc, 0, v3, vcc
	v_add_co_u32_e32 v14, vcc, s14, v17
	v_addc_co_u32_e32 v15, vcc, v20, v7, vcc
	v_cmp_eq_u64_e32 vcc, 0, v[14:15]
	v_cndmask_b32_e32 v15, v15, v20, vcc
	v_cndmask_b32_e32 v14, v14, v17, vcc
	v_and_b32_e32 v3, v15, v3
	v_and_b32_e32 v2, v14, v2
	v_mul_lo_u32 v3, v3, 24
	v_mul_hi_u32 v7, v2, 24
	v_mul_lo_u32 v2, v2, 24
	v_add_u32_e32 v3, v7, v3
	s_waitcnt vmcnt(0)
	v_add_co_u32_e32 v2, vcc, v18, v2
	v_addc_co_u32_e32 v3, vcc, v19, v3, vcc
	v_mov_b32_e32 v16, v10
	global_store_dwordx2 v[2:3], v[10:11], off
	v_mov_b32_e32 v17, v11
	buffer_wbl2
	s_waitcnt vmcnt(0)
	global_atomic_cmpswap_x2 v[16:17], v31, v[14:17], s[12:13] offset:24 glc
	s_waitcnt vmcnt(0)
	v_cmp_ne_u64_e32 vcc, v[16:17], v[10:11]
	s_and_b64 exec, exec, vcc
	s_cbranch_execz .LBB0_2
; %bb.83:                               ;   in Loop: Header=BB0_3 Depth=1
	s_mov_b64 s[4:5], 0
.LBB0_84:                               ;   Parent Loop BB0_3 Depth=1
                                        ; =>  This Inner Loop Header: Depth=2
	s_sleep 1
	global_store_dwordx2 v[2:3], v[16:17], off
	buffer_wbl2
	s_waitcnt vmcnt(0)
	global_atomic_cmpswap_x2 v[10:11], v31, v[14:17], s[12:13] offset:24 glc
	s_waitcnt vmcnt(0)
	v_cmp_eq_u64_e32 vcc, v[10:11], v[16:17]
	s_or_b64 s[4:5], vcc, s[4:5]
	v_pk_mov_b32 v[16:17], v[10:11], v[10:11] op_sel:[0,1]
	s_andn2_b64 exec, exec, s[4:5]
	s_cbranch_execnz .LBB0_84
	s_branch .LBB0_2
.LBB0_85:
	s_or_b64 exec, exec, s[6:7]
                                        ; implicit-def: $vgpr0
                                        ; implicit-def: $vgpr1
                                        ; implicit-def: $vgpr2
.LBB0_86:
	s_andn2_saveexec_b64 s[6:7], s[10:11]
	s_cbranch_execz .LBB0_109
; %bb.87:
	s_load_dwordx2 s[8:9], s[8:9], 0x50
	s_waitcnt vmcnt(0)
	v_mbcnt_hi_u32_b32 v3, -1, v2
	v_readfirstlane_b32 s4, v3
	v_cmp_eq_u32_e64 s[4:5], s4, v3
	v_pk_mov_b32 v[8:9], 0, 0
	s_and_saveexec_b64 s[10:11], s[4:5]
	s_cbranch_execz .LBB0_93
; %bb.88:
	v_mov_b32_e32 v2, 0
	s_waitcnt lgkmcnt(0)
	global_load_dwordx2 v[6:7], v2, s[8:9] offset:24 glc
	s_waitcnt vmcnt(0)
	buffer_invl2
	buffer_wbinvl1_vol
	global_load_dwordx2 v[4:5], v2, s[8:9] offset:40
	global_load_dwordx2 v[8:9], v2, s[8:9]
	s_waitcnt vmcnt(1)
	v_and_b32_e32 v4, v4, v6
	v_and_b32_e32 v5, v5, v7
	v_mul_lo_u32 v5, v5, 24
	v_mul_hi_u32 v10, v4, 24
	v_mul_lo_u32 v4, v4, 24
	v_add_u32_e32 v5, v10, v5
	s_waitcnt vmcnt(0)
	v_add_co_u32_e32 v4, vcc, v8, v4
	v_addc_co_u32_e32 v5, vcc, v9, v5, vcc
	global_load_dwordx2 v[4:5], v[4:5], off glc
	s_waitcnt vmcnt(0)
	global_atomic_cmpswap_x2 v[8:9], v2, v[4:7], s[8:9] offset:24 glc
	s_waitcnt vmcnt(0)
	buffer_invl2
	buffer_wbinvl1_vol
	v_cmp_ne_u64_e32 vcc, v[8:9], v[6:7]
	s_and_saveexec_b64 s[12:13], vcc
	s_cbranch_execz .LBB0_92
; %bb.89:
	s_mov_b64 s[14:15], 0
.LBB0_90:                               ; =>This Inner Loop Header: Depth=1
	s_sleep 1
	global_load_dwordx2 v[4:5], v2, s[8:9] offset:40
	global_load_dwordx2 v[10:11], v2, s[8:9]
	v_pk_mov_b32 v[6:7], v[8:9], v[8:9] op_sel:[0,1]
	s_waitcnt vmcnt(1)
	v_and_b32_e32 v4, v4, v6
	v_and_b32_e32 v9, v5, v7
	s_waitcnt vmcnt(0)
	v_mad_u64_u32 v[4:5], s[16:17], v4, 24, v[10:11]
	v_mov_b32_e32 v8, v5
	v_mad_u64_u32 v[8:9], s[16:17], v9, 24, v[8:9]
	v_mov_b32_e32 v5, v8
	global_load_dwordx2 v[4:5], v[4:5], off glc
	s_waitcnt vmcnt(0)
	global_atomic_cmpswap_x2 v[8:9], v2, v[4:7], s[8:9] offset:24 glc
	s_waitcnt vmcnt(0)
	buffer_invl2
	buffer_wbinvl1_vol
	v_cmp_eq_u64_e32 vcc, v[8:9], v[6:7]
	s_or_b64 s[14:15], vcc, s[14:15]
	s_andn2_b64 exec, exec, s[14:15]
	s_cbranch_execnz .LBB0_90
; %bb.91:
	s_or_b64 exec, exec, s[14:15]
.LBB0_92:
	s_or_b64 exec, exec, s[12:13]
.LBB0_93:
	s_or_b64 exec, exec, s[10:11]
	v_mov_b32_e32 v2, 0
	s_waitcnt lgkmcnt(0)
	global_load_dwordx2 v[10:11], v2, s[8:9] offset:40
	global_load_dwordx4 v[4:7], v2, s[8:9]
	v_readfirstlane_b32 s10, v8
	v_readfirstlane_b32 s11, v9
	s_mov_b64 s[12:13], exec
	s_waitcnt vmcnt(1)
	v_readfirstlane_b32 s14, v10
	v_readfirstlane_b32 s15, v11
	s_and_b64 s[14:15], s[10:11], s[14:15]
	s_mul_i32 s16, s15, 24
	s_mul_hi_u32 s17, s14, 24
	s_mul_i32 s18, s14, 24
	s_add_i32 s16, s17, s16
	v_mov_b32_e32 v9, s16
	s_waitcnt vmcnt(0)
	v_add_co_u32_e32 v8, vcc, s18, v4
	v_addc_co_u32_e32 v9, vcc, v5, v9, vcc
	s_and_saveexec_b64 s[16:17], s[4:5]
	s_cbranch_execz .LBB0_95
; %bb.94:
	v_pk_mov_b32 v[10:11], s[12:13], s[12:13] op_sel:[0,1]
	v_mov_b32_e32 v12, 2
	v_mov_b32_e32 v13, 1
	global_store_dwordx4 v[8:9], v[10:13], off offset:8
.LBB0_95:
	s_or_b64 exec, exec, s[16:17]
	s_lshl_b64 s[12:13], s[14:15], 12
	v_mov_b32_e32 v10, s13
	v_add_co_u32_e32 v6, vcc, s12, v6
	s_movk_i32 s12, 0xff1f
	v_addc_co_u32_e32 v7, vcc, v7, v10, vcc
	v_and_or_b32 v0, v0, s12, 32
	s_mov_b32 s12, 0
	v_lshlrev_b32_e32 v10, 6, v3
	v_mov_b32_e32 v3, v2
	v_readfirstlane_b32 s16, v6
	v_readfirstlane_b32 s17, v7
	s_mov_b32 s13, s12
	s_mov_b32 s14, s12
	;; [unrolled: 1-line block ×3, first 2 shown]
	s_nop 1
	global_store_dwordx4 v10, v[0:3], s[16:17]
	s_nop 0
	v_pk_mov_b32 v[0:1], s[12:13], s[12:13] op_sel:[0,1]
	v_pk_mov_b32 v[2:3], s[14:15], s[14:15] op_sel:[0,1]
	global_store_dwordx4 v10, v[0:3], s[16:17] offset:16
	global_store_dwordx4 v10, v[0:3], s[16:17] offset:32
	;; [unrolled: 1-line block ×3, first 2 shown]
	s_and_saveexec_b64 s[12:13], s[4:5]
	s_cbranch_execz .LBB0_103
; %bb.96:
	v_mov_b32_e32 v6, 0
	global_load_dwordx2 v[12:13], v6, s[8:9] offset:32 glc
	global_load_dwordx2 v[0:1], v6, s[8:9] offset:40
	v_mov_b32_e32 v10, s10
	v_mov_b32_e32 v11, s11
	s_waitcnt vmcnt(0)
	v_and_b32_e32 v0, s10, v0
	v_and_b32_e32 v1, s11, v1
	v_mul_lo_u32 v1, v1, 24
	v_mul_hi_u32 v2, v0, 24
	v_mul_lo_u32 v0, v0, 24
	v_add_u32_e32 v1, v2, v1
	v_add_co_u32_e32 v4, vcc, v4, v0
	v_addc_co_u32_e32 v5, vcc, v5, v1, vcc
	global_store_dwordx2 v[4:5], v[12:13], off
	buffer_wbl2
	s_waitcnt vmcnt(0)
	global_atomic_cmpswap_x2 v[2:3], v6, v[10:13], s[8:9] offset:32 glc
	s_waitcnt vmcnt(0)
	v_cmp_ne_u64_e32 vcc, v[2:3], v[12:13]
	s_and_saveexec_b64 s[14:15], vcc
	s_cbranch_execz .LBB0_99
; %bb.97:
	s_mov_b64 s[16:17], 0
.LBB0_98:                               ; =>This Inner Loop Header: Depth=1
	s_sleep 1
	global_store_dwordx2 v[4:5], v[2:3], off
	v_mov_b32_e32 v0, s10
	v_mov_b32_e32 v1, s11
	buffer_wbl2
	s_waitcnt vmcnt(0)
	global_atomic_cmpswap_x2 v[0:1], v6, v[0:3], s[8:9] offset:32 glc
	s_waitcnt vmcnt(0)
	v_cmp_eq_u64_e32 vcc, v[0:1], v[2:3]
	s_or_b64 s[16:17], vcc, s[16:17]
	v_pk_mov_b32 v[2:3], v[0:1], v[0:1] op_sel:[0,1]
	s_andn2_b64 exec, exec, s[16:17]
	s_cbranch_execnz .LBB0_98
.LBB0_99:
	s_or_b64 exec, exec, s[14:15]
	v_mov_b32_e32 v3, 0
	global_load_dwordx2 v[0:1], v3, s[8:9] offset:16
	s_mov_b64 s[14:15], exec
	v_mbcnt_lo_u32_b32 v2, s14, 0
	v_mbcnt_hi_u32_b32 v2, s15, v2
	v_cmp_eq_u32_e32 vcc, 0, v2
	s_and_saveexec_b64 s[16:17], vcc
	s_cbranch_execz .LBB0_101
; %bb.100:
	s_bcnt1_i32_b64 s14, s[14:15]
	v_mov_b32_e32 v2, s14
	buffer_wbl2
	s_waitcnt vmcnt(0)
	global_atomic_add_x2 v[0:1], v[2:3], off offset:8
.LBB0_101:
	s_or_b64 exec, exec, s[16:17]
	s_waitcnt vmcnt(0)
	global_load_dwordx2 v[2:3], v[0:1], off offset:16
	s_waitcnt vmcnt(0)
	v_cmp_eq_u64_e32 vcc, 0, v[2:3]
	s_cbranch_vccnz .LBB0_103
; %bb.102:
	global_load_dword v0, v[0:1], off offset:24
	v_mov_b32_e32 v1, 0
	buffer_wbl2
	s_waitcnt vmcnt(0)
	global_store_dwordx2 v[2:3], v[0:1], off
	v_and_b32_e32 v0, 0xffffff, v0
	v_readfirstlane_b32 m0, v0
	s_sendmsg sendmsg(MSG_INTERRUPT)
.LBB0_103:
	s_or_b64 exec, exec, s[12:13]
	s_branch .LBB0_107
.LBB0_104:                              ;   in Loop: Header=BB0_107 Depth=1
	s_or_b64 exec, exec, s[12:13]
	v_readfirstlane_b32 s12, v0
	s_cmp_eq_u32 s12, 0
	s_cbranch_scc1 .LBB0_106
; %bb.105:                              ;   in Loop: Header=BB0_107 Depth=1
	s_sleep 1
	s_cbranch_execnz .LBB0_107
	s_branch .LBB0_110
.LBB0_106:
	s_branch .LBB0_110
.LBB0_107:                              ; =>This Inner Loop Header: Depth=1
	v_mov_b32_e32 v0, 1
	s_and_saveexec_b64 s[12:13], s[4:5]
	s_cbranch_execz .LBB0_104
; %bb.108:                              ;   in Loop: Header=BB0_107 Depth=1
	global_load_dword v0, v[8:9], off offset:20 glc
	s_waitcnt vmcnt(0)
	buffer_invl2
	buffer_wbinvl1_vol
	v_and_b32_e32 v0, 1, v0
	s_branch .LBB0_104
.LBB0_109:
	s_or_b64 exec, exec, s[6:7]
	s_waitcnt vmcnt(0) lgkmcnt(0)
	s_setpc_b64 s[30:31]
.LBB0_110:
	s_and_saveexec_b64 s[12:13], s[4:5]
	s_cbranch_execz .LBB0_113
; %bb.111:
	v_mov_b32_e32 v6, 0
	global_load_dwordx2 v[4:5], v6, s[8:9] offset:40
	global_load_dwordx2 v[8:9], v6, s[8:9] offset:24 glc
	global_load_dwordx2 v[10:11], v6, s[8:9]
	v_mov_b32_e32 v1, s11
	s_mov_b64 s[4:5], 0
	s_waitcnt vmcnt(2)
	v_add_co_u32_e32 v3, vcc, 1, v4
	v_addc_co_u32_e32 v7, vcc, 0, v5, vcc
	v_add_co_u32_e32 v0, vcc, s10, v3
	v_addc_co_u32_e32 v1, vcc, v7, v1, vcc
	v_cmp_eq_u64_e32 vcc, 0, v[0:1]
	v_cndmask_b32_e32 v1, v1, v7, vcc
	v_cndmask_b32_e32 v0, v0, v3, vcc
	v_and_b32_e32 v3, v1, v5
	v_and_b32_e32 v4, v0, v4
	v_mul_lo_u32 v3, v3, 24
	v_mul_hi_u32 v5, v4, 24
	v_mul_lo_u32 v4, v4, 24
	v_add_u32_e32 v3, v5, v3
	s_waitcnt vmcnt(0)
	v_add_co_u32_e32 v4, vcc, v10, v4
	v_addc_co_u32_e32 v5, vcc, v11, v3, vcc
	v_mov_b32_e32 v2, v8
	global_store_dwordx2 v[4:5], v[8:9], off
	v_mov_b32_e32 v3, v9
	buffer_wbl2
	s_waitcnt vmcnt(0)
	global_atomic_cmpswap_x2 v[2:3], v6, v[0:3], s[8:9] offset:24 glc
	s_waitcnt vmcnt(0)
	v_cmp_ne_u64_e32 vcc, v[2:3], v[8:9]
	s_and_b64 exec, exec, vcc
	s_cbranch_execz .LBB0_113
.LBB0_112:                              ; =>This Inner Loop Header: Depth=1
	s_sleep 1
	global_store_dwordx2 v[4:5], v[2:3], off
	buffer_wbl2
	s_waitcnt vmcnt(0)
	global_atomic_cmpswap_x2 v[8:9], v6, v[0:3], s[8:9] offset:24 glc
	s_waitcnt vmcnt(0)
	v_cmp_eq_u64_e32 vcc, v[8:9], v[2:3]
	s_or_b64 s[4:5], vcc, s[4:5]
	v_pk_mov_b32 v[2:3], v[8:9], v[8:9] op_sel:[0,1]
	s_andn2_b64 exec, exec, s[4:5]
	s_cbranch_execnz .LBB0_112
.LBB0_113:
	s_or_b64 exec, exec, s[12:13]
	s_or_b64 exec, exec, s[6:7]
	s_waitcnt vmcnt(0) lgkmcnt(0)
	s_setpc_b64 s[30:31]
.Lfunc_end0:
	.size	__ockl_fprintf_append_string_n, .Lfunc_end0-__ockl_fprintf_append_string_n
                                        ; -- End function
	.section	.AMDGPU.csdata,"",@progbits
; Function info:
; codeLenInByte = 4372
; NumSgprs: 36
; NumVgprs: 38
; NumAgprs: 0
; TotalNumVgprs: 38
; ScratchSize: 0
; MemoryBound: 0
	.text
	.p2align	2                               ; -- Begin function __assert_fail
	.type	__assert_fail,@function
__assert_fail:                          ; @__assert_fail
; %bb.0:
	s_waitcnt vmcnt(0) expcnt(0) lgkmcnt(0)
	s_mov_b32 s25, s33
	s_mov_b32 s33, s32
	s_or_saveexec_b64 s[4:5], -1
	buffer_store_dword v40, off, s[0:3], s33 offset:48 ; 4-byte Folded Spill
	s_mov_b64 exec, s[4:5]
	v_writelane_b32 v40, s30, 0
	s_addk_i32 s32, 0x1000
	v_writelane_b32 v40, s31, 1
	s_getpc_b64 s[4:5]
	s_add_u32 s4, s4, __const.__assert_fail.fmt@rel32@lo+4
	s_addc_u32 s5, s5, __const.__assert_fail.fmt@rel32@hi+12
	s_load_dwordx4 s[4:7], s[4:5], 0x0
	v_mov_b32_e32 v4, v0
	v_mov_b32_e32 v0, 0xa2e
	buffer_store_short v0, off, s[0:3], s33 offset:44
	v_mov_b32_e32 v0, 0x64656c69
	buffer_store_dword v0, off, s[0:3], s33 offset:40
	v_mov_b32_e32 v0, 0x61662027
	s_getpc_b64 s[10:11]
	s_add_u32 s10, s10, __const.__assert_fail.fmt@rel32@lo+20
	s_addc_u32 s11, s11, __const.__assert_fail.fmt@rel32@hi+28
	buffer_store_dword v0, off, s[0:3], s33 offset:36
	v_mov_b32_e32 v0, 0x73256020
	s_load_dwordx4 s[12:15], s[10:11], 0x0
	buffer_store_dword v0, off, s[0:3], s33 offset:32
	s_waitcnt lgkmcnt(0)
	v_mov_b32_e32 v0, s7
	buffer_store_dword v0, off, s[0:3], s33 offset:12
	v_mov_b32_e32 v0, s6
	buffer_store_dword v0, off, s[0:3], s33 offset:8
	v_mov_b32_e32 v0, s5
	buffer_store_dword v0, off, s[0:3], s33 offset:4
	v_mov_b32_e32 v0, s4
	buffer_store_dword v0, off, s[0:3], s33
	v_mov_b32_e32 v0, s15
	buffer_store_dword v0, off, s[0:3], s33 offset:28
	v_mov_b32_e32 v0, s14
	buffer_store_dword v0, off, s[0:3], s33 offset:24
	;; [unrolled: 2-line block ×3, first 2 shown]
	v_mov_b32_e32 v0, s12
	s_load_dwordx2 s[10:11], s[8:9], 0x50
	buffer_store_dword v0, off, s[0:3], s33 offset:16
	v_mbcnt_lo_u32_b32 v0, -1, 0
	v_mbcnt_hi_u32_b32 v37, -1, v0
	v_readfirstlane_b32 s4, v37
	v_mov_b32_e32 v5, v1
	v_mov_b32_e32 v8, 0
	v_cmp_eq_u32_e64 s[4:5], s4, v37
	v_pk_mov_b32 v[6:7], 0, 0
	buffer_store_byte v8, off, s[0:3], s33 offset:46
	s_and_saveexec_b64 s[6:7], s[4:5]
	s_cbranch_execz .LBB1_6
; %bb.1:
	s_waitcnt lgkmcnt(0)
	global_load_dwordx2 v[2:3], v8, s[10:11] offset:24 glc
	s_waitcnt vmcnt(0)
	buffer_invl2
	buffer_wbinvl1_vol
	global_load_dwordx2 v[0:1], v8, s[10:11] offset:40
	global_load_dwordx2 v[6:7], v8, s[10:11]
	s_waitcnt vmcnt(1)
	v_and_b32_e32 v0, v0, v2
	v_and_b32_e32 v1, v1, v3
	v_mul_lo_u32 v1, v1, 24
	v_mul_hi_u32 v9, v0, 24
	v_mul_lo_u32 v0, v0, 24
	v_add_u32_e32 v1, v9, v1
	s_waitcnt vmcnt(0)
	v_add_co_u32_e32 v0, vcc, v6, v0
	v_addc_co_u32_e32 v1, vcc, v7, v1, vcc
	global_load_dwordx2 v[0:1], v[0:1], off glc
	s_waitcnt vmcnt(0)
	global_atomic_cmpswap_x2 v[6:7], v8, v[0:3], s[10:11] offset:24 glc
	s_waitcnt vmcnt(0)
	buffer_invl2
	buffer_wbinvl1_vol
	v_cmp_ne_u64_e32 vcc, v[6:7], v[2:3]
	s_and_saveexec_b64 s[12:13], vcc
	s_cbranch_execz .LBB1_5
; %bb.2:
	s_mov_b64 s[14:15], 0
.LBB1_3:                                ; =>This Inner Loop Header: Depth=1
	s_sleep 1
	global_load_dwordx2 v[0:1], v8, s[10:11] offset:40
	global_load_dwordx2 v[10:11], v8, s[10:11]
	v_pk_mov_b32 v[2:3], v[6:7], v[6:7] op_sel:[0,1]
	s_waitcnt vmcnt(1)
	v_and_b32_e32 v0, v0, v2
	v_and_b32_e32 v7, v1, v3
	s_waitcnt vmcnt(0)
	v_mad_u64_u32 v[0:1], s[16:17], v0, 24, v[10:11]
	v_mov_b32_e32 v6, v1
	v_mad_u64_u32 v[6:7], s[16:17], v7, 24, v[6:7]
	v_mov_b32_e32 v1, v6
	global_load_dwordx2 v[0:1], v[0:1], off glc
	s_waitcnt vmcnt(0)
	global_atomic_cmpswap_x2 v[6:7], v8, v[0:3], s[10:11] offset:24 glc
	s_waitcnt vmcnt(0)
	buffer_invl2
	buffer_wbinvl1_vol
	v_cmp_eq_u64_e32 vcc, v[6:7], v[2:3]
	s_or_b64 s[14:15], vcc, s[14:15]
	s_andn2_b64 exec, exec, s[14:15]
	s_cbranch_execnz .LBB1_3
; %bb.4:
	s_or_b64 exec, exec, s[14:15]
.LBB1_5:
	s_or_b64 exec, exec, s[12:13]
.LBB1_6:
	s_or_b64 exec, exec, s[6:7]
	s_waitcnt lgkmcnt(0)
	global_load_dwordx2 v[10:11], v8, s[10:11] offset:40
	global_load_dwordx4 v[0:3], v8, s[10:11]
	v_readfirstlane_b32 s6, v6
	v_readfirstlane_b32 s7, v7
	s_mov_b64 s[12:13], exec
	s_waitcnt vmcnt(1)
	v_readfirstlane_b32 s14, v10
	v_readfirstlane_b32 s15, v11
	s_and_b64 s[14:15], s[6:7], s[14:15]
	s_mul_i32 s16, s15, 24
	s_mul_hi_u32 s17, s14, 24
	s_mul_i32 s18, s14, 24
	s_add_i32 s16, s17, s16
	v_mov_b32_e32 v6, s16
	s_waitcnt vmcnt(0)
	v_add_co_u32_e32 v10, vcc, s18, v0
	v_addc_co_u32_e32 v11, vcc, v1, v6, vcc
	s_and_saveexec_b64 s[16:17], s[4:5]
	s_cbranch_execz .LBB1_8
; %bb.7:
	v_pk_mov_b32 v[6:7], s[12:13], s[12:13] op_sel:[0,1]
	v_mov_b32_e32 v8, 2
	v_mov_b32_e32 v9, 1
	global_store_dwordx4 v[10:11], v[6:9], off offset:8
.LBB1_8:
	s_or_b64 exec, exec, s[16:17]
	s_lshl_b64 s[12:13], s[14:15], 12
	v_mov_b32_e32 v6, s13
	v_add_co_u32_e32 v2, vcc, s12, v2
	s_mov_b32 s12, 0
	v_addc_co_u32_e32 v3, vcc, v3, v6, vcc
	v_lshlrev_b32_e32 v36, 6, v37
	s_mov_b32 s14, s12
	s_mov_b32 s15, s12
	v_mov_b32_e32 v7, 0
	v_add_co_u32_e32 v12, vcc, v2, v36
	s_mov_b32 s13, s12
	v_pk_mov_b32 v[16:17], s[14:15], s[14:15] op_sel:[0,1]
	v_addc_co_u32_e32 v13, vcc, 0, v3, vcc
	v_mov_b32_e32 v6, 33
	v_mov_b32_e32 v8, 1
	;; [unrolled: 1-line block ×3, first 2 shown]
	v_readfirstlane_b32 s16, v2
	v_readfirstlane_b32 s17, v3
	v_pk_mov_b32 v[14:15], s[12:13], s[12:13] op_sel:[0,1]
	s_nop 3
	global_store_dwordx4 v36, v[6:9], s[16:17]
	global_store_dwordx4 v36, v[14:17], s[16:17] offset:16
	global_store_dwordx4 v36, v[14:17], s[16:17] offset:32
	global_store_dwordx4 v36, v[14:17], s[16:17] offset:48
	s_and_saveexec_b64 s[12:13], s[4:5]
	s_cbranch_execz .LBB1_16
; %bb.9:
	global_load_dwordx2 v[16:17], v7, s[10:11] offset:32 glc
	global_load_dwordx2 v[2:3], v7, s[10:11] offset:40
	v_mov_b32_e32 v14, s6
	v_mov_b32_e32 v15, s7
	s_waitcnt vmcnt(0)
	v_and_b32_e32 v2, s6, v2
	v_and_b32_e32 v3, s7, v3
	v_mul_lo_u32 v3, v3, 24
	v_mul_hi_u32 v6, v2, 24
	v_mul_lo_u32 v2, v2, 24
	v_add_u32_e32 v3, v6, v3
	v_add_co_u32_e32 v8, vcc, v0, v2
	v_addc_co_u32_e32 v9, vcc, v1, v3, vcc
	global_store_dwordx2 v[8:9], v[16:17], off
	buffer_wbl2
	s_waitcnt vmcnt(0)
	global_atomic_cmpswap_x2 v[2:3], v7, v[14:17], s[10:11] offset:32 glc
	s_waitcnt vmcnt(0)
	v_cmp_ne_u64_e32 vcc, v[2:3], v[16:17]
	s_and_saveexec_b64 s[14:15], vcc
	s_cbranch_execz .LBB1_12
; %bb.10:
	s_mov_b64 s[16:17], 0
.LBB1_11:                               ; =>This Inner Loop Header: Depth=1
	s_sleep 1
	global_store_dwordx2 v[8:9], v[2:3], off
	v_mov_b32_e32 v0, s6
	v_mov_b32_e32 v1, s7
	buffer_wbl2
	s_waitcnt vmcnt(0)
	global_atomic_cmpswap_x2 v[0:1], v7, v[0:3], s[10:11] offset:32 glc
	s_waitcnt vmcnt(0)
	v_cmp_eq_u64_e32 vcc, v[0:1], v[2:3]
	s_or_b64 s[16:17], vcc, s[16:17]
	v_pk_mov_b32 v[2:3], v[0:1], v[0:1] op_sel:[0,1]
	s_andn2_b64 exec, exec, s[16:17]
	s_cbranch_execnz .LBB1_11
.LBB1_12:
	s_or_b64 exec, exec, s[14:15]
	v_mov_b32_e32 v3, 0
	global_load_dwordx2 v[0:1], v3, s[10:11] offset:16
	s_mov_b64 s[14:15], exec
	v_mbcnt_lo_u32_b32 v2, s14, 0
	v_mbcnt_hi_u32_b32 v2, s15, v2
	v_cmp_eq_u32_e32 vcc, 0, v2
	s_and_saveexec_b64 s[16:17], vcc
	s_cbranch_execz .LBB1_14
; %bb.13:
	s_bcnt1_i32_b64 s14, s[14:15]
	v_mov_b32_e32 v2, s14
	buffer_wbl2
	s_waitcnt vmcnt(0)
	global_atomic_add_x2 v[0:1], v[2:3], off offset:8
.LBB1_14:
	s_or_b64 exec, exec, s[16:17]
	s_waitcnt vmcnt(0)
	global_load_dwordx2 v[2:3], v[0:1], off offset:16
	s_waitcnt vmcnt(0)
	v_cmp_eq_u64_e32 vcc, 0, v[2:3]
	s_cbranch_vccnz .LBB1_16
; %bb.15:
	global_load_dword v0, v[0:1], off offset:24
	v_mov_b32_e32 v1, 0
	buffer_wbl2
	s_waitcnt vmcnt(0)
	global_store_dwordx2 v[2:3], v[0:1], off
	v_and_b32_e32 v0, 0xffffff, v0
	v_readfirstlane_b32 m0, v0
	s_sendmsg sendmsg(MSG_INTERRUPT)
.LBB1_16:
	s_or_b64 exec, exec, s[12:13]
	s_branch .LBB1_20
.LBB1_17:                               ;   in Loop: Header=BB1_20 Depth=1
	s_or_b64 exec, exec, s[12:13]
	v_readfirstlane_b32 s12, v0
	s_cmp_eq_u32 s12, 0
	s_cbranch_scc1 .LBB1_19
; %bb.18:                               ;   in Loop: Header=BB1_20 Depth=1
	s_sleep 1
	s_cbranch_execnz .LBB1_20
	s_branch .LBB1_22
.LBB1_19:
	s_branch .LBB1_22
.LBB1_20:                               ; =>This Inner Loop Header: Depth=1
	v_mov_b32_e32 v0, 1
	s_and_saveexec_b64 s[12:13], s[4:5]
	s_cbranch_execz .LBB1_17
; %bb.21:                               ;   in Loop: Header=BB1_20 Depth=1
	global_load_dword v0, v[10:11], off offset:20 glc
	s_waitcnt vmcnt(0)
	buffer_invl2
	buffer_wbinvl1_vol
	v_and_b32_e32 v0, 1, v0
	s_branch .LBB1_17
.LBB1_22:
	global_load_dwordx2 v[6:7], v[12:13], off
	s_and_saveexec_b64 s[12:13], s[4:5]
	s_cbranch_execz .LBB1_25
; %bb.23:
	v_mov_b32_e32 v10, 0
	global_load_dwordx2 v[8:9], v10, s[10:11] offset:40
	global_load_dwordx2 v[12:13], v10, s[10:11] offset:24 glc
	global_load_dwordx2 v[14:15], v10, s[10:11]
	v_mov_b32_e32 v1, s7
	s_mov_b64 s[4:5], 0
	s_waitcnt vmcnt(2)
	v_add_co_u32_e32 v3, vcc, 1, v8
	v_addc_co_u32_e32 v11, vcc, 0, v9, vcc
	v_add_co_u32_e32 v0, vcc, s6, v3
	v_addc_co_u32_e32 v1, vcc, v11, v1, vcc
	v_cmp_eq_u64_e32 vcc, 0, v[0:1]
	v_cndmask_b32_e32 v1, v1, v11, vcc
	v_cndmask_b32_e32 v0, v0, v3, vcc
	v_and_b32_e32 v3, v1, v9
	v_and_b32_e32 v8, v0, v8
	v_mul_lo_u32 v3, v3, 24
	v_mul_hi_u32 v9, v8, 24
	v_mul_lo_u32 v8, v8, 24
	v_add_u32_e32 v3, v9, v3
	s_waitcnt vmcnt(0)
	v_add_co_u32_e32 v8, vcc, v14, v8
	v_addc_co_u32_e32 v9, vcc, v15, v3, vcc
	v_mov_b32_e32 v2, v12
	global_store_dwordx2 v[8:9], v[12:13], off
	v_mov_b32_e32 v3, v13
	buffer_wbl2
	s_waitcnt vmcnt(0)
	global_atomic_cmpswap_x2 v[2:3], v10, v[0:3], s[10:11] offset:24 glc
	s_waitcnt vmcnt(0)
	v_cmp_ne_u64_e32 vcc, v[2:3], v[12:13]
	s_and_b64 exec, exec, vcc
	s_cbranch_execz .LBB1_25
.LBB1_24:                               ; =>This Inner Loop Header: Depth=1
	s_sleep 1
	global_store_dwordx2 v[8:9], v[2:3], off
	buffer_wbl2
	s_waitcnt vmcnt(0)
	global_atomic_cmpswap_x2 v[12:13], v10, v[0:3], s[10:11] offset:24 glc
	s_waitcnt vmcnt(0)
	v_cmp_eq_u64_e32 vcc, v[12:13], v[2:3]
	s_or_b64 s[4:5], vcc, s[4:5]
	v_pk_mov_b32 v[2:3], v[12:13], v[12:13] op_sel:[0,1]
	s_andn2_b64 exec, exec, s[4:5]
	s_cbranch_execnz .LBB1_24
.LBB1_25:
	s_or_b64 exec, exec, s[12:13]
	v_lshrrev_b32_e64 v1, 6, s33
	s_mov_b64 s[4:5], 0
.LBB1_26:                               ; =>This Inner Loop Header: Depth=1
	buffer_load_ubyte v2, v1, s[0:3], 0 offen
	v_add_u32_e32 v0, 1, v1
	v_mov_b32_e32 v1, v0
	s_waitcnt vmcnt(0)
	v_cmp_eq_u16_e32 vcc, 0, v2
	s_or_b64 s[4:5], vcc, s[4:5]
	s_andn2_b64 exec, exec, s[4:5]
	s_cbranch_execnz .LBB1_26
; %bb.27:
	s_or_b64 exec, exec, s[4:5]
	v_lshrrev_b32_e64 v31, 6, s33
	v_cmp_ne_u32_e32 vcc, -1, v31
	s_cbranch_vccz .LBB1_112
; %bb.28:
	v_lshrrev_b32_e64 v1, 6, s33
	v_subrev_u32_e32 v28, v1, v0
	v_ashrrev_i32_e32 v29, 31, v28
	v_and_b32_e32 v30, 2, v6
	v_mov_b32_e32 v33, 0
	v_and_b32_e32 v0, -3, v6
	v_mov_b32_e32 v1, v7
	s_mov_b64 s[12:13], 0
	s_mov_b32 s20, 0
	s_movk_i32 s21, 0xff1f
	v_mov_b32_e32 v10, 2
	v_mov_b32_e32 v11, 1
	s_branch .LBB1_30
.LBB1_29:                               ;   in Loop: Header=BB1_30 Depth=1
	s_or_b64 exec, exec, s[6:7]
	v_sub_co_u32_e32 v28, vcc, v28, v38
	v_subb_co_u32_e32 v29, vcc, v29, v39, vcc
	v_cmp_eq_u64_e32 vcc, 0, v[28:29]
	s_or_b64 s[12:13], vcc, s[12:13]
	v_add_u32_e32 v31, v31, v38
	s_andn2_b64 exec, exec, s[12:13]
	s_cbranch_execz .LBB1_113
.LBB1_30:                               ; =>This Loop Header: Depth=1
                                        ;     Child Loop BB1_33 Depth 2
                                        ;     Child Loop BB1_41 Depth 2
	;; [unrolled: 1-line block ×11, first 2 shown]
	v_cmp_gt_u64_e32 vcc, 56, v[28:29]
	v_cndmask_b32_e32 v38, 56, v28, vcc
	v_cmp_gt_u64_e64 s[4:5], 8, v[28:29]
                                        ; implicit-def: $vgpr2_vgpr3
                                        ; implicit-def: $sgpr14
	s_and_saveexec_b64 s[6:7], s[4:5]
	s_xor_b64 s[6:7], exec, s[6:7]
	s_cbranch_execz .LBB1_36
; %bb.31:                               ;   in Loop: Header=BB1_30 Depth=1
	s_mov_b64 s[16:17], 0
	v_cmp_ne_u64_e64 s[4:5], 0, v[28:29]
	s_waitcnt vmcnt(0)
	v_pk_mov_b32 v[2:3], 0, 0
	s_and_saveexec_b64 s[14:15], s[4:5]
	s_cbranch_execz .LBB1_35
; %bb.32:                               ;   in Loop: Header=BB1_30 Depth=1
	s_mov_b32 s22, 0
	v_pk_mov_b32 v[2:3], 0, 0
	s_mov_b64 s[18:19], 0
.LBB1_33:                               ;   Parent Loop BB1_30 Depth=1
                                        ; =>  This Inner Loop Header: Depth=2
	v_add_u32_e32 v8, s22, v31
	buffer_load_ubyte v8, v8, s[0:3], 0 offen
	v_mov_b32_e32 v9, s20
	s_add_i32 s22, s22, 1
	v_cmp_eq_u32_e64 s[4:5], s22, v38
	s_waitcnt vmcnt(0)
	v_and_b32_e32 v8, 0xffff, v8
	v_lshlrev_b64 v[8:9], s18, v[8:9]
	s_add_u32 s18, s18, 8
	s_addc_u32 s19, s19, 0
	v_or_b32_e32 v3, v9, v3
	s_or_b64 s[16:17], s[4:5], s[16:17]
	v_or_b32_e32 v2, v8, v2
	s_andn2_b64 exec, exec, s[16:17]
	s_cbranch_execnz .LBB1_33
; %bb.34:                               ;   in Loop: Header=BB1_30 Depth=1
	s_or_b64 exec, exec, s[16:17]
.LBB1_35:                               ;   in Loop: Header=BB1_30 Depth=1
	s_or_b64 exec, exec, s[14:15]
	s_mov_b32 s14, 0
.LBB1_36:                               ;   in Loop: Header=BB1_30 Depth=1
	s_or_saveexec_b64 s[4:5], s[6:7]
	v_mov_b32_e32 v9, s14
	v_mov_b32_e32 v8, v31
	s_xor_b64 exec, exec, s[4:5]
	s_cbranch_execz .LBB1_38
; %bb.37:                               ;   in Loop: Header=BB1_30 Depth=1
	buffer_load_dword v2, v31, s[0:3], 0 offen offset:4
	buffer_load_dword v3, v31, s[0:3], 0 offen
	v_add_u32_e32 v9, -8, v38
	s_waitcnt vmcnt(1)
	v_and_b32_e32 v8, 0xff, v2
	v_and_b32_e32 v12, 0xff00, v2
	s_waitcnt vmcnt(0)
	v_or3_b32 v3, v3, 0, 0
	v_and_b32_e32 v13, 0xff0000, v2
	v_and_b32_e32 v14, 0xff000000, v2
	v_or3_b32 v8, 0, v8, v12
	v_or3_b32 v2, v3, 0, 0
	;; [unrolled: 1-line block ×3, first 2 shown]
	v_add_u32_e32 v8, 8, v31
.LBB1_38:                               ;   in Loop: Header=BB1_30 Depth=1
	s_or_b64 exec, exec, s[4:5]
	v_cmp_gt_u32_e64 s[4:5], 8, v9
                                        ; implicit-def: $vgpr12_vgpr13
                                        ; implicit-def: $sgpr14
	s_and_saveexec_b64 s[6:7], s[4:5]
	s_xor_b64 s[6:7], exec, s[6:7]
	s_cbranch_execz .LBB1_44
; %bb.39:                               ;   in Loop: Header=BB1_30 Depth=1
	v_cmp_ne_u32_e64 s[4:5], 0, v9
	v_pk_mov_b32 v[12:13], 0, 0
	s_and_saveexec_b64 s[14:15], s[4:5]
	s_cbranch_execz .LBB1_43
; %bb.40:                               ;   in Loop: Header=BB1_30 Depth=1
	s_mov_b32 s22, 0
	s_mov_b64 s[16:17], 0
	v_pk_mov_b32 v[12:13], 0, 0
	s_mov_b64 s[18:19], 0
.LBB1_41:                               ;   Parent Loop BB1_30 Depth=1
                                        ; =>  This Inner Loop Header: Depth=2
	v_add_u32_e32 v14, s22, v8
	buffer_load_ubyte v14, v14, s[0:3], 0 offen
	v_mov_b32_e32 v15, s20
	s_add_i32 s22, s22, 1
	v_cmp_eq_u32_e64 s[4:5], s22, v9
	s_waitcnt vmcnt(0)
	v_and_b32_e32 v14, 0xffff, v14
	v_lshlrev_b64 v[14:15], s18, v[14:15]
	s_add_u32 s18, s18, 8
	s_addc_u32 s19, s19, 0
	v_or_b32_e32 v13, v15, v13
	s_or_b64 s[16:17], s[4:5], s[16:17]
	v_or_b32_e32 v12, v14, v12
	s_andn2_b64 exec, exec, s[16:17]
	s_cbranch_execnz .LBB1_41
; %bb.42:                               ;   in Loop: Header=BB1_30 Depth=1
	s_or_b64 exec, exec, s[16:17]
.LBB1_43:                               ;   in Loop: Header=BB1_30 Depth=1
	s_or_b64 exec, exec, s[14:15]
	s_mov_b32 s14, 0
                                        ; implicit-def: $vgpr9
.LBB1_44:                               ;   in Loop: Header=BB1_30 Depth=1
	s_or_saveexec_b64 s[4:5], s[6:7]
	v_mov_b32_e32 v16, s14
	s_xor_b64 exec, exec, s[4:5]
	s_cbranch_execz .LBB1_46
; %bb.45:                               ;   in Loop: Header=BB1_30 Depth=1
	buffer_load_dword v12, v8, s[0:3], 0 offen offset:4
	buffer_load_dword v13, v8, s[0:3], 0 offen
	v_add_u32_e32 v16, -8, v9
	v_add_u32_e32 v8, 8, v8
	s_waitcnt vmcnt(1)
	v_and_b32_e32 v9, 0xff, v12
	v_and_b32_e32 v14, 0xff00, v12
	s_waitcnt vmcnt(0)
	v_or3_b32 v13, v13, 0, 0
	v_and_b32_e32 v15, 0xff0000, v12
	v_and_b32_e32 v17, 0xff000000, v12
	v_or3_b32 v9, 0, v9, v14
	v_or3_b32 v12, v13, 0, 0
	;; [unrolled: 1-line block ×3, first 2 shown]
.LBB1_46:                               ;   in Loop: Header=BB1_30 Depth=1
	s_or_b64 exec, exec, s[4:5]
	v_cmp_gt_u32_e64 s[4:5], 8, v16
                                        ; implicit-def: $sgpr14
	s_and_saveexec_b64 s[6:7], s[4:5]
	s_xor_b64 s[6:7], exec, s[6:7]
	s_cbranch_execz .LBB1_52
; %bb.47:                               ;   in Loop: Header=BB1_30 Depth=1
	v_cmp_ne_u32_e64 s[4:5], 0, v16
	v_pk_mov_b32 v[14:15], 0, 0
	s_and_saveexec_b64 s[14:15], s[4:5]
	s_cbranch_execz .LBB1_51
; %bb.48:                               ;   in Loop: Header=BB1_30 Depth=1
	s_mov_b32 s22, 0
	s_mov_b64 s[16:17], 0
	v_pk_mov_b32 v[14:15], 0, 0
	s_mov_b64 s[18:19], 0
.LBB1_49:                               ;   Parent Loop BB1_30 Depth=1
                                        ; =>  This Inner Loop Header: Depth=2
	v_add_u32_e32 v9, s22, v8
	buffer_load_ubyte v9, v9, s[0:3], 0 offen
	v_mov_b32_e32 v19, s20
	s_add_i32 s22, s22, 1
	v_cmp_eq_u32_e64 s[4:5], s22, v16
	s_waitcnt vmcnt(0)
	v_and_b32_e32 v18, 0xffff, v9
	v_lshlrev_b64 v[18:19], s18, v[18:19]
	s_add_u32 s18, s18, 8
	s_addc_u32 s19, s19, 0
	v_or_b32_e32 v15, v19, v15
	s_or_b64 s[16:17], s[4:5], s[16:17]
	v_or_b32_e32 v14, v18, v14
	s_andn2_b64 exec, exec, s[16:17]
	s_cbranch_execnz .LBB1_49
; %bb.50:                               ;   in Loop: Header=BB1_30 Depth=1
	s_or_b64 exec, exec, s[16:17]
.LBB1_51:                               ;   in Loop: Header=BB1_30 Depth=1
	s_or_b64 exec, exec, s[14:15]
	s_mov_b32 s14, 0
                                        ; implicit-def: $vgpr16
.LBB1_52:                               ;   in Loop: Header=BB1_30 Depth=1
	s_or_saveexec_b64 s[4:5], s[6:7]
	v_mov_b32_e32 v9, s14
	s_xor_b64 exec, exec, s[4:5]
	s_cbranch_execz .LBB1_54
; %bb.53:                               ;   in Loop: Header=BB1_30 Depth=1
	buffer_load_dword v14, v8, s[0:3], 0 offen offset:4
	buffer_load_dword v15, v8, s[0:3], 0 offen
	v_add_u32_e32 v9, -8, v16
	v_add_u32_e32 v8, 8, v8
	s_waitcnt vmcnt(1)
	v_and_b32_e32 v16, 0xff, v14
	v_and_b32_e32 v17, 0xff00, v14
	s_waitcnt vmcnt(0)
	v_or3_b32 v15, v15, 0, 0
	v_and_b32_e32 v18, 0xff0000, v14
	v_and_b32_e32 v19, 0xff000000, v14
	v_or3_b32 v16, 0, v16, v17
	v_or3_b32 v14, v15, 0, 0
	;; [unrolled: 1-line block ×3, first 2 shown]
.LBB1_54:                               ;   in Loop: Header=BB1_30 Depth=1
	s_or_b64 exec, exec, s[4:5]
	v_cmp_gt_u32_e64 s[4:5], 8, v9
                                        ; implicit-def: $vgpr16_vgpr17
                                        ; implicit-def: $sgpr14
	s_and_saveexec_b64 s[6:7], s[4:5]
	s_xor_b64 s[6:7], exec, s[6:7]
	s_cbranch_execz .LBB1_60
; %bb.55:                               ;   in Loop: Header=BB1_30 Depth=1
	v_cmp_ne_u32_e64 s[4:5], 0, v9
	v_pk_mov_b32 v[16:17], 0, 0
	s_and_saveexec_b64 s[14:15], s[4:5]
	s_cbranch_execz .LBB1_59
; %bb.56:                               ;   in Loop: Header=BB1_30 Depth=1
	s_mov_b32 s22, 0
	s_mov_b64 s[16:17], 0
	v_pk_mov_b32 v[16:17], 0, 0
	s_mov_b64 s[18:19], 0
.LBB1_57:                               ;   Parent Loop BB1_30 Depth=1
                                        ; =>  This Inner Loop Header: Depth=2
	v_add_u32_e32 v18, s22, v8
	buffer_load_ubyte v18, v18, s[0:3], 0 offen
	v_mov_b32_e32 v19, s20
	s_add_i32 s22, s22, 1
	v_cmp_eq_u32_e64 s[4:5], s22, v9
	s_waitcnt vmcnt(0)
	v_and_b32_e32 v18, 0xffff, v18
	v_lshlrev_b64 v[18:19], s18, v[18:19]
	s_add_u32 s18, s18, 8
	s_addc_u32 s19, s19, 0
	v_or_b32_e32 v17, v19, v17
	s_or_b64 s[16:17], s[4:5], s[16:17]
	v_or_b32_e32 v16, v18, v16
	s_andn2_b64 exec, exec, s[16:17]
	s_cbranch_execnz .LBB1_57
; %bb.58:                               ;   in Loop: Header=BB1_30 Depth=1
	s_or_b64 exec, exec, s[16:17]
.LBB1_59:                               ;   in Loop: Header=BB1_30 Depth=1
	s_or_b64 exec, exec, s[14:15]
	s_mov_b32 s14, 0
                                        ; implicit-def: $vgpr9
.LBB1_60:                               ;   in Loop: Header=BB1_30 Depth=1
	s_or_saveexec_b64 s[4:5], s[6:7]
	v_mov_b32_e32 v20, s14
	s_xor_b64 exec, exec, s[4:5]
	s_cbranch_execz .LBB1_62
; %bb.61:                               ;   in Loop: Header=BB1_30 Depth=1
	buffer_load_dword v16, v8, s[0:3], 0 offen offset:4
	buffer_load_dword v17, v8, s[0:3], 0 offen
	v_add_u32_e32 v20, -8, v9
	v_add_u32_e32 v8, 8, v8
	s_waitcnt vmcnt(1)
	v_and_b32_e32 v9, 0xff, v16
	v_and_b32_e32 v18, 0xff00, v16
	s_waitcnt vmcnt(0)
	v_or3_b32 v17, v17, 0, 0
	v_and_b32_e32 v19, 0xff0000, v16
	v_and_b32_e32 v21, 0xff000000, v16
	v_or3_b32 v9, 0, v9, v18
	v_or3_b32 v16, v17, 0, 0
	v_or3_b32 v17, v9, v19, v21
.LBB1_62:                               ;   in Loop: Header=BB1_30 Depth=1
	s_or_b64 exec, exec, s[4:5]
	v_cmp_gt_u32_e64 s[4:5], 8, v20
                                        ; implicit-def: $sgpr14
	s_and_saveexec_b64 s[6:7], s[4:5]
	s_xor_b64 s[6:7], exec, s[6:7]
	s_cbranch_execz .LBB1_68
; %bb.63:                               ;   in Loop: Header=BB1_30 Depth=1
	v_cmp_ne_u32_e64 s[4:5], 0, v20
	v_pk_mov_b32 v[18:19], 0, 0
	s_and_saveexec_b64 s[14:15], s[4:5]
	s_cbranch_execz .LBB1_67
; %bb.64:                               ;   in Loop: Header=BB1_30 Depth=1
	s_mov_b32 s22, 0
	s_mov_b64 s[16:17], 0
	v_pk_mov_b32 v[18:19], 0, 0
	s_mov_b64 s[18:19], 0
.LBB1_65:                               ;   Parent Loop BB1_30 Depth=1
                                        ; =>  This Inner Loop Header: Depth=2
	v_add_u32_e32 v9, s22, v8
	buffer_load_ubyte v9, v9, s[0:3], 0 offen
	v_mov_b32_e32 v23, s20
	s_add_i32 s22, s22, 1
	v_cmp_eq_u32_e64 s[4:5], s22, v20
	s_waitcnt vmcnt(0)
	v_and_b32_e32 v22, 0xffff, v9
	v_lshlrev_b64 v[22:23], s18, v[22:23]
	s_add_u32 s18, s18, 8
	s_addc_u32 s19, s19, 0
	v_or_b32_e32 v19, v23, v19
	s_or_b64 s[16:17], s[4:5], s[16:17]
	v_or_b32_e32 v18, v22, v18
	s_andn2_b64 exec, exec, s[16:17]
	s_cbranch_execnz .LBB1_65
; %bb.66:                               ;   in Loop: Header=BB1_30 Depth=1
	s_or_b64 exec, exec, s[16:17]
.LBB1_67:                               ;   in Loop: Header=BB1_30 Depth=1
	s_or_b64 exec, exec, s[14:15]
	s_mov_b32 s14, 0
                                        ; implicit-def: $vgpr20
.LBB1_68:                               ;   in Loop: Header=BB1_30 Depth=1
	s_or_saveexec_b64 s[4:5], s[6:7]
	v_mov_b32_e32 v9, s14
	s_xor_b64 exec, exec, s[4:5]
	s_cbranch_execz .LBB1_70
; %bb.69:                               ;   in Loop: Header=BB1_30 Depth=1
	buffer_load_dword v18, v8, s[0:3], 0 offen offset:4
	buffer_load_dword v19, v8, s[0:3], 0 offen
	v_add_u32_e32 v9, -8, v20
	v_add_u32_e32 v8, 8, v8
	s_waitcnt vmcnt(1)
	v_and_b32_e32 v20, 0xff, v18
	v_and_b32_e32 v21, 0xff00, v18
	s_waitcnt vmcnt(0)
	v_or3_b32 v19, v19, 0, 0
	v_and_b32_e32 v22, 0xff0000, v18
	v_and_b32_e32 v23, 0xff000000, v18
	v_or3_b32 v20, 0, v20, v21
	v_or3_b32 v18, v19, 0, 0
	v_or3_b32 v19, v20, v22, v23
.LBB1_70:                               ;   in Loop: Header=BB1_30 Depth=1
	s_or_b64 exec, exec, s[4:5]
	v_cmp_gt_u32_e64 s[4:5], 8, v9
                                        ; implicit-def: $vgpr20_vgpr21
                                        ; implicit-def: $sgpr14
	s_and_saveexec_b64 s[6:7], s[4:5]
	s_xor_b64 s[6:7], exec, s[6:7]
	s_cbranch_execz .LBB1_76
; %bb.71:                               ;   in Loop: Header=BB1_30 Depth=1
	v_cmp_ne_u32_e64 s[4:5], 0, v9
	v_pk_mov_b32 v[20:21], 0, 0
	s_and_saveexec_b64 s[14:15], s[4:5]
	s_cbranch_execz .LBB1_75
; %bb.72:                               ;   in Loop: Header=BB1_30 Depth=1
	s_mov_b32 s22, 0
	s_mov_b64 s[16:17], 0
	v_pk_mov_b32 v[20:21], 0, 0
	s_mov_b64 s[18:19], 0
.LBB1_73:                               ;   Parent Loop BB1_30 Depth=1
                                        ; =>  This Inner Loop Header: Depth=2
	v_add_u32_e32 v22, s22, v8
	buffer_load_ubyte v22, v22, s[0:3], 0 offen
	v_mov_b32_e32 v23, s20
	s_add_i32 s22, s22, 1
	v_cmp_eq_u32_e64 s[4:5], s22, v9
	s_waitcnt vmcnt(0)
	v_and_b32_e32 v22, 0xffff, v22
	v_lshlrev_b64 v[22:23], s18, v[22:23]
	s_add_u32 s18, s18, 8
	s_addc_u32 s19, s19, 0
	v_or_b32_e32 v21, v23, v21
	s_or_b64 s[16:17], s[4:5], s[16:17]
	v_or_b32_e32 v20, v22, v20
	s_andn2_b64 exec, exec, s[16:17]
	s_cbranch_execnz .LBB1_73
; %bb.74:                               ;   in Loop: Header=BB1_30 Depth=1
	s_or_b64 exec, exec, s[16:17]
.LBB1_75:                               ;   in Loop: Header=BB1_30 Depth=1
	s_or_b64 exec, exec, s[14:15]
	s_mov_b32 s14, 0
                                        ; implicit-def: $vgpr9
.LBB1_76:                               ;   in Loop: Header=BB1_30 Depth=1
	s_or_saveexec_b64 s[4:5], s[6:7]
	v_mov_b32_e32 v24, s14
	s_xor_b64 exec, exec, s[4:5]
	s_cbranch_execz .LBB1_78
; %bb.77:                               ;   in Loop: Header=BB1_30 Depth=1
	buffer_load_dword v20, v8, s[0:3], 0 offen offset:4
	buffer_load_dword v21, v8, s[0:3], 0 offen
	v_add_u32_e32 v24, -8, v9
	v_add_u32_e32 v8, 8, v8
	s_waitcnt vmcnt(1)
	v_and_b32_e32 v9, 0xff, v20
	v_and_b32_e32 v22, 0xff00, v20
	s_waitcnt vmcnt(0)
	v_or3_b32 v21, v21, 0, 0
	v_and_b32_e32 v23, 0xff0000, v20
	v_and_b32_e32 v25, 0xff000000, v20
	v_or3_b32 v9, 0, v9, v22
	v_or3_b32 v20, v21, 0, 0
	;; [unrolled: 1-line block ×3, first 2 shown]
.LBB1_78:                               ;   in Loop: Header=BB1_30 Depth=1
	s_or_b64 exec, exec, s[4:5]
	v_cmp_gt_u32_e64 s[4:5], 8, v24
	s_and_saveexec_b64 s[6:7], s[4:5]
	s_xor_b64 s[6:7], exec, s[6:7]
	s_cbranch_execz .LBB1_84
; %bb.79:                               ;   in Loop: Header=BB1_30 Depth=1
	v_cmp_ne_u32_e64 s[4:5], 0, v24
	v_pk_mov_b32 v[22:23], 0, 0
	s_and_saveexec_b64 s[14:15], s[4:5]
	s_cbranch_execz .LBB1_83
; %bb.80:                               ;   in Loop: Header=BB1_30 Depth=1
	s_mov_b64 s[16:17], 0
	v_pk_mov_b32 v[22:23], 0, 0
	s_mov_b64 s[18:19], 0
.LBB1_81:                               ;   Parent Loop BB1_30 Depth=1
                                        ; =>  This Inner Loop Header: Depth=2
	buffer_load_ubyte v9, v8, s[0:3], 0 offen
	v_mov_b32_e32 v27, s20
	v_add_u32_e32 v24, -1, v24
	v_cmp_eq_u32_e64 s[4:5], 0, v24
	v_add_u32_e32 v8, 1, v8
	s_waitcnt vmcnt(0)
	v_and_b32_e32 v26, 0xffff, v9
	v_lshlrev_b64 v[26:27], s18, v[26:27]
	s_add_u32 s18, s18, 8
	s_addc_u32 s19, s19, 0
	v_or_b32_e32 v23, v27, v23
	s_or_b64 s[16:17], s[4:5], s[16:17]
	v_or_b32_e32 v22, v26, v22
	s_andn2_b64 exec, exec, s[16:17]
	s_cbranch_execnz .LBB1_81
; %bb.82:                               ;   in Loop: Header=BB1_30 Depth=1
	s_or_b64 exec, exec, s[16:17]
.LBB1_83:                               ;   in Loop: Header=BB1_30 Depth=1
	s_or_b64 exec, exec, s[14:15]
                                        ; implicit-def: $vgpr8
.LBB1_84:                               ;   in Loop: Header=BB1_30 Depth=1
	s_andn2_saveexec_b64 s[4:5], s[6:7]
	s_cbranch_execz .LBB1_86
; %bb.85:                               ;   in Loop: Header=BB1_30 Depth=1
	buffer_load_dword v9, v8, s[0:3], 0 offen offset:4
	buffer_load_dword v22, v8, s[0:3], 0 offen
	s_waitcnt vmcnt(1)
	v_and_b32_e32 v8, 0xff, v9
	v_and_b32_e32 v23, 0xff00, v9
	s_waitcnt vmcnt(0)
	v_or3_b32 v22, v22, 0, 0
	v_and_b32_e32 v24, 0xff0000, v9
	v_and_b32_e32 v9, 0xff000000, v9
	v_or3_b32 v8, 0, v8, v23
	v_or3_b32 v23, v8, v24, v9
	;; [unrolled: 1-line block ×3, first 2 shown]
.LBB1_86:                               ;   in Loop: Header=BB1_30 Depth=1
	s_or_b64 exec, exec, s[4:5]
	v_readfirstlane_b32 s4, v37
	v_cmp_eq_u32_e64 s[4:5], s4, v37
	v_pk_mov_b32 v[8:9], 0, 0
	s_and_saveexec_b64 s[14:15], s[4:5]
	s_cbranch_execz .LBB1_92
; %bb.87:                               ;   in Loop: Header=BB1_30 Depth=1
	global_load_dwordx2 v[26:27], v33, s[10:11] offset:24 glc
	s_waitcnt vmcnt(0)
	buffer_invl2
	buffer_wbinvl1_vol
	global_load_dwordx2 v[8:9], v33, s[10:11] offset:40
	global_load_dwordx2 v[24:25], v33, s[10:11]
	s_waitcnt vmcnt(1)
	v_and_b32_e32 v8, v8, v26
	v_and_b32_e32 v9, v9, v27
	v_mul_lo_u32 v9, v9, 24
	v_mul_hi_u32 v32, v8, 24
	v_mul_lo_u32 v8, v8, 24
	v_add_u32_e32 v9, v32, v9
	s_waitcnt vmcnt(0)
	v_add_co_u32_e64 v8, s[6:7], v24, v8
	v_addc_co_u32_e64 v9, s[6:7], v25, v9, s[6:7]
	global_load_dwordx2 v[24:25], v[8:9], off glc
	s_waitcnt vmcnt(0)
	global_atomic_cmpswap_x2 v[8:9], v33, v[24:27], s[10:11] offset:24 glc
	s_waitcnt vmcnt(0)
	buffer_invl2
	buffer_wbinvl1_vol
	v_cmp_ne_u64_e64 s[6:7], v[8:9], v[26:27]
	s_and_saveexec_b64 s[16:17], s[6:7]
	s_cbranch_execz .LBB1_91
; %bb.88:                               ;   in Loop: Header=BB1_30 Depth=1
	s_mov_b64 s[18:19], 0
.LBB1_89:                               ;   Parent Loop BB1_30 Depth=1
                                        ; =>  This Inner Loop Header: Depth=2
	s_sleep 1
	global_load_dwordx2 v[24:25], v33, s[10:11] offset:40
	global_load_dwordx2 v[34:35], v33, s[10:11]
	v_pk_mov_b32 v[26:27], v[8:9], v[8:9] op_sel:[0,1]
	s_waitcnt vmcnt(1)
	v_and_b32_e32 v8, v24, v26
	s_waitcnt vmcnt(0)
	v_mad_u64_u32 v[8:9], s[6:7], v8, 24, v[34:35]
	v_and_b32_e32 v25, v25, v27
	v_mov_b32_e32 v24, v9
	v_mad_u64_u32 v[24:25], s[6:7], v25, 24, v[24:25]
	v_mov_b32_e32 v9, v24
	global_load_dwordx2 v[24:25], v[8:9], off glc
	s_waitcnt vmcnt(0)
	global_atomic_cmpswap_x2 v[8:9], v33, v[24:27], s[10:11] offset:24 glc
	s_waitcnt vmcnt(0)
	buffer_invl2
	buffer_wbinvl1_vol
	v_cmp_eq_u64_e64 s[6:7], v[8:9], v[26:27]
	s_or_b64 s[18:19], s[6:7], s[18:19]
	s_andn2_b64 exec, exec, s[18:19]
	s_cbranch_execnz .LBB1_89
; %bb.90:                               ;   in Loop: Header=BB1_30 Depth=1
	s_or_b64 exec, exec, s[18:19]
.LBB1_91:                               ;   in Loop: Header=BB1_30 Depth=1
	s_or_b64 exec, exec, s[16:17]
.LBB1_92:                               ;   in Loop: Header=BB1_30 Depth=1
	s_or_b64 exec, exec, s[14:15]
	global_load_dwordx2 v[34:35], v33, s[10:11] offset:40
	global_load_dwordx4 v[24:27], v33, s[10:11]
	v_readfirstlane_b32 s14, v8
	v_readfirstlane_b32 s15, v9
	s_mov_b64 s[16:17], exec
	s_waitcnt vmcnt(1)
	v_readfirstlane_b32 s6, v34
	v_readfirstlane_b32 s7, v35
	s_and_b64 s[18:19], s[14:15], s[6:7]
	s_mul_i32 s6, s19, 24
	s_mul_hi_u32 s7, s18, 24
	s_mul_i32 s22, s18, 24
	s_add_i32 s6, s7, s6
	v_mov_b32_e32 v8, s6
	s_waitcnt vmcnt(0)
	v_add_co_u32_e64 v34, s[6:7], s22, v24
	v_addc_co_u32_e64 v35, s[6:7], v25, v8, s[6:7]
	s_and_saveexec_b64 s[6:7], s[4:5]
	s_cbranch_execz .LBB1_94
; %bb.93:                               ;   in Loop: Header=BB1_30 Depth=1
	v_pk_mov_b32 v[8:9], s[16:17], s[16:17] op_sel:[0,1]
	global_store_dwordx4 v[34:35], v[8:11], off offset:8
.LBB1_94:                               ;   in Loop: Header=BB1_30 Depth=1
	s_or_b64 exec, exec, s[6:7]
	s_lshl_b64 s[6:7], s[18:19], 12
	v_cndmask_b32_e32 v39, 0, v29, vcc
	v_mov_b32_e32 v9, s7
	v_add_co_u32_e32 v8, vcc, s6, v26
	v_addc_co_u32_e32 v9, vcc, v27, v9, vcc
	v_or_b32_e32 v26, 0, v1
	v_cmp_lt_u64_e32 vcc, 56, v[28:29]
	v_or_b32_e32 v27, v0, v30
	v_cndmask_b32_e32 v1, v26, v1, vcc
	v_lshl_add_u32 v26, v38, 2, 28
	v_cndmask_b32_e32 v0, v27, v0, vcc
	v_and_b32_e32 v26, 0x1e0, v26
	v_and_or_b32 v0, v0, s21, v26
	v_readfirstlane_b32 s6, v8
	v_readfirstlane_b32 s7, v9
	s_nop 4
	global_store_dwordx4 v36, v[0:3], s[6:7]
	global_store_dwordx4 v36, v[12:15], s[6:7] offset:16
	global_store_dwordx4 v36, v[16:19], s[6:7] offset:32
	;; [unrolled: 1-line block ×3, first 2 shown]
	s_and_saveexec_b64 s[6:7], s[4:5]
	s_cbranch_execz .LBB1_102
; %bb.95:                               ;   in Loop: Header=BB1_30 Depth=1
	global_load_dwordx2 v[16:17], v33, s[10:11] offset:32 glc
	global_load_dwordx2 v[0:1], v33, s[10:11] offset:40
	v_mov_b32_e32 v14, s14
	v_mov_b32_e32 v15, s15
	s_waitcnt vmcnt(0)
	v_readfirstlane_b32 s16, v0
	v_readfirstlane_b32 s17, v1
	s_and_b64 s[16:17], s[16:17], s[14:15]
	s_mul_i32 s17, s17, 24
	s_mul_hi_u32 s18, s16, 24
	s_mul_i32 s16, s16, 24
	s_add_i32 s17, s18, s17
	v_mov_b32_e32 v0, s17
	v_add_co_u32_e32 v12, vcc, s16, v24
	v_addc_co_u32_e32 v13, vcc, v25, v0, vcc
	global_store_dwordx2 v[12:13], v[16:17], off
	buffer_wbl2
	s_waitcnt vmcnt(0)
	global_atomic_cmpswap_x2 v[2:3], v33, v[14:17], s[10:11] offset:32 glc
	s_waitcnt vmcnt(0)
	v_cmp_ne_u64_e32 vcc, v[2:3], v[16:17]
	s_and_saveexec_b64 s[16:17], vcc
	s_cbranch_execz .LBB1_98
; %bb.96:                               ;   in Loop: Header=BB1_30 Depth=1
	s_mov_b64 s[18:19], 0
.LBB1_97:                               ;   Parent Loop BB1_30 Depth=1
                                        ; =>  This Inner Loop Header: Depth=2
	s_sleep 1
	global_store_dwordx2 v[12:13], v[2:3], off
	v_mov_b32_e32 v0, s14
	v_mov_b32_e32 v1, s15
	buffer_wbl2
	s_waitcnt vmcnt(0)
	global_atomic_cmpswap_x2 v[0:1], v33, v[0:3], s[10:11] offset:32 glc
	s_waitcnt vmcnt(0)
	v_cmp_eq_u64_e32 vcc, v[0:1], v[2:3]
	s_or_b64 s[18:19], vcc, s[18:19]
	v_pk_mov_b32 v[2:3], v[0:1], v[0:1] op_sel:[0,1]
	s_andn2_b64 exec, exec, s[18:19]
	s_cbranch_execnz .LBB1_97
.LBB1_98:                               ;   in Loop: Header=BB1_30 Depth=1
	s_or_b64 exec, exec, s[16:17]
	global_load_dwordx2 v[0:1], v33, s[10:11] offset:16
	s_mov_b64 s[18:19], exec
	v_mbcnt_lo_u32_b32 v2, s18, 0
	v_mbcnt_hi_u32_b32 v2, s19, v2
	v_cmp_eq_u32_e32 vcc, 0, v2
	s_and_saveexec_b64 s[16:17], vcc
	s_cbranch_execz .LBB1_100
; %bb.99:                               ;   in Loop: Header=BB1_30 Depth=1
	s_bcnt1_i32_b64 s18, s[18:19]
	v_mov_b32_e32 v32, s18
	buffer_wbl2
	s_waitcnt vmcnt(0)
	global_atomic_add_x2 v[0:1], v[32:33], off offset:8
.LBB1_100:                              ;   in Loop: Header=BB1_30 Depth=1
	s_or_b64 exec, exec, s[16:17]
	s_waitcnt vmcnt(0)
	global_load_dwordx2 v[2:3], v[0:1], off offset:16
	s_waitcnt vmcnt(0)
	v_cmp_eq_u64_e32 vcc, 0, v[2:3]
	s_cbranch_vccnz .LBB1_102
; %bb.101:                              ;   in Loop: Header=BB1_30 Depth=1
	global_load_dword v32, v[0:1], off offset:24
	s_waitcnt vmcnt(0)
	v_and_b32_e32 v0, 0xffffff, v32
	v_readfirstlane_b32 m0, v0
	buffer_wbl2
	global_store_dwordx2 v[2:3], v[32:33], off
	s_sendmsg sendmsg(MSG_INTERRUPT)
.LBB1_102:                              ;   in Loop: Header=BB1_30 Depth=1
	s_or_b64 exec, exec, s[6:7]
	v_add_co_u32_e32 v0, vcc, v8, v36
	v_addc_co_u32_e32 v1, vcc, 0, v9, vcc
	s_branch .LBB1_106
.LBB1_103:                              ;   in Loop: Header=BB1_106 Depth=2
	s_or_b64 exec, exec, s[6:7]
	v_readfirstlane_b32 s6, v2
	s_cmp_eq_u32 s6, 0
	s_cbranch_scc1 .LBB1_105
; %bb.104:                              ;   in Loop: Header=BB1_106 Depth=2
	s_sleep 1
	s_cbranch_execnz .LBB1_106
	s_branch .LBB1_108
.LBB1_105:                              ;   in Loop: Header=BB1_30 Depth=1
	s_branch .LBB1_108
.LBB1_106:                              ;   Parent Loop BB1_30 Depth=1
                                        ; =>  This Inner Loop Header: Depth=2
	v_mov_b32_e32 v2, 1
	s_and_saveexec_b64 s[6:7], s[4:5]
	s_cbranch_execz .LBB1_103
; %bb.107:                              ;   in Loop: Header=BB1_106 Depth=2
	global_load_dword v2, v[34:35], off offset:20 glc
	s_waitcnt vmcnt(0)
	buffer_invl2
	buffer_wbinvl1_vol
	v_and_b32_e32 v2, 1, v2
	s_branch .LBB1_103
.LBB1_108:                              ;   in Loop: Header=BB1_30 Depth=1
	global_load_dwordx4 v[0:3], v[0:1], off
	s_and_saveexec_b64 s[6:7], s[4:5]
	s_cbranch_execz .LBB1_29
; %bb.109:                              ;   in Loop: Header=BB1_30 Depth=1
	global_load_dwordx2 v[2:3], v33, s[10:11] offset:40
	global_load_dwordx2 v[8:9], v33, s[10:11] offset:24 glc
	global_load_dwordx2 v[16:17], v33, s[10:11]
	v_mov_b32_e32 v13, s15
	s_waitcnt vmcnt(2)
	v_add_co_u32_e32 v15, vcc, 1, v2
	v_addc_co_u32_e32 v18, vcc, 0, v3, vcc
	v_add_co_u32_e32 v12, vcc, s14, v15
	v_addc_co_u32_e32 v13, vcc, v18, v13, vcc
	v_cmp_eq_u64_e32 vcc, 0, v[12:13]
	v_cndmask_b32_e32 v13, v13, v18, vcc
	v_cndmask_b32_e32 v12, v12, v15, vcc
	v_and_b32_e32 v3, v13, v3
	v_and_b32_e32 v2, v12, v2
	v_mul_lo_u32 v3, v3, 24
	v_mul_hi_u32 v15, v2, 24
	v_mul_lo_u32 v2, v2, 24
	v_add_u32_e32 v3, v15, v3
	s_waitcnt vmcnt(0)
	v_add_co_u32_e32 v2, vcc, v16, v2
	v_addc_co_u32_e32 v3, vcc, v17, v3, vcc
	v_mov_b32_e32 v14, v8
	global_store_dwordx2 v[2:3], v[8:9], off
	v_mov_b32_e32 v15, v9
	buffer_wbl2
	s_waitcnt vmcnt(0)
	global_atomic_cmpswap_x2 v[14:15], v33, v[12:15], s[10:11] offset:24 glc
	s_waitcnt vmcnt(0)
	v_cmp_ne_u64_e32 vcc, v[14:15], v[8:9]
	s_and_b64 exec, exec, vcc
	s_cbranch_execz .LBB1_29
; %bb.110:                              ;   in Loop: Header=BB1_30 Depth=1
	s_mov_b64 s[4:5], 0
.LBB1_111:                              ;   Parent Loop BB1_30 Depth=1
                                        ; =>  This Inner Loop Header: Depth=2
	s_sleep 1
	global_store_dwordx2 v[2:3], v[14:15], off
	buffer_wbl2
	s_waitcnt vmcnt(0)
	global_atomic_cmpswap_x2 v[8:9], v33, v[12:15], s[10:11] offset:24 glc
	s_waitcnt vmcnt(0)
	v_cmp_eq_u64_e32 vcc, v[8:9], v[14:15]
	s_or_b64 s[4:5], vcc, s[4:5]
	v_pk_mov_b32 v[14:15], v[8:9], v[8:9] op_sel:[0,1]
	s_andn2_b64 exec, exec, s[4:5]
	s_cbranch_execnz .LBB1_111
	s_branch .LBB1_29
.LBB1_112:
                                        ; implicit-def: $vgpr0_vgpr1
	s_cbranch_execnz .LBB1_114
	s_branch .LBB1_140
.LBB1_113:
	s_or_b64 exec, exec, s[12:13]
	s_branch .LBB1_140
.LBB1_114:
	v_readfirstlane_b32 s4, v37
	v_cmp_eq_u32_e64 s[4:5], s4, v37
	v_pk_mov_b32 v[10:11], 0, 0
	s_and_saveexec_b64 s[6:7], s[4:5]
	s_cbranch_execz .LBB1_120
; %bb.115:
	s_waitcnt vmcnt(0)
	v_mov_b32_e32 v0, 0
	global_load_dwordx2 v[12:13], v0, s[10:11] offset:24 glc
	s_waitcnt vmcnt(0)
	buffer_invl2
	buffer_wbinvl1_vol
	global_load_dwordx2 v[2:3], v0, s[10:11] offset:40
	global_load_dwordx2 v[8:9], v0, s[10:11]
	s_waitcnt vmcnt(1)
	v_and_b32_e32 v1, v2, v12
	v_and_b32_e32 v2, v3, v13
	v_mul_lo_u32 v2, v2, 24
	v_mul_hi_u32 v3, v1, 24
	v_mul_lo_u32 v1, v1, 24
	v_add_u32_e32 v3, v3, v2
	s_waitcnt vmcnt(0)
	v_add_co_u32_e32 v2, vcc, v8, v1
	v_addc_co_u32_e32 v3, vcc, v9, v3, vcc
	global_load_dwordx2 v[10:11], v[2:3], off glc
	s_waitcnt vmcnt(0)
	global_atomic_cmpswap_x2 v[10:11], v0, v[10:13], s[10:11] offset:24 glc
	s_waitcnt vmcnt(0)
	buffer_invl2
	buffer_wbinvl1_vol
	v_cmp_ne_u64_e32 vcc, v[10:11], v[12:13]
	s_and_saveexec_b64 s[12:13], vcc
	s_cbranch_execz .LBB1_119
; %bb.116:
	s_mov_b64 s[14:15], 0
.LBB1_117:                              ; =>This Inner Loop Header: Depth=1
	s_sleep 1
	global_load_dwordx2 v[2:3], v0, s[10:11] offset:40
	global_load_dwordx2 v[8:9], v0, s[10:11]
	v_pk_mov_b32 v[12:13], v[10:11], v[10:11] op_sel:[0,1]
	s_waitcnt vmcnt(1)
	v_and_b32_e32 v2, v2, v12
	v_and_b32_e32 v1, v3, v13
	s_waitcnt vmcnt(0)
	v_mad_u64_u32 v[2:3], s[16:17], v2, 24, v[8:9]
	v_mov_b32_e32 v8, v3
	v_mad_u64_u32 v[8:9], s[16:17], v1, 24, v[8:9]
	v_mov_b32_e32 v3, v8
	global_load_dwordx2 v[10:11], v[2:3], off glc
	s_waitcnt vmcnt(0)
	global_atomic_cmpswap_x2 v[10:11], v0, v[10:13], s[10:11] offset:24 glc
	s_waitcnt vmcnt(0)
	buffer_invl2
	buffer_wbinvl1_vol
	v_cmp_eq_u64_e32 vcc, v[10:11], v[12:13]
	s_or_b64 s[14:15], vcc, s[14:15]
	s_andn2_b64 exec, exec, s[14:15]
	s_cbranch_execnz .LBB1_117
; %bb.118:
	s_or_b64 exec, exec, s[14:15]
.LBB1_119:
	s_or_b64 exec, exec, s[12:13]
.LBB1_120:
	s_or_b64 exec, exec, s[6:7]
	v_mov_b32_e32 v8, 0
	global_load_dwordx2 v[12:13], v8, s[10:11] offset:40
	global_load_dwordx4 v[0:3], v8, s[10:11]
	v_readfirstlane_b32 s6, v10
	v_readfirstlane_b32 s7, v11
	s_mov_b64 s[12:13], exec
	s_waitcnt vmcnt(1)
	v_readfirstlane_b32 s14, v12
	v_readfirstlane_b32 s15, v13
	s_and_b64 s[14:15], s[6:7], s[14:15]
	s_mul_i32 s16, s15, 24
	s_mul_hi_u32 s17, s14, 24
	s_mul_i32 s18, s14, 24
	s_add_i32 s16, s17, s16
	v_mov_b32_e32 v9, s16
	s_waitcnt vmcnt(0)
	v_add_co_u32_e32 v10, vcc, s18, v0
	v_addc_co_u32_e32 v11, vcc, v1, v9, vcc
	s_and_saveexec_b64 s[16:17], s[4:5]
	s_cbranch_execz .LBB1_122
; %bb.121:
	v_pk_mov_b32 v[12:13], s[12:13], s[12:13] op_sel:[0,1]
	v_mov_b32_e32 v14, 2
	v_mov_b32_e32 v15, 1
	global_store_dwordx4 v[10:11], v[12:15], off offset:8
.LBB1_122:
	s_or_b64 exec, exec, s[16:17]
	s_lshl_b64 s[12:13], s[14:15], 12
	v_mov_b32_e32 v9, s13
	v_add_co_u32_e32 v2, vcc, s12, v2
	s_movk_i32 s12, 0xff1f
	v_addc_co_u32_e32 v3, vcc, v3, v9, vcc
	v_and_or_b32 v6, v6, s12, 32
	s_mov_b32 s12, 0
	v_mov_b32_e32 v9, v8
	v_readfirstlane_b32 s16, v2
	v_readfirstlane_b32 s17, v3
	s_mov_b32 s13, s12
	v_add_co_u32_e32 v12, vcc, v2, v36
	s_mov_b32 s14, s12
	s_mov_b32 s15, s12
	s_nop 0
	global_store_dwordx4 v36, v[6:9], s[16:17]
	v_addc_co_u32_e32 v13, vcc, 0, v3, vcc
	v_pk_mov_b32 v[6:7], s[12:13], s[12:13] op_sel:[0,1]
	v_pk_mov_b32 v[8:9], s[14:15], s[14:15] op_sel:[0,1]
	global_store_dwordx4 v36, v[6:9], s[16:17] offset:16
	global_store_dwordx4 v36, v[6:9], s[16:17] offset:32
	;; [unrolled: 1-line block ×3, first 2 shown]
	s_and_saveexec_b64 s[12:13], s[4:5]
	s_cbranch_execz .LBB1_130
; %bb.123:
	v_mov_b32_e32 v8, 0
	global_load_dwordx2 v[16:17], v8, s[10:11] offset:32 glc
	global_load_dwordx2 v[2:3], v8, s[10:11] offset:40
	v_mov_b32_e32 v14, s6
	v_mov_b32_e32 v15, s7
	s_waitcnt vmcnt(0)
	v_readfirstlane_b32 s14, v2
	v_readfirstlane_b32 s15, v3
	s_and_b64 s[14:15], s[14:15], s[6:7]
	s_mul_i32 s15, s15, 24
	s_mul_hi_u32 s16, s14, 24
	s_mul_i32 s14, s14, 24
	s_add_i32 s15, s16, s15
	v_mov_b32_e32 v2, s15
	v_add_co_u32_e32 v6, vcc, s14, v0
	v_addc_co_u32_e32 v7, vcc, v1, v2, vcc
	global_store_dwordx2 v[6:7], v[16:17], off
	buffer_wbl2
	s_waitcnt vmcnt(0)
	global_atomic_cmpswap_x2 v[2:3], v8, v[14:17], s[10:11] offset:32 glc
	s_waitcnt vmcnt(0)
	v_cmp_ne_u64_e32 vcc, v[2:3], v[16:17]
	s_and_saveexec_b64 s[14:15], vcc
	s_cbranch_execz .LBB1_126
; %bb.124:
	s_mov_b64 s[16:17], 0
.LBB1_125:                              ; =>This Inner Loop Header: Depth=1
	s_sleep 1
	global_store_dwordx2 v[6:7], v[2:3], off
	v_mov_b32_e32 v0, s6
	v_mov_b32_e32 v1, s7
	buffer_wbl2
	s_waitcnt vmcnt(0)
	global_atomic_cmpswap_x2 v[0:1], v8, v[0:3], s[10:11] offset:32 glc
	s_waitcnt vmcnt(0)
	v_cmp_eq_u64_e32 vcc, v[0:1], v[2:3]
	s_or_b64 s[16:17], vcc, s[16:17]
	v_pk_mov_b32 v[2:3], v[0:1], v[0:1] op_sel:[0,1]
	s_andn2_b64 exec, exec, s[16:17]
	s_cbranch_execnz .LBB1_125
.LBB1_126:
	s_or_b64 exec, exec, s[14:15]
	v_mov_b32_e32 v3, 0
	global_load_dwordx2 v[0:1], v3, s[10:11] offset:16
	s_mov_b64 s[14:15], exec
	v_mbcnt_lo_u32_b32 v2, s14, 0
	v_mbcnt_hi_u32_b32 v2, s15, v2
	v_cmp_eq_u32_e32 vcc, 0, v2
	s_and_saveexec_b64 s[16:17], vcc
	s_cbranch_execz .LBB1_128
; %bb.127:
	s_bcnt1_i32_b64 s14, s[14:15]
	v_mov_b32_e32 v2, s14
	buffer_wbl2
	s_waitcnt vmcnt(0)
	global_atomic_add_x2 v[0:1], v[2:3], off offset:8
.LBB1_128:
	s_or_b64 exec, exec, s[16:17]
	s_waitcnt vmcnt(0)
	global_load_dwordx2 v[2:3], v[0:1], off offset:16
	s_waitcnt vmcnt(0)
	v_cmp_eq_u64_e32 vcc, 0, v[2:3]
	s_cbranch_vccnz .LBB1_130
; %bb.129:
	global_load_dword v0, v[0:1], off offset:24
	v_mov_b32_e32 v1, 0
	buffer_wbl2
	s_waitcnt vmcnt(0)
	global_store_dwordx2 v[2:3], v[0:1], off
	v_and_b32_e32 v0, 0xffffff, v0
	v_readfirstlane_b32 m0, v0
	s_sendmsg sendmsg(MSG_INTERRUPT)
.LBB1_130:
	s_or_b64 exec, exec, s[12:13]
	s_branch .LBB1_134
.LBB1_131:                              ;   in Loop: Header=BB1_134 Depth=1
	s_or_b64 exec, exec, s[12:13]
	v_readfirstlane_b32 s12, v0
	s_cmp_eq_u32 s12, 0
	s_cbranch_scc1 .LBB1_133
; %bb.132:                              ;   in Loop: Header=BB1_134 Depth=1
	s_sleep 1
	s_cbranch_execnz .LBB1_134
	s_branch .LBB1_136
.LBB1_133:
	s_branch .LBB1_136
.LBB1_134:                              ; =>This Inner Loop Header: Depth=1
	v_mov_b32_e32 v0, 1
	s_and_saveexec_b64 s[12:13], s[4:5]
	s_cbranch_execz .LBB1_131
; %bb.135:                              ;   in Loop: Header=BB1_134 Depth=1
	global_load_dword v0, v[10:11], off offset:20 glc
	s_waitcnt vmcnt(0)
	buffer_invl2
	buffer_wbinvl1_vol
	v_and_b32_e32 v0, 1, v0
	s_branch .LBB1_131
.LBB1_136:
	global_load_dwordx2 v[0:1], v[12:13], off
	s_and_saveexec_b64 s[12:13], s[4:5]
	s_cbranch_execz .LBB1_139
; %bb.137:
	v_mov_b32_e32 v10, 0
	global_load_dwordx2 v[2:3], v10, s[10:11] offset:40
	global_load_dwordx2 v[12:13], v10, s[10:11] offset:24 glc
	global_load_dwordx2 v[14:15], v10, s[10:11]
	v_mov_b32_e32 v7, s7
	s_mov_b64 s[4:5], 0
	s_waitcnt vmcnt(2)
	v_add_co_u32_e32 v9, vcc, 1, v2
	v_addc_co_u32_e32 v11, vcc, 0, v3, vcc
	v_add_co_u32_e32 v6, vcc, s6, v9
	v_addc_co_u32_e32 v7, vcc, v11, v7, vcc
	v_cmp_eq_u64_e32 vcc, 0, v[6:7]
	v_cndmask_b32_e32 v7, v7, v11, vcc
	v_cndmask_b32_e32 v6, v6, v9, vcc
	v_and_b32_e32 v3, v7, v3
	v_and_b32_e32 v2, v6, v2
	v_mul_lo_u32 v3, v3, 24
	v_mul_hi_u32 v9, v2, 24
	v_mul_lo_u32 v2, v2, 24
	v_add_u32_e32 v3, v9, v3
	s_waitcnt vmcnt(0)
	v_add_co_u32_e32 v2, vcc, v14, v2
	v_addc_co_u32_e32 v3, vcc, v15, v3, vcc
	v_mov_b32_e32 v8, v12
	global_store_dwordx2 v[2:3], v[12:13], off
	v_mov_b32_e32 v9, v13
	buffer_wbl2
	s_waitcnt vmcnt(0)
	global_atomic_cmpswap_x2 v[8:9], v10, v[6:9], s[10:11] offset:24 glc
	s_waitcnt vmcnt(0)
	v_cmp_ne_u64_e32 vcc, v[8:9], v[12:13]
	s_and_b64 exec, exec, vcc
	s_cbranch_execz .LBB1_139
.LBB1_138:                              ; =>This Inner Loop Header: Depth=1
	s_sleep 1
	global_store_dwordx2 v[2:3], v[8:9], off
	buffer_wbl2
	s_waitcnt vmcnt(0)
	global_atomic_cmpswap_x2 v[12:13], v10, v[6:9], s[10:11] offset:24 glc
	s_waitcnt vmcnt(0)
	v_cmp_eq_u64_e32 vcc, v[12:13], v[8:9]
	s_or_b64 s[4:5], vcc, s[4:5]
	v_pk_mov_b32 v[8:9], v[12:13], v[12:13] op_sel:[0,1]
	s_andn2_b64 exec, exec, s[4:5]
	s_cbranch_execnz .LBB1_138
.LBB1_139:
	s_or_b64 exec, exec, s[12:13]
.LBB1_140:
	s_getpc_b64 s[6:7]
	s_add_u32 s6, s6, .str.2@rel32@lo+4
	s_addc_u32 s7, s7, .str.2@rel32@hi+12
	s_cmp_lg_u64 s[6:7], 0
	s_cbranch_scc0 .LBB1_224
; %bb.141:
	s_getpc_b64 s[4:5]
	s_add_u32 s4, s4, .str.2@rel32@lo+80
	s_addc_u32 s5, s5, .str.2@rel32@hi+88
	s_sub_i32 s12, s4, s6
	s_ashr_i32 s13, s12, 31
	s_waitcnt vmcnt(0)
	v_and_b32_e32 v2, 2, v0
	v_mov_b32_e32 v33, 0
	v_and_b32_e32 v6, -3, v0
	v_mov_b32_e32 v7, v1
	v_mov_b32_e32 v10, 2
	;; [unrolled: 1-line block ×3, first 2 shown]
	s_branch .LBB1_143
.LBB1_142:                              ;   in Loop: Header=BB1_143 Depth=1
	s_or_b64 exec, exec, s[18:19]
	s_sub_u32 s12, s12, s14
	s_subb_u32 s13, s13, s15
	s_add_u32 s6, s6, s14
	s_addc_u32 s7, s7, s15
	s_cmp_lg_u64 s[12:13], 0
	s_cbranch_scc0 .LBB1_225
.LBB1_143:                              ; =>This Loop Header: Depth=1
                                        ;     Child Loop BB1_146 Depth 2
                                        ;     Child Loop BB1_153 Depth 2
	;; [unrolled: 1-line block ×11, first 2 shown]
	v_cmp_lt_u64_e64 s[4:5], s[12:13], 56
	s_and_b64 s[4:5], s[4:5], exec
	v_cmp_gt_u64_e64 s[4:5], s[12:13], 7
	s_cselect_b32 s15, s13, 0
	s_cselect_b32 s14, s12, 56
	s_and_b64 vcc, exec, s[4:5]
	s_cbranch_vccnz .LBB1_148
; %bb.144:                              ;   in Loop: Header=BB1_143 Depth=1
	s_mov_b64 s[4:5], 0
	s_cmp_eq_u64 s[12:13], 0
	v_pk_mov_b32 v[14:15], 0, 0
	s_cbranch_scc1 .LBB1_147
; %bb.145:                              ;   in Loop: Header=BB1_143 Depth=1
	s_lshl_b64 s[16:17], s[14:15], 3
	s_mov_b64 s[18:19], 0
	v_pk_mov_b32 v[14:15], 0, 0
	s_mov_b64 s[20:21], s[6:7]
.LBB1_146:                              ;   Parent Loop BB1_143 Depth=1
                                        ; =>  This Inner Loop Header: Depth=2
	global_load_ubyte v3, v33, s[20:21]
	s_waitcnt vmcnt(0)
	v_and_b32_e32 v32, 0xffff, v3
	v_lshlrev_b64 v[8:9], s18, v[32:33]
	s_add_u32 s18, s18, 8
	s_addc_u32 s19, s19, 0
	s_add_u32 s20, s20, 1
	s_addc_u32 s21, s21, 0
	v_or_b32_e32 v14, v8, v14
	s_cmp_lg_u32 s16, s18
	v_or_b32_e32 v15, v9, v15
	s_cbranch_scc1 .LBB1_146
.LBB1_147:                              ;   in Loop: Header=BB1_143 Depth=1
	s_mov_b32 s20, 0
	s_andn2_b64 vcc, exec, s[4:5]
	s_mov_b64 s[4:5], s[6:7]
	s_cbranch_vccz .LBB1_149
	s_branch .LBB1_150
.LBB1_148:                              ;   in Loop: Header=BB1_143 Depth=1
                                        ; implicit-def: $vgpr14_vgpr15
                                        ; implicit-def: $sgpr20
	s_mov_b64 s[4:5], s[6:7]
.LBB1_149:                              ;   in Loop: Header=BB1_143 Depth=1
	global_load_dwordx2 v[14:15], v33, s[6:7]
	s_add_i32 s20, s14, -8
	s_add_u32 s4, s6, 8
	s_addc_u32 s5, s7, 0
.LBB1_150:                              ;   in Loop: Header=BB1_143 Depth=1
	s_cmp_gt_u32 s20, 7
	s_cbranch_scc1 .LBB1_154
; %bb.151:                              ;   in Loop: Header=BB1_143 Depth=1
	s_cmp_eq_u32 s20, 0
	s_cbranch_scc1 .LBB1_155
; %bb.152:                              ;   in Loop: Header=BB1_143 Depth=1
	s_mov_b64 s[16:17], 0
	v_pk_mov_b32 v[16:17], 0, 0
	s_mov_b64 s[18:19], 0
.LBB1_153:                              ;   Parent Loop BB1_143 Depth=1
                                        ; =>  This Inner Loop Header: Depth=2
	s_add_u32 s22, s4, s18
	s_addc_u32 s23, s5, s19
	global_load_ubyte v3, v33, s[22:23]
	s_add_u32 s18, s18, 1
	s_addc_u32 s19, s19, 0
	s_waitcnt vmcnt(0)
	v_and_b32_e32 v32, 0xffff, v3
	v_lshlrev_b64 v[8:9], s16, v[32:33]
	s_add_u32 s16, s16, 8
	s_addc_u32 s17, s17, 0
	v_or_b32_e32 v16, v8, v16
	s_cmp_lg_u32 s20, s18
	v_or_b32_e32 v17, v9, v17
	s_cbranch_scc1 .LBB1_153
	s_branch .LBB1_156
.LBB1_154:                              ;   in Loop: Header=BB1_143 Depth=1
                                        ; implicit-def: $vgpr16_vgpr17
                                        ; implicit-def: $sgpr21
	s_branch .LBB1_157
.LBB1_155:                              ;   in Loop: Header=BB1_143 Depth=1
	v_pk_mov_b32 v[16:17], 0, 0
.LBB1_156:                              ;   in Loop: Header=BB1_143 Depth=1
	s_mov_b32 s21, 0
	s_cbranch_execnz .LBB1_158
.LBB1_157:                              ;   in Loop: Header=BB1_143 Depth=1
	global_load_dwordx2 v[16:17], v33, s[4:5]
	s_add_i32 s21, s20, -8
	s_add_u32 s4, s4, 8
	s_addc_u32 s5, s5, 0
.LBB1_158:                              ;   in Loop: Header=BB1_143 Depth=1
	s_cmp_gt_u32 s21, 7
	s_cbranch_scc1 .LBB1_162
; %bb.159:                              ;   in Loop: Header=BB1_143 Depth=1
	s_cmp_eq_u32 s21, 0
	s_cbranch_scc1 .LBB1_163
; %bb.160:                              ;   in Loop: Header=BB1_143 Depth=1
	s_mov_b64 s[16:17], 0
	v_pk_mov_b32 v[18:19], 0, 0
	s_mov_b64 s[18:19], 0
.LBB1_161:                              ;   Parent Loop BB1_143 Depth=1
                                        ; =>  This Inner Loop Header: Depth=2
	s_add_u32 s22, s4, s18
	s_addc_u32 s23, s5, s19
	global_load_ubyte v3, v33, s[22:23]
	s_add_u32 s18, s18, 1
	s_addc_u32 s19, s19, 0
	s_waitcnt vmcnt(0)
	v_and_b32_e32 v32, 0xffff, v3
	v_lshlrev_b64 v[8:9], s16, v[32:33]
	s_add_u32 s16, s16, 8
	s_addc_u32 s17, s17, 0
	v_or_b32_e32 v18, v8, v18
	s_cmp_lg_u32 s21, s18
	v_or_b32_e32 v19, v9, v19
	s_cbranch_scc1 .LBB1_161
	s_branch .LBB1_164
.LBB1_162:                              ;   in Loop: Header=BB1_143 Depth=1
                                        ; implicit-def: $sgpr20
	s_branch .LBB1_165
.LBB1_163:                              ;   in Loop: Header=BB1_143 Depth=1
	v_pk_mov_b32 v[18:19], 0, 0
.LBB1_164:                              ;   in Loop: Header=BB1_143 Depth=1
	s_mov_b32 s20, 0
	s_cbranch_execnz .LBB1_166
.LBB1_165:                              ;   in Loop: Header=BB1_143 Depth=1
	global_load_dwordx2 v[18:19], v33, s[4:5]
	s_add_i32 s20, s21, -8
	s_add_u32 s4, s4, 8
	s_addc_u32 s5, s5, 0
.LBB1_166:                              ;   in Loop: Header=BB1_143 Depth=1
	s_cmp_gt_u32 s20, 7
	s_cbranch_scc1 .LBB1_170
; %bb.167:                              ;   in Loop: Header=BB1_143 Depth=1
	s_cmp_eq_u32 s20, 0
	s_cbranch_scc1 .LBB1_171
; %bb.168:                              ;   in Loop: Header=BB1_143 Depth=1
	s_mov_b64 s[16:17], 0
	v_pk_mov_b32 v[20:21], 0, 0
	s_mov_b64 s[18:19], 0
.LBB1_169:                              ;   Parent Loop BB1_143 Depth=1
                                        ; =>  This Inner Loop Header: Depth=2
	s_add_u32 s22, s4, s18
	s_addc_u32 s23, s5, s19
	global_load_ubyte v3, v33, s[22:23]
	s_add_u32 s18, s18, 1
	s_addc_u32 s19, s19, 0
	s_waitcnt vmcnt(0)
	v_and_b32_e32 v32, 0xffff, v3
	v_lshlrev_b64 v[8:9], s16, v[32:33]
	s_add_u32 s16, s16, 8
	s_addc_u32 s17, s17, 0
	v_or_b32_e32 v20, v8, v20
	s_cmp_lg_u32 s20, s18
	v_or_b32_e32 v21, v9, v21
	s_cbranch_scc1 .LBB1_169
	s_branch .LBB1_172
.LBB1_170:                              ;   in Loop: Header=BB1_143 Depth=1
                                        ; implicit-def: $vgpr20_vgpr21
                                        ; implicit-def: $sgpr21
	s_branch .LBB1_173
.LBB1_171:                              ;   in Loop: Header=BB1_143 Depth=1
	v_pk_mov_b32 v[20:21], 0, 0
.LBB1_172:                              ;   in Loop: Header=BB1_143 Depth=1
	s_mov_b32 s21, 0
	s_cbranch_execnz .LBB1_174
.LBB1_173:                              ;   in Loop: Header=BB1_143 Depth=1
	global_load_dwordx2 v[20:21], v33, s[4:5]
	s_add_i32 s21, s20, -8
	s_add_u32 s4, s4, 8
	s_addc_u32 s5, s5, 0
.LBB1_174:                              ;   in Loop: Header=BB1_143 Depth=1
	s_cmp_gt_u32 s21, 7
	s_cbranch_scc1 .LBB1_178
; %bb.175:                              ;   in Loop: Header=BB1_143 Depth=1
	s_cmp_eq_u32 s21, 0
	s_cbranch_scc1 .LBB1_179
; %bb.176:                              ;   in Loop: Header=BB1_143 Depth=1
	s_mov_b64 s[16:17], 0
	v_pk_mov_b32 v[22:23], 0, 0
	s_mov_b64 s[18:19], 0
.LBB1_177:                              ;   Parent Loop BB1_143 Depth=1
                                        ; =>  This Inner Loop Header: Depth=2
	s_add_u32 s22, s4, s18
	s_addc_u32 s23, s5, s19
	global_load_ubyte v3, v33, s[22:23]
	s_add_u32 s18, s18, 1
	s_addc_u32 s19, s19, 0
	s_waitcnt vmcnt(0)
	v_and_b32_e32 v32, 0xffff, v3
	v_lshlrev_b64 v[8:9], s16, v[32:33]
	s_add_u32 s16, s16, 8
	s_addc_u32 s17, s17, 0
	v_or_b32_e32 v22, v8, v22
	s_cmp_lg_u32 s21, s18
	v_or_b32_e32 v23, v9, v23
	s_cbranch_scc1 .LBB1_177
	s_branch .LBB1_180
.LBB1_178:                              ;   in Loop: Header=BB1_143 Depth=1
                                        ; implicit-def: $sgpr20
	s_branch .LBB1_181
.LBB1_179:                              ;   in Loop: Header=BB1_143 Depth=1
	v_pk_mov_b32 v[22:23], 0, 0
.LBB1_180:                              ;   in Loop: Header=BB1_143 Depth=1
	s_mov_b32 s20, 0
	s_cbranch_execnz .LBB1_182
.LBB1_181:                              ;   in Loop: Header=BB1_143 Depth=1
	global_load_dwordx2 v[22:23], v33, s[4:5]
	s_add_i32 s20, s21, -8
	s_add_u32 s4, s4, 8
	s_addc_u32 s5, s5, 0
.LBB1_182:                              ;   in Loop: Header=BB1_143 Depth=1
	s_cmp_gt_u32 s20, 7
	s_cbranch_scc1 .LBB1_186
; %bb.183:                              ;   in Loop: Header=BB1_143 Depth=1
	s_cmp_eq_u32 s20, 0
	s_cbranch_scc1 .LBB1_187
; %bb.184:                              ;   in Loop: Header=BB1_143 Depth=1
	s_mov_b64 s[16:17], 0
	v_pk_mov_b32 v[24:25], 0, 0
	s_mov_b64 s[18:19], 0
.LBB1_185:                              ;   Parent Loop BB1_143 Depth=1
                                        ; =>  This Inner Loop Header: Depth=2
	s_add_u32 s22, s4, s18
	s_addc_u32 s23, s5, s19
	global_load_ubyte v3, v33, s[22:23]
	s_add_u32 s18, s18, 1
	s_addc_u32 s19, s19, 0
	s_waitcnt vmcnt(0)
	v_and_b32_e32 v32, 0xffff, v3
	v_lshlrev_b64 v[8:9], s16, v[32:33]
	s_add_u32 s16, s16, 8
	s_addc_u32 s17, s17, 0
	v_or_b32_e32 v24, v8, v24
	s_cmp_lg_u32 s20, s18
	v_or_b32_e32 v25, v9, v25
	s_cbranch_scc1 .LBB1_185
	s_branch .LBB1_188
.LBB1_186:                              ;   in Loop: Header=BB1_143 Depth=1
                                        ; implicit-def: $vgpr24_vgpr25
                                        ; implicit-def: $sgpr21
	s_branch .LBB1_189
.LBB1_187:                              ;   in Loop: Header=BB1_143 Depth=1
	v_pk_mov_b32 v[24:25], 0, 0
.LBB1_188:                              ;   in Loop: Header=BB1_143 Depth=1
	s_mov_b32 s21, 0
	s_cbranch_execnz .LBB1_190
.LBB1_189:                              ;   in Loop: Header=BB1_143 Depth=1
	global_load_dwordx2 v[24:25], v33, s[4:5]
	s_add_i32 s21, s20, -8
	s_add_u32 s4, s4, 8
	s_addc_u32 s5, s5, 0
.LBB1_190:                              ;   in Loop: Header=BB1_143 Depth=1
	s_cmp_gt_u32 s21, 7
	s_cbranch_scc1 .LBB1_194
; %bb.191:                              ;   in Loop: Header=BB1_143 Depth=1
	s_cmp_eq_u32 s21, 0
	s_cbranch_scc1 .LBB1_195
; %bb.192:                              ;   in Loop: Header=BB1_143 Depth=1
	s_mov_b64 s[16:17], 0
	v_pk_mov_b32 v[26:27], 0, 0
	s_mov_b64 s[18:19], s[4:5]
.LBB1_193:                              ;   Parent Loop BB1_143 Depth=1
                                        ; =>  This Inner Loop Header: Depth=2
	global_load_ubyte v3, v33, s[18:19]
	s_add_i32 s21, s21, -1
	s_waitcnt vmcnt(0)
	v_and_b32_e32 v32, 0xffff, v3
	v_lshlrev_b64 v[8:9], s16, v[32:33]
	s_add_u32 s16, s16, 8
	s_addc_u32 s17, s17, 0
	s_add_u32 s18, s18, 1
	s_addc_u32 s19, s19, 0
	v_or_b32_e32 v26, v8, v26
	s_cmp_lg_u32 s21, 0
	v_or_b32_e32 v27, v9, v27
	s_cbranch_scc1 .LBB1_193
	s_branch .LBB1_196
.LBB1_194:                              ;   in Loop: Header=BB1_143 Depth=1
	s_branch .LBB1_197
.LBB1_195:                              ;   in Loop: Header=BB1_143 Depth=1
	v_pk_mov_b32 v[26:27], 0, 0
.LBB1_196:                              ;   in Loop: Header=BB1_143 Depth=1
	s_cbranch_execnz .LBB1_198
.LBB1_197:                              ;   in Loop: Header=BB1_143 Depth=1
	global_load_dwordx2 v[26:27], v33, s[4:5]
.LBB1_198:                              ;   in Loop: Header=BB1_143 Depth=1
	v_readfirstlane_b32 s4, v37
	v_cmp_eq_u32_e64 s[4:5], s4, v37
	s_waitcnt vmcnt(0)
	v_pk_mov_b32 v[8:9], 0, 0
	s_and_saveexec_b64 s[16:17], s[4:5]
	s_cbranch_execz .LBB1_204
; %bb.199:                              ;   in Loop: Header=BB1_143 Depth=1
	global_load_dwordx2 v[30:31], v33, s[10:11] offset:24 glc
	s_waitcnt vmcnt(0)
	buffer_invl2
	buffer_wbinvl1_vol
	global_load_dwordx2 v[8:9], v33, s[10:11] offset:40
	global_load_dwordx2 v[12:13], v33, s[10:11]
	s_waitcnt vmcnt(1)
	v_and_b32_e32 v3, v8, v30
	v_and_b32_e32 v8, v9, v31
	v_mul_lo_u32 v8, v8, 24
	v_mul_hi_u32 v9, v3, 24
	v_mul_lo_u32 v3, v3, 24
	v_add_u32_e32 v9, v9, v8
	s_waitcnt vmcnt(0)
	v_add_co_u32_e32 v8, vcc, v12, v3
	v_addc_co_u32_e32 v9, vcc, v13, v9, vcc
	global_load_dwordx2 v[28:29], v[8:9], off glc
	s_waitcnt vmcnt(0)
	global_atomic_cmpswap_x2 v[8:9], v33, v[28:31], s[10:11] offset:24 glc
	s_waitcnt vmcnt(0)
	buffer_invl2
	buffer_wbinvl1_vol
	v_cmp_ne_u64_e32 vcc, v[8:9], v[30:31]
	s_and_saveexec_b64 s[18:19], vcc
	s_cbranch_execz .LBB1_203
; %bb.200:                              ;   in Loop: Header=BB1_143 Depth=1
	s_mov_b64 s[20:21], 0
.LBB1_201:                              ;   Parent Loop BB1_143 Depth=1
                                        ; =>  This Inner Loop Header: Depth=2
	s_sleep 1
	global_load_dwordx2 v[12:13], v33, s[10:11] offset:40
	global_load_dwordx2 v[28:29], v33, s[10:11]
	v_pk_mov_b32 v[30:31], v[8:9], v[8:9] op_sel:[0,1]
	s_waitcnt vmcnt(1)
	v_and_b32_e32 v8, v12, v30
	s_waitcnt vmcnt(0)
	v_mad_u64_u32 v[8:9], s[22:23], v8, 24, v[28:29]
	v_and_b32_e32 v3, v13, v31
	v_mov_b32_e32 v12, v9
	v_mad_u64_u32 v[12:13], s[22:23], v3, 24, v[12:13]
	v_mov_b32_e32 v9, v12
	global_load_dwordx2 v[28:29], v[8:9], off glc
	s_waitcnt vmcnt(0)
	global_atomic_cmpswap_x2 v[8:9], v33, v[28:31], s[10:11] offset:24 glc
	s_waitcnt vmcnt(0)
	buffer_invl2
	buffer_wbinvl1_vol
	v_cmp_eq_u64_e32 vcc, v[8:9], v[30:31]
	s_or_b64 s[20:21], vcc, s[20:21]
	s_andn2_b64 exec, exec, s[20:21]
	s_cbranch_execnz .LBB1_201
; %bb.202:                              ;   in Loop: Header=BB1_143 Depth=1
	s_or_b64 exec, exec, s[20:21]
.LBB1_203:                              ;   in Loop: Header=BB1_143 Depth=1
	s_or_b64 exec, exec, s[18:19]
.LBB1_204:                              ;   in Loop: Header=BB1_143 Depth=1
	s_or_b64 exec, exec, s[16:17]
	global_load_dwordx2 v[12:13], v33, s[10:11] offset:40
	global_load_dwordx4 v[28:31], v33, s[10:11]
	v_readfirstlane_b32 s16, v8
	v_readfirstlane_b32 s17, v9
	s_mov_b64 s[18:19], exec
	s_waitcnt vmcnt(1)
	v_readfirstlane_b32 s20, v12
	v_readfirstlane_b32 s21, v13
	s_and_b64 s[20:21], s[16:17], s[20:21]
	s_mul_i32 s22, s21, 24
	s_mul_hi_u32 s23, s20, 24
	s_mul_i32 s24, s20, 24
	s_add_i32 s22, s23, s22
	v_mov_b32_e32 v3, s22
	s_waitcnt vmcnt(0)
	v_add_co_u32_e32 v34, vcc, s24, v28
	v_addc_co_u32_e32 v35, vcc, v29, v3, vcc
	s_and_saveexec_b64 s[22:23], s[4:5]
	s_cbranch_execz .LBB1_206
; %bb.205:                              ;   in Loop: Header=BB1_143 Depth=1
	v_pk_mov_b32 v[8:9], s[18:19], s[18:19] op_sel:[0,1]
	global_store_dwordx4 v[34:35], v[8:11], off offset:8
.LBB1_206:                              ;   in Loop: Header=BB1_143 Depth=1
	s_or_b64 exec, exec, s[22:23]
	s_lshl_b64 s[18:19], s[20:21], 12
	v_mov_b32_e32 v3, s19
	v_add_co_u32_e32 v30, vcc, s18, v30
	v_addc_co_u32_e32 v3, vcc, v31, v3, vcc
	v_or_b32_e32 v9, v6, v2
	v_cmp_gt_u64_e64 vcc, s[12:13], 56
	s_lshl_b32 s18, s14, 2
	v_cndmask_b32_e32 v6, v9, v6, vcc
	s_add_i32 s18, s18, 28
	v_or_b32_e32 v8, 0, v7
	s_and_b32 s18, s18, 0x1e0
	v_and_b32_e32 v6, 0xffffff1f, v6
	v_cndmask_b32_e32 v13, v8, v7, vcc
	v_or_b32_e32 v12, s18, v6
	v_readfirstlane_b32 s18, v30
	v_readfirstlane_b32 s19, v3
	s_nop 4
	global_store_dwordx4 v36, v[12:15], s[18:19]
	global_store_dwordx4 v36, v[16:19], s[18:19] offset:16
	global_store_dwordx4 v36, v[20:23], s[18:19] offset:32
	global_store_dwordx4 v36, v[24:27], s[18:19] offset:48
	s_and_saveexec_b64 s[18:19], s[4:5]
	s_cbranch_execz .LBB1_214
; %bb.207:                              ;   in Loop: Header=BB1_143 Depth=1
	global_load_dwordx2 v[16:17], v33, s[10:11] offset:32 glc
	global_load_dwordx2 v[6:7], v33, s[10:11] offset:40
	v_mov_b32_e32 v14, s16
	v_mov_b32_e32 v15, s17
	s_waitcnt vmcnt(0)
	v_readfirstlane_b32 s20, v6
	v_readfirstlane_b32 s21, v7
	s_and_b64 s[20:21], s[20:21], s[16:17]
	s_mul_i32 s21, s21, 24
	s_mul_hi_u32 s22, s20, 24
	s_mul_i32 s20, s20, 24
	s_add_i32 s21, s22, s21
	v_mov_b32_e32 v6, s21
	v_add_co_u32_e32 v12, vcc, s20, v28
	v_addc_co_u32_e32 v13, vcc, v29, v6, vcc
	global_store_dwordx2 v[12:13], v[16:17], off
	buffer_wbl2
	s_waitcnt vmcnt(0)
	global_atomic_cmpswap_x2 v[8:9], v33, v[14:17], s[10:11] offset:32 glc
	s_waitcnt vmcnt(0)
	v_cmp_ne_u64_e32 vcc, v[8:9], v[16:17]
	s_and_saveexec_b64 s[20:21], vcc
	s_cbranch_execz .LBB1_210
; %bb.208:                              ;   in Loop: Header=BB1_143 Depth=1
	s_mov_b64 s[22:23], 0
.LBB1_209:                              ;   Parent Loop BB1_143 Depth=1
                                        ; =>  This Inner Loop Header: Depth=2
	s_sleep 1
	global_store_dwordx2 v[12:13], v[8:9], off
	v_mov_b32_e32 v6, s16
	v_mov_b32_e32 v7, s17
	buffer_wbl2
	s_waitcnt vmcnt(0)
	global_atomic_cmpswap_x2 v[6:7], v33, v[6:9], s[10:11] offset:32 glc
	s_waitcnt vmcnt(0)
	v_cmp_eq_u64_e32 vcc, v[6:7], v[8:9]
	s_or_b64 s[22:23], vcc, s[22:23]
	v_pk_mov_b32 v[8:9], v[6:7], v[6:7] op_sel:[0,1]
	s_andn2_b64 exec, exec, s[22:23]
	s_cbranch_execnz .LBB1_209
.LBB1_210:                              ;   in Loop: Header=BB1_143 Depth=1
	s_or_b64 exec, exec, s[20:21]
	global_load_dwordx2 v[6:7], v33, s[10:11] offset:16
	s_mov_b64 s[22:23], exec
	v_mbcnt_lo_u32_b32 v8, s22, 0
	v_mbcnt_hi_u32_b32 v8, s23, v8
	v_cmp_eq_u32_e32 vcc, 0, v8
	s_and_saveexec_b64 s[20:21], vcc
	s_cbranch_execz .LBB1_212
; %bb.211:                              ;   in Loop: Header=BB1_143 Depth=1
	s_bcnt1_i32_b64 s22, s[22:23]
	v_mov_b32_e32 v32, s22
	buffer_wbl2
	s_waitcnt vmcnt(0)
	global_atomic_add_x2 v[6:7], v[32:33], off offset:8
.LBB1_212:                              ;   in Loop: Header=BB1_143 Depth=1
	s_or_b64 exec, exec, s[20:21]
	s_waitcnt vmcnt(0)
	global_load_dwordx2 v[8:9], v[6:7], off offset:16
	s_waitcnt vmcnt(0)
	v_cmp_eq_u64_e32 vcc, 0, v[8:9]
	s_cbranch_vccnz .LBB1_214
; %bb.213:                              ;   in Loop: Header=BB1_143 Depth=1
	global_load_dword v32, v[6:7], off offset:24
	s_waitcnt vmcnt(0)
	v_and_b32_e32 v6, 0xffffff, v32
	v_readfirstlane_b32 m0, v6
	buffer_wbl2
	global_store_dwordx2 v[8:9], v[32:33], off
	s_sendmsg sendmsg(MSG_INTERRUPT)
.LBB1_214:                              ;   in Loop: Header=BB1_143 Depth=1
	s_or_b64 exec, exec, s[18:19]
	v_add_co_u32_e32 v6, vcc, v30, v36
	v_addc_co_u32_e32 v7, vcc, 0, v3, vcc
	s_branch .LBB1_218
.LBB1_215:                              ;   in Loop: Header=BB1_218 Depth=2
	s_or_b64 exec, exec, s[18:19]
	v_readfirstlane_b32 s18, v3
	s_cmp_eq_u32 s18, 0
	s_cbranch_scc1 .LBB1_217
; %bb.216:                              ;   in Loop: Header=BB1_218 Depth=2
	s_sleep 1
	s_cbranch_execnz .LBB1_218
	s_branch .LBB1_220
.LBB1_217:                              ;   in Loop: Header=BB1_143 Depth=1
	s_branch .LBB1_220
.LBB1_218:                              ;   Parent Loop BB1_143 Depth=1
                                        ; =>  This Inner Loop Header: Depth=2
	v_mov_b32_e32 v3, 1
	s_and_saveexec_b64 s[18:19], s[4:5]
	s_cbranch_execz .LBB1_215
; %bb.219:                              ;   in Loop: Header=BB1_218 Depth=2
	global_load_dword v3, v[34:35], off offset:20 glc
	s_waitcnt vmcnt(0)
	buffer_invl2
	buffer_wbinvl1_vol
	v_and_b32_e32 v3, 1, v3
	s_branch .LBB1_215
.LBB1_220:                              ;   in Loop: Header=BB1_143 Depth=1
	global_load_dwordx4 v[6:9], v[6:7], off
	s_and_saveexec_b64 s[18:19], s[4:5]
	s_cbranch_execz .LBB1_142
; %bb.221:                              ;   in Loop: Header=BB1_143 Depth=1
	global_load_dwordx2 v[8:9], v33, s[10:11] offset:40
	global_load_dwordx2 v[16:17], v33, s[10:11] offset:24 glc
	global_load_dwordx2 v[18:19], v33, s[10:11]
	v_mov_b32_e32 v3, s17
	s_waitcnt vmcnt(2)
	v_add_co_u32_e32 v15, vcc, 1, v8
	v_addc_co_u32_e32 v20, vcc, 0, v9, vcc
	v_add_co_u32_e32 v12, vcc, s16, v15
	v_addc_co_u32_e32 v13, vcc, v20, v3, vcc
	v_cmp_eq_u64_e32 vcc, 0, v[12:13]
	v_cndmask_b32_e32 v13, v13, v20, vcc
	v_cndmask_b32_e32 v12, v12, v15, vcc
	v_and_b32_e32 v3, v13, v9
	v_and_b32_e32 v8, v12, v8
	v_mul_lo_u32 v3, v3, 24
	v_mul_hi_u32 v9, v8, 24
	v_mul_lo_u32 v8, v8, 24
	v_add_u32_e32 v3, v9, v3
	s_waitcnt vmcnt(0)
	v_add_co_u32_e32 v8, vcc, v18, v8
	v_addc_co_u32_e32 v9, vcc, v19, v3, vcc
	v_mov_b32_e32 v14, v16
	global_store_dwordx2 v[8:9], v[16:17], off
	v_mov_b32_e32 v15, v17
	buffer_wbl2
	s_waitcnt vmcnt(0)
	global_atomic_cmpswap_x2 v[14:15], v33, v[12:15], s[10:11] offset:24 glc
	s_waitcnt vmcnt(0)
	v_cmp_ne_u64_e32 vcc, v[14:15], v[16:17]
	s_and_b64 exec, exec, vcc
	s_cbranch_execz .LBB1_142
; %bb.222:                              ;   in Loop: Header=BB1_143 Depth=1
	s_mov_b64 s[4:5], 0
.LBB1_223:                              ;   Parent Loop BB1_143 Depth=1
                                        ; =>  This Inner Loop Header: Depth=2
	s_sleep 1
	global_store_dwordx2 v[8:9], v[14:15], off
	buffer_wbl2
	s_waitcnt vmcnt(0)
	global_atomic_cmpswap_x2 v[16:17], v33, v[12:15], s[10:11] offset:24 glc
	s_waitcnt vmcnt(0)
	v_cmp_eq_u64_e32 vcc, v[16:17], v[14:15]
	s_or_b64 s[4:5], vcc, s[4:5]
	v_pk_mov_b32 v[14:15], v[16:17], v[16:17] op_sel:[0,1]
	s_andn2_b64 exec, exec, s[4:5]
	s_cbranch_execnz .LBB1_223
	s_branch .LBB1_142
.LBB1_224:
                                        ; implicit-def: $vgpr6_vgpr7
	s_cbranch_execnz .LBB1_226
	s_branch .LBB1_252
.LBB1_225:
	s_branch .LBB1_252
.LBB1_226:
	v_readfirstlane_b32 s4, v37
	v_cmp_eq_u32_e64 s[4:5], s4, v37
	v_pk_mov_b32 v[10:11], 0, 0
	s_and_saveexec_b64 s[6:7], s[4:5]
	s_cbranch_execz .LBB1_232
; %bb.227:
	s_waitcnt vmcnt(0)
	v_mov_b32_e32 v2, 0
	global_load_dwordx2 v[8:9], v2, s[10:11] offset:24 glc
	s_waitcnt vmcnt(0)
	buffer_invl2
	buffer_wbinvl1_vol
	global_load_dwordx2 v[6:7], v2, s[10:11] offset:40
	global_load_dwordx2 v[10:11], v2, s[10:11]
	s_waitcnt vmcnt(1)
	v_and_b32_e32 v3, v6, v8
	v_and_b32_e32 v6, v7, v9
	v_mul_lo_u32 v6, v6, 24
	v_mul_hi_u32 v7, v3, 24
	v_mul_lo_u32 v3, v3, 24
	v_add_u32_e32 v7, v7, v6
	s_waitcnt vmcnt(0)
	v_add_co_u32_e32 v6, vcc, v10, v3
	v_addc_co_u32_e32 v7, vcc, v11, v7, vcc
	global_load_dwordx2 v[6:7], v[6:7], off glc
	s_waitcnt vmcnt(0)
	global_atomic_cmpswap_x2 v[10:11], v2, v[6:9], s[10:11] offset:24 glc
	s_waitcnt vmcnt(0)
	buffer_invl2
	buffer_wbinvl1_vol
	v_cmp_ne_u64_e32 vcc, v[10:11], v[8:9]
	s_and_saveexec_b64 s[12:13], vcc
	s_cbranch_execz .LBB1_231
; %bb.228:
	s_mov_b64 s[14:15], 0
.LBB1_229:                              ; =>This Inner Loop Header: Depth=1
	s_sleep 1
	global_load_dwordx2 v[6:7], v2, s[10:11] offset:40
	global_load_dwordx2 v[12:13], v2, s[10:11]
	v_pk_mov_b32 v[8:9], v[10:11], v[10:11] op_sel:[0,1]
	s_waitcnt vmcnt(1)
	v_and_b32_e32 v6, v6, v8
	v_and_b32_e32 v3, v7, v9
	s_waitcnt vmcnt(0)
	v_mad_u64_u32 v[6:7], s[16:17], v6, 24, v[12:13]
	v_mov_b32_e32 v10, v7
	v_mad_u64_u32 v[10:11], s[16:17], v3, 24, v[10:11]
	v_mov_b32_e32 v7, v10
	global_load_dwordx2 v[6:7], v[6:7], off glc
	s_waitcnt vmcnt(0)
	global_atomic_cmpswap_x2 v[10:11], v2, v[6:9], s[10:11] offset:24 glc
	s_waitcnt vmcnt(0)
	buffer_invl2
	buffer_wbinvl1_vol
	v_cmp_eq_u64_e32 vcc, v[10:11], v[8:9]
	s_or_b64 s[14:15], vcc, s[14:15]
	s_andn2_b64 exec, exec, s[14:15]
	s_cbranch_execnz .LBB1_229
; %bb.230:
	s_or_b64 exec, exec, s[14:15]
.LBB1_231:
	s_or_b64 exec, exec, s[12:13]
.LBB1_232:
	s_or_b64 exec, exec, s[6:7]
	s_waitcnt vmcnt(0)
	v_mov_b32_e32 v2, 0
	global_load_dwordx2 v[12:13], v2, s[10:11] offset:40
	global_load_dwordx4 v[6:9], v2, s[10:11]
	v_readfirstlane_b32 s6, v10
	v_readfirstlane_b32 s7, v11
	s_mov_b64 s[12:13], exec
	s_waitcnt vmcnt(1)
	v_readfirstlane_b32 s14, v12
	v_readfirstlane_b32 s15, v13
	s_and_b64 s[14:15], s[6:7], s[14:15]
	s_mul_i32 s16, s15, 24
	s_mul_hi_u32 s17, s14, 24
	s_mul_i32 s18, s14, 24
	s_add_i32 s16, s17, s16
	v_mov_b32_e32 v3, s16
	s_waitcnt vmcnt(0)
	v_add_co_u32_e32 v10, vcc, s18, v6
	v_addc_co_u32_e32 v11, vcc, v7, v3, vcc
	s_and_saveexec_b64 s[16:17], s[4:5]
	s_cbranch_execz .LBB1_234
; %bb.233:
	v_pk_mov_b32 v[12:13], s[12:13], s[12:13] op_sel:[0,1]
	v_mov_b32_e32 v14, 2
	v_mov_b32_e32 v15, 1
	global_store_dwordx4 v[10:11], v[12:15], off offset:8
.LBB1_234:
	s_or_b64 exec, exec, s[16:17]
	s_lshl_b64 s[12:13], s[14:15], 12
	v_mov_b32_e32 v3, s13
	v_add_co_u32_e32 v12, vcc, s12, v8
	s_movk_i32 s12, 0xff1f
	v_addc_co_u32_e32 v13, vcc, v9, v3, vcc
	v_and_or_b32 v0, v0, s12, 32
	s_mov_b32 s12, 0
	v_mov_b32_e32 v3, v2
	v_readfirstlane_b32 s16, v12
	v_readfirstlane_b32 s17, v13
	s_mov_b32 s13, s12
	v_add_co_u32_e32 v8, vcc, v12, v36
	s_mov_b32 s14, s12
	s_mov_b32 s15, s12
	s_nop 0
	global_store_dwordx4 v36, v[0:3], s[16:17]
	v_addc_co_u32_e32 v9, vcc, 0, v13, vcc
	v_pk_mov_b32 v[0:1], s[12:13], s[12:13] op_sel:[0,1]
	v_pk_mov_b32 v[2:3], s[14:15], s[14:15] op_sel:[0,1]
	global_store_dwordx4 v36, v[0:3], s[16:17] offset:16
	global_store_dwordx4 v36, v[0:3], s[16:17] offset:32
	;; [unrolled: 1-line block ×3, first 2 shown]
	s_and_saveexec_b64 s[12:13], s[4:5]
	s_cbranch_execz .LBB1_242
; %bb.235:
	v_mov_b32_e32 v12, 0
	global_load_dwordx2 v[16:17], v12, s[10:11] offset:32 glc
	global_load_dwordx2 v[0:1], v12, s[10:11] offset:40
	v_mov_b32_e32 v14, s6
	v_mov_b32_e32 v15, s7
	s_waitcnt vmcnt(0)
	v_readfirstlane_b32 s14, v0
	v_readfirstlane_b32 s15, v1
	s_and_b64 s[14:15], s[14:15], s[6:7]
	s_mul_i32 s15, s15, 24
	s_mul_hi_u32 s16, s14, 24
	s_mul_i32 s14, s14, 24
	s_add_i32 s15, s16, s15
	v_mov_b32_e32 v0, s15
	v_add_co_u32_e32 v6, vcc, s14, v6
	v_addc_co_u32_e32 v7, vcc, v7, v0, vcc
	global_store_dwordx2 v[6:7], v[16:17], off
	buffer_wbl2
	s_waitcnt vmcnt(0)
	global_atomic_cmpswap_x2 v[2:3], v12, v[14:17], s[10:11] offset:32 glc
	s_waitcnt vmcnt(0)
	v_cmp_ne_u64_e32 vcc, v[2:3], v[16:17]
	s_and_saveexec_b64 s[14:15], vcc
	s_cbranch_execz .LBB1_238
; %bb.236:
	s_mov_b64 s[16:17], 0
.LBB1_237:                              ; =>This Inner Loop Header: Depth=1
	s_sleep 1
	global_store_dwordx2 v[6:7], v[2:3], off
	v_mov_b32_e32 v0, s6
	v_mov_b32_e32 v1, s7
	buffer_wbl2
	s_waitcnt vmcnt(0)
	global_atomic_cmpswap_x2 v[0:1], v12, v[0:3], s[10:11] offset:32 glc
	s_waitcnt vmcnt(0)
	v_cmp_eq_u64_e32 vcc, v[0:1], v[2:3]
	s_or_b64 s[16:17], vcc, s[16:17]
	v_pk_mov_b32 v[2:3], v[0:1], v[0:1] op_sel:[0,1]
	s_andn2_b64 exec, exec, s[16:17]
	s_cbranch_execnz .LBB1_237
.LBB1_238:
	s_or_b64 exec, exec, s[14:15]
	v_mov_b32_e32 v3, 0
	global_load_dwordx2 v[0:1], v3, s[10:11] offset:16
	s_mov_b64 s[14:15], exec
	v_mbcnt_lo_u32_b32 v2, s14, 0
	v_mbcnt_hi_u32_b32 v2, s15, v2
	v_cmp_eq_u32_e32 vcc, 0, v2
	s_and_saveexec_b64 s[16:17], vcc
	s_cbranch_execz .LBB1_240
; %bb.239:
	s_bcnt1_i32_b64 s14, s[14:15]
	v_mov_b32_e32 v2, s14
	buffer_wbl2
	s_waitcnt vmcnt(0)
	global_atomic_add_x2 v[0:1], v[2:3], off offset:8
.LBB1_240:
	s_or_b64 exec, exec, s[16:17]
	s_waitcnt vmcnt(0)
	global_load_dwordx2 v[2:3], v[0:1], off offset:16
	s_waitcnt vmcnt(0)
	v_cmp_eq_u64_e32 vcc, 0, v[2:3]
	s_cbranch_vccnz .LBB1_242
; %bb.241:
	global_load_dword v0, v[0:1], off offset:24
	v_mov_b32_e32 v1, 0
	buffer_wbl2
	s_waitcnt vmcnt(0)
	global_store_dwordx2 v[2:3], v[0:1], off
	v_and_b32_e32 v0, 0xffffff, v0
	v_readfirstlane_b32 m0, v0
	s_sendmsg sendmsg(MSG_INTERRUPT)
.LBB1_242:
	s_or_b64 exec, exec, s[12:13]
	s_branch .LBB1_246
.LBB1_243:                              ;   in Loop: Header=BB1_246 Depth=1
	s_or_b64 exec, exec, s[12:13]
	v_readfirstlane_b32 s12, v0
	s_cmp_eq_u32 s12, 0
	s_cbranch_scc1 .LBB1_245
; %bb.244:                              ;   in Loop: Header=BB1_246 Depth=1
	s_sleep 1
	s_cbranch_execnz .LBB1_246
	s_branch .LBB1_248
.LBB1_245:
	s_branch .LBB1_248
.LBB1_246:                              ; =>This Inner Loop Header: Depth=1
	v_mov_b32_e32 v0, 1
	s_and_saveexec_b64 s[12:13], s[4:5]
	s_cbranch_execz .LBB1_243
; %bb.247:                              ;   in Loop: Header=BB1_246 Depth=1
	global_load_dword v0, v[10:11], off offset:20 glc
	s_waitcnt vmcnt(0)
	buffer_invl2
	buffer_wbinvl1_vol
	v_and_b32_e32 v0, 1, v0
	s_branch .LBB1_243
.LBB1_248:
	global_load_dwordx2 v[6:7], v[8:9], off
	s_and_saveexec_b64 s[12:13], s[4:5]
	s_cbranch_execz .LBB1_251
; %bb.249:
	v_mov_b32_e32 v10, 0
	global_load_dwordx2 v[8:9], v10, s[10:11] offset:40
	global_load_dwordx2 v[12:13], v10, s[10:11] offset:24 glc
	global_load_dwordx2 v[14:15], v10, s[10:11]
	v_mov_b32_e32 v1, s7
	s_mov_b64 s[4:5], 0
	s_waitcnt vmcnt(2)
	v_add_co_u32_e32 v3, vcc, 1, v8
	v_addc_co_u32_e32 v11, vcc, 0, v9, vcc
	v_add_co_u32_e32 v0, vcc, s6, v3
	v_addc_co_u32_e32 v1, vcc, v11, v1, vcc
	v_cmp_eq_u64_e32 vcc, 0, v[0:1]
	v_cndmask_b32_e32 v1, v1, v11, vcc
	v_cndmask_b32_e32 v0, v0, v3, vcc
	v_and_b32_e32 v3, v1, v9
	v_and_b32_e32 v8, v0, v8
	v_mul_lo_u32 v3, v3, 24
	v_mul_hi_u32 v9, v8, 24
	v_mul_lo_u32 v8, v8, 24
	v_add_u32_e32 v3, v9, v3
	s_waitcnt vmcnt(0)
	v_add_co_u32_e32 v8, vcc, v14, v8
	v_addc_co_u32_e32 v9, vcc, v15, v3, vcc
	v_mov_b32_e32 v2, v12
	global_store_dwordx2 v[8:9], v[12:13], off
	v_mov_b32_e32 v3, v13
	buffer_wbl2
	s_waitcnt vmcnt(0)
	global_atomic_cmpswap_x2 v[2:3], v10, v[0:3], s[10:11] offset:24 glc
	s_waitcnt vmcnt(0)
	v_cmp_ne_u64_e32 vcc, v[2:3], v[12:13]
	s_and_b64 exec, exec, vcc
	s_cbranch_execz .LBB1_251
.LBB1_250:                              ; =>This Inner Loop Header: Depth=1
	s_sleep 1
	global_store_dwordx2 v[8:9], v[2:3], off
	buffer_wbl2
	s_waitcnt vmcnt(0)
	global_atomic_cmpswap_x2 v[12:13], v10, v[0:3], s[10:11] offset:24 glc
	s_waitcnt vmcnt(0)
	v_cmp_eq_u64_e32 vcc, v[12:13], v[2:3]
	s_or_b64 s[4:5], vcc, s[4:5]
	v_pk_mov_b32 v[2:3], v[12:13], v[12:13] op_sel:[0,1]
	s_andn2_b64 exec, exec, s[4:5]
	s_cbranch_execnz .LBB1_250
.LBB1_251:
	s_or_b64 exec, exec, s[12:13]
.LBB1_252:
	v_readfirstlane_b32 s4, v37
	v_cmp_eq_u32_e64 s[4:5], s4, v37
	v_pk_mov_b32 v[10:11], 0, 0
	s_and_saveexec_b64 s[6:7], s[4:5]
	s_cbranch_execz .LBB1_258
; %bb.253:
	s_waitcnt vmcnt(0)
	v_mov_b32_e32 v0, 0
	global_load_dwordx2 v[12:13], v0, s[10:11] offset:24 glc
	s_waitcnt vmcnt(0)
	buffer_invl2
	buffer_wbinvl1_vol
	global_load_dwordx2 v[2:3], v0, s[10:11] offset:40
	global_load_dwordx2 v[8:9], v0, s[10:11]
	s_waitcnt vmcnt(1)
	v_and_b32_e32 v1, v2, v12
	v_and_b32_e32 v2, v3, v13
	v_mul_lo_u32 v2, v2, 24
	v_mul_hi_u32 v3, v1, 24
	v_mul_lo_u32 v1, v1, 24
	v_add_u32_e32 v3, v3, v2
	s_waitcnt vmcnt(0)
	v_add_co_u32_e32 v2, vcc, v8, v1
	v_addc_co_u32_e32 v3, vcc, v9, v3, vcc
	global_load_dwordx2 v[10:11], v[2:3], off glc
	s_waitcnt vmcnt(0)
	global_atomic_cmpswap_x2 v[10:11], v0, v[10:13], s[10:11] offset:24 glc
	s_waitcnt vmcnt(0)
	buffer_invl2
	buffer_wbinvl1_vol
	v_cmp_ne_u64_e32 vcc, v[10:11], v[12:13]
	s_and_saveexec_b64 s[12:13], vcc
	s_cbranch_execz .LBB1_257
; %bb.254:
	s_mov_b64 s[14:15], 0
.LBB1_255:                              ; =>This Inner Loop Header: Depth=1
	s_sleep 1
	global_load_dwordx2 v[2:3], v0, s[10:11] offset:40
	global_load_dwordx2 v[8:9], v0, s[10:11]
	v_pk_mov_b32 v[12:13], v[10:11], v[10:11] op_sel:[0,1]
	s_waitcnt vmcnt(1)
	v_and_b32_e32 v2, v2, v12
	v_and_b32_e32 v1, v3, v13
	s_waitcnt vmcnt(0)
	v_mad_u64_u32 v[2:3], s[16:17], v2, 24, v[8:9]
	v_mov_b32_e32 v8, v3
	v_mad_u64_u32 v[8:9], s[16:17], v1, 24, v[8:9]
	v_mov_b32_e32 v3, v8
	global_load_dwordx2 v[10:11], v[2:3], off glc
	s_waitcnt vmcnt(0)
	global_atomic_cmpswap_x2 v[10:11], v0, v[10:13], s[10:11] offset:24 glc
	s_waitcnt vmcnt(0)
	buffer_invl2
	buffer_wbinvl1_vol
	v_cmp_eq_u64_e32 vcc, v[10:11], v[12:13]
	s_or_b64 s[14:15], vcc, s[14:15]
	s_andn2_b64 exec, exec, s[14:15]
	s_cbranch_execnz .LBB1_255
; %bb.256:
	s_or_b64 exec, exec, s[14:15]
.LBB1_257:
	s_or_b64 exec, exec, s[12:13]
.LBB1_258:
	s_or_b64 exec, exec, s[6:7]
	s_waitcnt vmcnt(0)
	v_mov_b32_e32 v9, 0
	global_load_dwordx2 v[12:13], v9, s[10:11] offset:40
	global_load_dwordx4 v[0:3], v9, s[10:11]
	v_readfirstlane_b32 s6, v10
	v_readfirstlane_b32 s7, v11
	s_mov_b64 s[12:13], exec
	s_waitcnt vmcnt(1)
	v_readfirstlane_b32 s14, v12
	v_readfirstlane_b32 s15, v13
	s_and_b64 s[14:15], s[6:7], s[14:15]
	s_mul_i32 s16, s15, 24
	s_mul_hi_u32 s17, s14, 24
	s_mul_i32 s18, s14, 24
	s_add_i32 s16, s17, s16
	v_mov_b32_e32 v8, s16
	s_waitcnt vmcnt(0)
	v_add_co_u32_e32 v10, vcc, s18, v0
	v_addc_co_u32_e32 v11, vcc, v1, v8, vcc
	s_and_saveexec_b64 s[16:17], s[4:5]
	s_cbranch_execz .LBB1_260
; %bb.259:
	v_pk_mov_b32 v[12:13], s[12:13], s[12:13] op_sel:[0,1]
	v_mov_b32_e32 v14, 2
	v_mov_b32_e32 v15, 1
	global_store_dwordx4 v[10:11], v[12:15], off offset:8
.LBB1_260:
	s_or_b64 exec, exec, s[16:17]
	s_lshl_b64 s[12:13], s[14:15], 12
	v_mov_b32_e32 v8, s13
	v_add_co_u32_e32 v2, vcc, s12, v2
	s_movk_i32 s12, 0xff1f
	v_addc_co_u32_e32 v3, vcc, v3, v8, vcc
	v_and_or_b32 v6, v6, s12, 32
	s_mov_b32 s12, 0
	v_mov_b32_e32 v8, 0x331
	v_readfirstlane_b32 s16, v2
	v_readfirstlane_b32 s17, v3
	s_mov_b32 s13, s12
	v_add_co_u32_e32 v12, vcc, v2, v36
	s_mov_b32 s14, s12
	s_mov_b32 s15, s12
	s_nop 0
	global_store_dwordx4 v36, v[6:9], s[16:17]
	v_addc_co_u32_e32 v13, vcc, 0, v3, vcc
	v_pk_mov_b32 v[6:7], s[12:13], s[12:13] op_sel:[0,1]
	v_pk_mov_b32 v[8:9], s[14:15], s[14:15] op_sel:[0,1]
	global_store_dwordx4 v36, v[6:9], s[16:17] offset:16
	global_store_dwordx4 v36, v[6:9], s[16:17] offset:32
	;; [unrolled: 1-line block ×3, first 2 shown]
	s_and_saveexec_b64 s[12:13], s[4:5]
	s_cbranch_execz .LBB1_268
; %bb.261:
	v_mov_b32_e32 v8, 0
	global_load_dwordx2 v[16:17], v8, s[10:11] offset:32 glc
	global_load_dwordx2 v[2:3], v8, s[10:11] offset:40
	v_mov_b32_e32 v14, s6
	v_mov_b32_e32 v15, s7
	s_waitcnt vmcnt(0)
	v_readfirstlane_b32 s14, v2
	v_readfirstlane_b32 s15, v3
	s_and_b64 s[14:15], s[14:15], s[6:7]
	s_mul_i32 s15, s15, 24
	s_mul_hi_u32 s16, s14, 24
	s_mul_i32 s14, s14, 24
	s_add_i32 s15, s16, s15
	v_mov_b32_e32 v2, s15
	v_add_co_u32_e32 v6, vcc, s14, v0
	v_addc_co_u32_e32 v7, vcc, v1, v2, vcc
	global_store_dwordx2 v[6:7], v[16:17], off
	buffer_wbl2
	s_waitcnt vmcnt(0)
	global_atomic_cmpswap_x2 v[2:3], v8, v[14:17], s[10:11] offset:32 glc
	s_waitcnt vmcnt(0)
	v_cmp_ne_u64_e32 vcc, v[2:3], v[16:17]
	s_and_saveexec_b64 s[14:15], vcc
	s_cbranch_execz .LBB1_264
; %bb.262:
	s_mov_b64 s[16:17], 0
.LBB1_263:                              ; =>This Inner Loop Header: Depth=1
	s_sleep 1
	global_store_dwordx2 v[6:7], v[2:3], off
	v_mov_b32_e32 v0, s6
	v_mov_b32_e32 v1, s7
	buffer_wbl2
	s_waitcnt vmcnt(0)
	global_atomic_cmpswap_x2 v[0:1], v8, v[0:3], s[10:11] offset:32 glc
	s_waitcnt vmcnt(0)
	v_cmp_eq_u64_e32 vcc, v[0:1], v[2:3]
	s_or_b64 s[16:17], vcc, s[16:17]
	v_pk_mov_b32 v[2:3], v[0:1], v[0:1] op_sel:[0,1]
	s_andn2_b64 exec, exec, s[16:17]
	s_cbranch_execnz .LBB1_263
.LBB1_264:
	s_or_b64 exec, exec, s[14:15]
	v_mov_b32_e32 v3, 0
	global_load_dwordx2 v[0:1], v3, s[10:11] offset:16
	s_mov_b64 s[14:15], exec
	v_mbcnt_lo_u32_b32 v2, s14, 0
	v_mbcnt_hi_u32_b32 v2, s15, v2
	v_cmp_eq_u32_e32 vcc, 0, v2
	s_and_saveexec_b64 s[16:17], vcc
	s_cbranch_execz .LBB1_266
; %bb.265:
	s_bcnt1_i32_b64 s14, s[14:15]
	v_mov_b32_e32 v2, s14
	buffer_wbl2
	s_waitcnt vmcnt(0)
	global_atomic_add_x2 v[0:1], v[2:3], off offset:8
.LBB1_266:
	s_or_b64 exec, exec, s[16:17]
	s_waitcnt vmcnt(0)
	global_load_dwordx2 v[2:3], v[0:1], off offset:16
	s_waitcnt vmcnt(0)
	v_cmp_eq_u64_e32 vcc, 0, v[2:3]
	s_cbranch_vccnz .LBB1_268
; %bb.267:
	global_load_dword v0, v[0:1], off offset:24
	v_mov_b32_e32 v1, 0
	buffer_wbl2
	s_waitcnt vmcnt(0)
	global_store_dwordx2 v[2:3], v[0:1], off
	v_and_b32_e32 v0, 0xffffff, v0
	v_readfirstlane_b32 m0, v0
	s_sendmsg sendmsg(MSG_INTERRUPT)
.LBB1_268:
	s_or_b64 exec, exec, s[12:13]
	s_branch .LBB1_272
.LBB1_269:                              ;   in Loop: Header=BB1_272 Depth=1
	s_or_b64 exec, exec, s[12:13]
	v_readfirstlane_b32 s12, v0
	s_cmp_eq_u32 s12, 0
	s_cbranch_scc1 .LBB1_271
; %bb.270:                              ;   in Loop: Header=BB1_272 Depth=1
	s_sleep 1
	s_cbranch_execnz .LBB1_272
	s_branch .LBB1_274
.LBB1_271:
	s_branch .LBB1_274
.LBB1_272:                              ; =>This Inner Loop Header: Depth=1
	v_mov_b32_e32 v0, 1
	s_and_saveexec_b64 s[12:13], s[4:5]
	s_cbranch_execz .LBB1_269
; %bb.273:                              ;   in Loop: Header=BB1_272 Depth=1
	global_load_dword v0, v[10:11], off offset:20 glc
	s_waitcnt vmcnt(0)
	buffer_invl2
	buffer_wbinvl1_vol
	v_and_b32_e32 v0, 1, v0
	s_branch .LBB1_269
.LBB1_274:
	global_load_dwordx2 v[0:1], v[12:13], off
	s_and_saveexec_b64 s[12:13], s[4:5]
	s_cbranch_execz .LBB1_277
; %bb.275:
	v_mov_b32_e32 v10, 0
	global_load_dwordx2 v[2:3], v10, s[10:11] offset:40
	global_load_dwordx2 v[12:13], v10, s[10:11] offset:24 glc
	global_load_dwordx2 v[14:15], v10, s[10:11]
	v_mov_b32_e32 v7, s7
	s_mov_b64 s[4:5], 0
	s_waitcnt vmcnt(2)
	v_add_co_u32_e32 v9, vcc, 1, v2
	v_addc_co_u32_e32 v11, vcc, 0, v3, vcc
	v_add_co_u32_e32 v6, vcc, s6, v9
	v_addc_co_u32_e32 v7, vcc, v11, v7, vcc
	v_cmp_eq_u64_e32 vcc, 0, v[6:7]
	v_cndmask_b32_e32 v7, v7, v11, vcc
	v_cndmask_b32_e32 v6, v6, v9, vcc
	v_and_b32_e32 v3, v7, v3
	v_and_b32_e32 v2, v6, v2
	v_mul_lo_u32 v3, v3, 24
	v_mul_hi_u32 v9, v2, 24
	v_mul_lo_u32 v2, v2, 24
	v_add_u32_e32 v3, v9, v3
	s_waitcnt vmcnt(0)
	v_add_co_u32_e32 v2, vcc, v14, v2
	v_addc_co_u32_e32 v3, vcc, v15, v3, vcc
	v_mov_b32_e32 v8, v12
	global_store_dwordx2 v[2:3], v[12:13], off
	v_mov_b32_e32 v9, v13
	buffer_wbl2
	s_waitcnt vmcnt(0)
	global_atomic_cmpswap_x2 v[8:9], v10, v[6:9], s[10:11] offset:24 glc
	s_waitcnt vmcnt(0)
	v_cmp_ne_u64_e32 vcc, v[8:9], v[12:13]
	s_and_b64 exec, exec, vcc
	s_cbranch_execz .LBB1_277
.LBB1_276:                              ; =>This Inner Loop Header: Depth=1
	s_sleep 1
	global_store_dwordx2 v[2:3], v[8:9], off
	buffer_wbl2
	s_waitcnt vmcnt(0)
	global_atomic_cmpswap_x2 v[12:13], v10, v[6:9], s[10:11] offset:24 glc
	s_waitcnt vmcnt(0)
	v_cmp_eq_u64_e32 vcc, v[12:13], v[8:9]
	s_or_b64 s[4:5], vcc, s[4:5]
	v_pk_mov_b32 v[8:9], v[12:13], v[12:13] op_sel:[0,1]
	s_andn2_b64 exec, exec, s[4:5]
	s_cbranch_execnz .LBB1_276
.LBB1_277:
	s_or_b64 exec, exec, s[12:13]
	s_mov_b64 s[4:5], 0
	v_pk_mov_b32 v[6:7], v[4:5], v[4:5] op_sel:[0,1]
.LBB1_278:                              ; =>This Inner Loop Header: Depth=1
	flat_load_ubyte v8, v[6:7]
	v_add_co_u32_e32 v2, vcc, 1, v6
	v_addc_co_u32_e32 v3, vcc, 0, v7, vcc
	v_pk_mov_b32 v[6:7], v[2:3], v[2:3] op_sel:[0,1]
	s_waitcnt vmcnt(0) lgkmcnt(0)
	v_cmp_eq_u16_e32 vcc, 0, v8
	s_or_b64 s[4:5], vcc, s[4:5]
	s_andn2_b64 exec, exec, s[4:5]
	s_cbranch_execnz .LBB1_278
; %bb.279:
	s_or_b64 exec, exec, s[4:5]
	s_mov_b64 s[6:7], 0
	v_cmp_ne_u64_e32 vcc, 0, v[4:5]
	s_and_saveexec_b64 s[4:5], vcc
	s_xor_b64 s[12:13], exec, s[4:5]
	s_cbranch_execz .LBB1_365
; %bb.280:
	v_sub_u32_e32 v26, v2, v4
	v_ashrrev_i32_e32 v27, 31, v26
	v_and_b32_e32 v28, 2, v0
	v_mov_b32_e32 v31, 0
	v_and_b32_e32 v0, -3, v0
	s_mov_b32 s22, 0
	s_movk_i32 s23, 0xff1f
	v_mov_b32_e32 v8, 2
	v_mov_b32_e32 v9, 1
	s_branch .LBB1_282
.LBB1_281:                              ;   in Loop: Header=BB1_282 Depth=1
	s_or_b64 exec, exec, s[16:17]
	v_sub_co_u32_e32 v26, vcc, v26, v32
	v_subb_co_u32_e32 v27, vcc, v27, v33, vcc
	v_cmp_eq_u64_e32 vcc, 0, v[26:27]
	s_or_b64 s[6:7], vcc, s[6:7]
	v_add_co_u32_e32 v4, vcc, v4, v32
	v_addc_co_u32_e32 v5, vcc, v5, v33, vcc
	s_andn2_b64 exec, exec, s[6:7]
	s_cbranch_execz .LBB1_364
.LBB1_282:                              ; =>This Loop Header: Depth=1
                                        ;     Child Loop BB1_285 Depth 2
                                        ;     Child Loop BB1_293 Depth 2
                                        ;     Child Loop BB1_301 Depth 2
                                        ;     Child Loop BB1_309 Depth 2
                                        ;     Child Loop BB1_317 Depth 2
                                        ;     Child Loop BB1_325 Depth 2
                                        ;     Child Loop BB1_333 Depth 2
                                        ;     Child Loop BB1_341 Depth 2
                                        ;     Child Loop BB1_349 Depth 2
                                        ;     Child Loop BB1_358 Depth 2
                                        ;     Child Loop BB1_363 Depth 2
	v_cmp_gt_u64_e32 vcc, 56, v[26:27]
	v_cndmask_b32_e32 v33, 0, v27, vcc
	v_cndmask_b32_e32 v32, 56, v26, vcc
	v_cmp_gt_u64_e32 vcc, 8, v[26:27]
                                        ; implicit-def: $vgpr2_vgpr3
                                        ; implicit-def: $sgpr14
	s_and_saveexec_b64 s[4:5], vcc
	s_xor_b64 s[4:5], exec, s[4:5]
	s_cbranch_execz .LBB1_288
; %bb.283:                              ;   in Loop: Header=BB1_282 Depth=1
	s_mov_b64 s[16:17], 0
	v_cmp_ne_u64_e32 vcc, 0, v[26:27]
	s_waitcnt vmcnt(0)
	v_pk_mov_b32 v[2:3], 0, 0
	s_and_saveexec_b64 s[14:15], vcc
	s_cbranch_execz .LBB1_287
; %bb.284:                              ;   in Loop: Header=BB1_282 Depth=1
	v_lshlrev_b64 v[6:7], 3, v[32:33]
	v_pk_mov_b32 v[2:3], 0, 0
	v_pk_mov_b32 v[10:11], v[4:5], v[4:5] op_sel:[0,1]
	s_mov_b64 s[18:19], 0
.LBB1_285:                              ;   Parent Loop BB1_282 Depth=1
                                        ; =>  This Inner Loop Header: Depth=2
	flat_load_ubyte v7, v[10:11]
	v_mov_b32_e32 v13, s22
	v_add_co_u32_e32 v10, vcc, 1, v10
	v_addc_co_u32_e32 v11, vcc, 0, v11, vcc
	s_waitcnt vmcnt(0) lgkmcnt(0)
	v_and_b32_e32 v12, 0xffff, v7
	v_lshlrev_b64 v[12:13], s18, v[12:13]
	s_add_u32 s18, s18, 8
	s_addc_u32 s19, s19, 0
	v_cmp_eq_u32_e32 vcc, s18, v6
	v_or_b32_e32 v3, v13, v3
	s_or_b64 s[16:17], vcc, s[16:17]
	v_or_b32_e32 v2, v12, v2
	s_andn2_b64 exec, exec, s[16:17]
	s_cbranch_execnz .LBB1_285
; %bb.286:                              ;   in Loop: Header=BB1_282 Depth=1
	s_or_b64 exec, exec, s[16:17]
.LBB1_287:                              ;   in Loop: Header=BB1_282 Depth=1
	s_or_b64 exec, exec, s[14:15]
	s_mov_b32 s14, 0
.LBB1_288:                              ;   in Loop: Header=BB1_282 Depth=1
	s_or_saveexec_b64 s[4:5], s[4:5]
	v_mov_b32_e32 v12, s14
	v_pk_mov_b32 v[6:7], v[4:5], v[4:5] op_sel:[0,1]
	s_xor_b64 exec, exec, s[4:5]
	s_cbranch_execz .LBB1_290
; %bb.289:                              ;   in Loop: Header=BB1_282 Depth=1
	s_waitcnt vmcnt(0)
	flat_load_dwordx2 v[2:3], v[4:5]
	v_add_u32_e32 v12, -8, v32
	s_waitcnt vmcnt(0) lgkmcnt(0)
	v_and_b32_e32 v6, 0xff, v3
	v_and_b32_e32 v7, 0xff00, v3
	;; [unrolled: 1-line block ×4, first 2 shown]
	v_or_b32_e32 v6, v6, v7
	v_or3_b32 v3, v6, v10, v3
	v_add_co_u32_e32 v6, vcc, 8, v4
	v_or3_b32 v2, v2, 0, 0
	v_addc_co_u32_e32 v7, vcc, 0, v5, vcc
.LBB1_290:                              ;   in Loop: Header=BB1_282 Depth=1
	s_or_b64 exec, exec, s[4:5]
	v_cmp_gt_u32_e32 vcc, 8, v12
                                        ; implicit-def: $vgpr10_vgpr11
                                        ; implicit-def: $sgpr14
	s_and_saveexec_b64 s[4:5], vcc
	s_xor_b64 s[4:5], exec, s[4:5]
	s_cbranch_execz .LBB1_296
; %bb.291:                              ;   in Loop: Header=BB1_282 Depth=1
	v_cmp_ne_u32_e32 vcc, 0, v12
	v_pk_mov_b32 v[10:11], 0, 0
	s_and_saveexec_b64 s[14:15], vcc
	s_cbranch_execz .LBB1_295
; %bb.292:                              ;   in Loop: Header=BB1_282 Depth=1
	s_mov_b64 s[16:17], 0
	v_pk_mov_b32 v[10:11], 0, 0
	s_mov_b64 s[18:19], 0
	s_mov_b64 s[20:21], 0
.LBB1_293:                              ;   Parent Loop BB1_282 Depth=1
                                        ; =>  This Inner Loop Header: Depth=2
	v_mov_b32_e32 v13, s21
	v_add_co_u32_e32 v14, vcc, s20, v6
	v_addc_co_u32_e32 v15, vcc, v7, v13, vcc
	flat_load_ubyte v13, v[14:15]
	s_add_u32 s20, s20, 1
	v_mov_b32_e32 v15, s22
	s_addc_u32 s21, s21, 0
	v_cmp_eq_u32_e32 vcc, s20, v12
	s_waitcnt vmcnt(0) lgkmcnt(0)
	v_and_b32_e32 v14, 0xffff, v13
	v_lshlrev_b64 v[14:15], s18, v[14:15]
	s_add_u32 s18, s18, 8
	s_addc_u32 s19, s19, 0
	v_or_b32_e32 v11, v15, v11
	s_or_b64 s[16:17], vcc, s[16:17]
	v_or_b32_e32 v10, v14, v10
	s_andn2_b64 exec, exec, s[16:17]
	s_cbranch_execnz .LBB1_293
; %bb.294:                              ;   in Loop: Header=BB1_282 Depth=1
	s_or_b64 exec, exec, s[16:17]
.LBB1_295:                              ;   in Loop: Header=BB1_282 Depth=1
	s_or_b64 exec, exec, s[14:15]
	s_mov_b32 s14, 0
                                        ; implicit-def: $vgpr12
.LBB1_296:                              ;   in Loop: Header=BB1_282 Depth=1
	s_or_saveexec_b64 s[4:5], s[4:5]
	v_mov_b32_e32 v14, s14
	s_xor_b64 exec, exec, s[4:5]
	s_cbranch_execz .LBB1_298
; %bb.297:                              ;   in Loop: Header=BB1_282 Depth=1
	flat_load_dwordx2 v[10:11], v[6:7]
	v_add_u32_e32 v14, -8, v12
	v_add_co_u32_e32 v6, vcc, 8, v6
	v_addc_co_u32_e32 v7, vcc, 0, v7, vcc
	s_waitcnt vmcnt(0) lgkmcnt(0)
	v_and_b32_e32 v12, 0xff, v11
	v_and_b32_e32 v13, 0xff00, v11
	;; [unrolled: 1-line block ×4, first 2 shown]
	v_or_b32_e32 v12, v12, v13
	v_or3_b32 v10, v10, 0, 0
	v_or3_b32 v11, v12, v15, v11
.LBB1_298:                              ;   in Loop: Header=BB1_282 Depth=1
	s_or_b64 exec, exec, s[4:5]
	v_cmp_gt_u32_e32 vcc, 8, v14
                                        ; implicit-def: $sgpr14
	s_and_saveexec_b64 s[4:5], vcc
	s_xor_b64 s[4:5], exec, s[4:5]
	s_cbranch_execz .LBB1_304
; %bb.299:                              ;   in Loop: Header=BB1_282 Depth=1
	v_cmp_ne_u32_e32 vcc, 0, v14
	v_pk_mov_b32 v[12:13], 0, 0
	s_and_saveexec_b64 s[14:15], vcc
	s_cbranch_execz .LBB1_303
; %bb.300:                              ;   in Loop: Header=BB1_282 Depth=1
	s_mov_b64 s[16:17], 0
	v_pk_mov_b32 v[12:13], 0, 0
	s_mov_b64 s[18:19], 0
	s_mov_b64 s[20:21], 0
.LBB1_301:                              ;   Parent Loop BB1_282 Depth=1
                                        ; =>  This Inner Loop Header: Depth=2
	v_mov_b32_e32 v15, s21
	v_add_co_u32_e32 v16, vcc, s20, v6
	v_addc_co_u32_e32 v17, vcc, v7, v15, vcc
	flat_load_ubyte v15, v[16:17]
	s_add_u32 s20, s20, 1
	v_mov_b32_e32 v17, s22
	s_addc_u32 s21, s21, 0
	v_cmp_eq_u32_e32 vcc, s20, v14
	s_waitcnt vmcnt(0) lgkmcnt(0)
	v_and_b32_e32 v16, 0xffff, v15
	v_lshlrev_b64 v[16:17], s18, v[16:17]
	s_add_u32 s18, s18, 8
	s_addc_u32 s19, s19, 0
	v_or_b32_e32 v13, v17, v13
	s_or_b64 s[16:17], vcc, s[16:17]
	v_or_b32_e32 v12, v16, v12
	s_andn2_b64 exec, exec, s[16:17]
	s_cbranch_execnz .LBB1_301
; %bb.302:                              ;   in Loop: Header=BB1_282 Depth=1
	s_or_b64 exec, exec, s[16:17]
.LBB1_303:                              ;   in Loop: Header=BB1_282 Depth=1
	s_or_b64 exec, exec, s[14:15]
	s_mov_b32 s14, 0
                                        ; implicit-def: $vgpr14
.LBB1_304:                              ;   in Loop: Header=BB1_282 Depth=1
	s_or_saveexec_b64 s[4:5], s[4:5]
	v_mov_b32_e32 v16, s14
	s_xor_b64 exec, exec, s[4:5]
	s_cbranch_execz .LBB1_306
; %bb.305:                              ;   in Loop: Header=BB1_282 Depth=1
	flat_load_dwordx2 v[12:13], v[6:7]
	v_add_u32_e32 v16, -8, v14
	v_add_co_u32_e32 v6, vcc, 8, v6
	v_addc_co_u32_e32 v7, vcc, 0, v7, vcc
	s_waitcnt vmcnt(0) lgkmcnt(0)
	v_and_b32_e32 v14, 0xff, v13
	v_and_b32_e32 v15, 0xff00, v13
	;; [unrolled: 1-line block ×4, first 2 shown]
	v_or_b32_e32 v14, v14, v15
	v_or3_b32 v12, v12, 0, 0
	v_or3_b32 v13, v14, v17, v13
.LBB1_306:                              ;   in Loop: Header=BB1_282 Depth=1
	s_or_b64 exec, exec, s[4:5]
	v_cmp_gt_u32_e32 vcc, 8, v16
                                        ; implicit-def: $vgpr14_vgpr15
                                        ; implicit-def: $sgpr14
	s_and_saveexec_b64 s[4:5], vcc
	s_xor_b64 s[4:5], exec, s[4:5]
	s_cbranch_execz .LBB1_312
; %bb.307:                              ;   in Loop: Header=BB1_282 Depth=1
	v_cmp_ne_u32_e32 vcc, 0, v16
	v_pk_mov_b32 v[14:15], 0, 0
	s_and_saveexec_b64 s[14:15], vcc
	s_cbranch_execz .LBB1_311
; %bb.308:                              ;   in Loop: Header=BB1_282 Depth=1
	s_mov_b64 s[16:17], 0
	v_pk_mov_b32 v[14:15], 0, 0
	s_mov_b64 s[18:19], 0
	s_mov_b64 s[20:21], 0
.LBB1_309:                              ;   Parent Loop BB1_282 Depth=1
                                        ; =>  This Inner Loop Header: Depth=2
	v_mov_b32_e32 v17, s21
	v_add_co_u32_e32 v18, vcc, s20, v6
	v_addc_co_u32_e32 v19, vcc, v7, v17, vcc
	flat_load_ubyte v17, v[18:19]
	s_add_u32 s20, s20, 1
	v_mov_b32_e32 v19, s22
	s_addc_u32 s21, s21, 0
	v_cmp_eq_u32_e32 vcc, s20, v16
	s_waitcnt vmcnt(0) lgkmcnt(0)
	v_and_b32_e32 v18, 0xffff, v17
	v_lshlrev_b64 v[18:19], s18, v[18:19]
	s_add_u32 s18, s18, 8
	s_addc_u32 s19, s19, 0
	v_or_b32_e32 v15, v19, v15
	s_or_b64 s[16:17], vcc, s[16:17]
	v_or_b32_e32 v14, v18, v14
	s_andn2_b64 exec, exec, s[16:17]
	s_cbranch_execnz .LBB1_309
; %bb.310:                              ;   in Loop: Header=BB1_282 Depth=1
	s_or_b64 exec, exec, s[16:17]
.LBB1_311:                              ;   in Loop: Header=BB1_282 Depth=1
	s_or_b64 exec, exec, s[14:15]
	s_mov_b32 s14, 0
                                        ; implicit-def: $vgpr16
.LBB1_312:                              ;   in Loop: Header=BB1_282 Depth=1
	s_or_saveexec_b64 s[4:5], s[4:5]
	v_mov_b32_e32 v18, s14
	s_xor_b64 exec, exec, s[4:5]
	s_cbranch_execz .LBB1_314
; %bb.313:                              ;   in Loop: Header=BB1_282 Depth=1
	flat_load_dwordx2 v[14:15], v[6:7]
	v_add_u32_e32 v18, -8, v16
	v_add_co_u32_e32 v6, vcc, 8, v6
	v_addc_co_u32_e32 v7, vcc, 0, v7, vcc
	s_waitcnt vmcnt(0) lgkmcnt(0)
	v_and_b32_e32 v16, 0xff, v15
	v_and_b32_e32 v17, 0xff00, v15
	;; [unrolled: 1-line block ×4, first 2 shown]
	v_or_b32_e32 v16, v16, v17
	v_or3_b32 v14, v14, 0, 0
	v_or3_b32 v15, v16, v19, v15
.LBB1_314:                              ;   in Loop: Header=BB1_282 Depth=1
	s_or_b64 exec, exec, s[4:5]
	v_cmp_gt_u32_e32 vcc, 8, v18
                                        ; implicit-def: $sgpr14
	s_and_saveexec_b64 s[4:5], vcc
	s_xor_b64 s[4:5], exec, s[4:5]
	s_cbranch_execz .LBB1_320
; %bb.315:                              ;   in Loop: Header=BB1_282 Depth=1
	v_cmp_ne_u32_e32 vcc, 0, v18
	v_pk_mov_b32 v[16:17], 0, 0
	s_and_saveexec_b64 s[14:15], vcc
	s_cbranch_execz .LBB1_319
; %bb.316:                              ;   in Loop: Header=BB1_282 Depth=1
	s_mov_b64 s[16:17], 0
	v_pk_mov_b32 v[16:17], 0, 0
	s_mov_b64 s[18:19], 0
	s_mov_b64 s[20:21], 0
.LBB1_317:                              ;   Parent Loop BB1_282 Depth=1
                                        ; =>  This Inner Loop Header: Depth=2
	v_mov_b32_e32 v19, s21
	v_add_co_u32_e32 v20, vcc, s20, v6
	v_addc_co_u32_e32 v21, vcc, v7, v19, vcc
	flat_load_ubyte v19, v[20:21]
	s_add_u32 s20, s20, 1
	v_mov_b32_e32 v21, s22
	s_addc_u32 s21, s21, 0
	v_cmp_eq_u32_e32 vcc, s20, v18
	s_waitcnt vmcnt(0) lgkmcnt(0)
	v_and_b32_e32 v20, 0xffff, v19
	v_lshlrev_b64 v[20:21], s18, v[20:21]
	s_add_u32 s18, s18, 8
	s_addc_u32 s19, s19, 0
	v_or_b32_e32 v17, v21, v17
	s_or_b64 s[16:17], vcc, s[16:17]
	v_or_b32_e32 v16, v20, v16
	s_andn2_b64 exec, exec, s[16:17]
	s_cbranch_execnz .LBB1_317
; %bb.318:                              ;   in Loop: Header=BB1_282 Depth=1
	s_or_b64 exec, exec, s[16:17]
.LBB1_319:                              ;   in Loop: Header=BB1_282 Depth=1
	s_or_b64 exec, exec, s[14:15]
	s_mov_b32 s14, 0
                                        ; implicit-def: $vgpr18
.LBB1_320:                              ;   in Loop: Header=BB1_282 Depth=1
	s_or_saveexec_b64 s[4:5], s[4:5]
	v_mov_b32_e32 v20, s14
	s_xor_b64 exec, exec, s[4:5]
	s_cbranch_execz .LBB1_322
; %bb.321:                              ;   in Loop: Header=BB1_282 Depth=1
	flat_load_dwordx2 v[16:17], v[6:7]
	v_add_u32_e32 v20, -8, v18
	v_add_co_u32_e32 v6, vcc, 8, v6
	v_addc_co_u32_e32 v7, vcc, 0, v7, vcc
	s_waitcnt vmcnt(0) lgkmcnt(0)
	v_and_b32_e32 v18, 0xff, v17
	v_and_b32_e32 v19, 0xff00, v17
	;; [unrolled: 1-line block ×4, first 2 shown]
	v_or_b32_e32 v18, v18, v19
	v_or3_b32 v16, v16, 0, 0
	v_or3_b32 v17, v18, v21, v17
.LBB1_322:                              ;   in Loop: Header=BB1_282 Depth=1
	s_or_b64 exec, exec, s[4:5]
	v_cmp_gt_u32_e32 vcc, 8, v20
                                        ; implicit-def: $vgpr18_vgpr19
                                        ; implicit-def: $sgpr14
	s_and_saveexec_b64 s[4:5], vcc
	s_xor_b64 s[4:5], exec, s[4:5]
	s_cbranch_execz .LBB1_328
; %bb.323:                              ;   in Loop: Header=BB1_282 Depth=1
	v_cmp_ne_u32_e32 vcc, 0, v20
	v_pk_mov_b32 v[18:19], 0, 0
	s_and_saveexec_b64 s[14:15], vcc
	s_cbranch_execz .LBB1_327
; %bb.324:                              ;   in Loop: Header=BB1_282 Depth=1
	s_mov_b64 s[16:17], 0
	v_pk_mov_b32 v[18:19], 0, 0
	s_mov_b64 s[18:19], 0
	s_mov_b64 s[20:21], 0
.LBB1_325:                              ;   Parent Loop BB1_282 Depth=1
                                        ; =>  This Inner Loop Header: Depth=2
	v_mov_b32_e32 v21, s21
	v_add_co_u32_e32 v22, vcc, s20, v6
	v_addc_co_u32_e32 v23, vcc, v7, v21, vcc
	flat_load_ubyte v21, v[22:23]
	s_add_u32 s20, s20, 1
	v_mov_b32_e32 v23, s22
	s_addc_u32 s21, s21, 0
	v_cmp_eq_u32_e32 vcc, s20, v20
	s_waitcnt vmcnt(0) lgkmcnt(0)
	v_and_b32_e32 v22, 0xffff, v21
	v_lshlrev_b64 v[22:23], s18, v[22:23]
	s_add_u32 s18, s18, 8
	s_addc_u32 s19, s19, 0
	v_or_b32_e32 v19, v23, v19
	s_or_b64 s[16:17], vcc, s[16:17]
	v_or_b32_e32 v18, v22, v18
	s_andn2_b64 exec, exec, s[16:17]
	s_cbranch_execnz .LBB1_325
; %bb.326:                              ;   in Loop: Header=BB1_282 Depth=1
	s_or_b64 exec, exec, s[16:17]
.LBB1_327:                              ;   in Loop: Header=BB1_282 Depth=1
	s_or_b64 exec, exec, s[14:15]
	s_mov_b32 s14, 0
                                        ; implicit-def: $vgpr20
.LBB1_328:                              ;   in Loop: Header=BB1_282 Depth=1
	s_or_saveexec_b64 s[4:5], s[4:5]
	v_mov_b32_e32 v22, s14
	s_xor_b64 exec, exec, s[4:5]
	s_cbranch_execz .LBB1_330
; %bb.329:                              ;   in Loop: Header=BB1_282 Depth=1
	flat_load_dwordx2 v[18:19], v[6:7]
	v_add_u32_e32 v22, -8, v20
	v_add_co_u32_e32 v6, vcc, 8, v6
	v_addc_co_u32_e32 v7, vcc, 0, v7, vcc
	s_waitcnt vmcnt(0) lgkmcnt(0)
	v_and_b32_e32 v20, 0xff, v19
	v_and_b32_e32 v21, 0xff00, v19
	;; [unrolled: 1-line block ×4, first 2 shown]
	v_or_b32_e32 v20, v20, v21
	v_or3_b32 v18, v18, 0, 0
	v_or3_b32 v19, v20, v23, v19
.LBB1_330:                              ;   in Loop: Header=BB1_282 Depth=1
	s_or_b64 exec, exec, s[4:5]
	v_cmp_gt_u32_e32 vcc, 8, v22
	s_and_saveexec_b64 s[4:5], vcc
	s_xor_b64 s[4:5], exec, s[4:5]
	s_cbranch_execz .LBB1_336
; %bb.331:                              ;   in Loop: Header=BB1_282 Depth=1
	v_cmp_ne_u32_e32 vcc, 0, v22
	v_pk_mov_b32 v[20:21], 0, 0
	s_and_saveexec_b64 s[14:15], vcc
	s_cbranch_execz .LBB1_335
; %bb.332:                              ;   in Loop: Header=BB1_282 Depth=1
	s_mov_b64 s[16:17], 0
	v_pk_mov_b32 v[20:21], 0, 0
	s_mov_b64 s[18:19], 0
.LBB1_333:                              ;   Parent Loop BB1_282 Depth=1
                                        ; =>  This Inner Loop Header: Depth=2
	flat_load_ubyte v23, v[6:7]
	v_mov_b32_e32 v25, s22
	v_add_co_u32_e32 v6, vcc, 1, v6
	v_add_u32_e32 v22, -1, v22
	v_addc_co_u32_e32 v7, vcc, 0, v7, vcc
	v_cmp_eq_u32_e32 vcc, 0, v22
	s_waitcnt vmcnt(0) lgkmcnt(0)
	v_and_b32_e32 v24, 0xffff, v23
	v_lshlrev_b64 v[24:25], s18, v[24:25]
	s_add_u32 s18, s18, 8
	s_addc_u32 s19, s19, 0
	v_or_b32_e32 v21, v25, v21
	s_or_b64 s[16:17], vcc, s[16:17]
	v_or_b32_e32 v20, v24, v20
	s_andn2_b64 exec, exec, s[16:17]
	s_cbranch_execnz .LBB1_333
; %bb.334:                              ;   in Loop: Header=BB1_282 Depth=1
	s_or_b64 exec, exec, s[16:17]
.LBB1_335:                              ;   in Loop: Header=BB1_282 Depth=1
	s_or_b64 exec, exec, s[14:15]
                                        ; implicit-def: $vgpr6_vgpr7
.LBB1_336:                              ;   in Loop: Header=BB1_282 Depth=1
	s_andn2_saveexec_b64 s[4:5], s[4:5]
	s_cbranch_execz .LBB1_338
; %bb.337:                              ;   in Loop: Header=BB1_282 Depth=1
	flat_load_dwordx2 v[6:7], v[6:7]
	s_waitcnt vmcnt(0) lgkmcnt(0)
	v_and_b32_e32 v20, 0xff, v7
	v_and_b32_e32 v21, 0xff00, v7
	;; [unrolled: 1-line block ×4, first 2 shown]
	v_or_b32_e32 v20, v20, v21
	v_or3_b32 v21, v20, v22, v7
	v_or3_b32 v20, v6, 0, 0
.LBB1_338:                              ;   in Loop: Header=BB1_282 Depth=1
	s_or_b64 exec, exec, s[4:5]
	v_readfirstlane_b32 s4, v37
	v_cmp_eq_u32_e64 s[4:5], s4, v37
	v_pk_mov_b32 v[6:7], 0, 0
	s_and_saveexec_b64 s[14:15], s[4:5]
	s_cbranch_execz .LBB1_344
; %bb.339:                              ;   in Loop: Header=BB1_282 Depth=1
	global_load_dwordx2 v[24:25], v31, s[10:11] offset:24 glc
	s_waitcnt vmcnt(0)
	buffer_invl2
	buffer_wbinvl1_vol
	global_load_dwordx2 v[6:7], v31, s[10:11] offset:40
	global_load_dwordx2 v[22:23], v31, s[10:11]
	s_waitcnt vmcnt(1)
	v_and_b32_e32 v6, v6, v24
	v_and_b32_e32 v7, v7, v25
	v_mul_lo_u32 v7, v7, 24
	v_mul_hi_u32 v29, v6, 24
	v_mul_lo_u32 v6, v6, 24
	v_add_u32_e32 v7, v29, v7
	s_waitcnt vmcnt(0)
	v_add_co_u32_e32 v6, vcc, v22, v6
	v_addc_co_u32_e32 v7, vcc, v23, v7, vcc
	global_load_dwordx2 v[22:23], v[6:7], off glc
	s_waitcnt vmcnt(0)
	global_atomic_cmpswap_x2 v[6:7], v31, v[22:25], s[10:11] offset:24 glc
	s_waitcnt vmcnt(0)
	buffer_invl2
	buffer_wbinvl1_vol
	v_cmp_ne_u64_e32 vcc, v[6:7], v[24:25]
	s_and_saveexec_b64 s[16:17], vcc
	s_cbranch_execz .LBB1_343
; %bb.340:                              ;   in Loop: Header=BB1_282 Depth=1
	s_mov_b64 s[18:19], 0
.LBB1_341:                              ;   Parent Loop BB1_282 Depth=1
                                        ; =>  This Inner Loop Header: Depth=2
	s_sleep 1
	global_load_dwordx2 v[22:23], v31, s[10:11] offset:40
	global_load_dwordx2 v[34:35], v31, s[10:11]
	v_pk_mov_b32 v[24:25], v[6:7], v[6:7] op_sel:[0,1]
	s_waitcnt vmcnt(1)
	v_and_b32_e32 v6, v22, v24
	s_waitcnt vmcnt(0)
	v_mad_u64_u32 v[6:7], s[20:21], v6, 24, v[34:35]
	v_and_b32_e32 v23, v23, v25
	v_mov_b32_e32 v22, v7
	v_mad_u64_u32 v[22:23], s[20:21], v23, 24, v[22:23]
	v_mov_b32_e32 v7, v22
	global_load_dwordx2 v[22:23], v[6:7], off glc
	s_waitcnt vmcnt(0)
	global_atomic_cmpswap_x2 v[6:7], v31, v[22:25], s[10:11] offset:24 glc
	s_waitcnt vmcnt(0)
	buffer_invl2
	buffer_wbinvl1_vol
	v_cmp_eq_u64_e32 vcc, v[6:7], v[24:25]
	s_or_b64 s[18:19], vcc, s[18:19]
	s_andn2_b64 exec, exec, s[18:19]
	s_cbranch_execnz .LBB1_341
; %bb.342:                              ;   in Loop: Header=BB1_282 Depth=1
	s_or_b64 exec, exec, s[18:19]
.LBB1_343:                              ;   in Loop: Header=BB1_282 Depth=1
	s_or_b64 exec, exec, s[16:17]
.LBB1_344:                              ;   in Loop: Header=BB1_282 Depth=1
	s_or_b64 exec, exec, s[14:15]
	global_load_dwordx2 v[34:35], v31, s[10:11] offset:40
	global_load_dwordx4 v[22:25], v31, s[10:11]
	v_readfirstlane_b32 s14, v6
	v_readfirstlane_b32 s15, v7
	s_mov_b64 s[16:17], exec
	s_waitcnt vmcnt(1)
	v_readfirstlane_b32 s18, v34
	v_readfirstlane_b32 s19, v35
	s_and_b64 s[18:19], s[14:15], s[18:19]
	s_mul_i32 s20, s19, 24
	s_mul_hi_u32 s21, s18, 24
	s_mul_i32 s24, s18, 24
	s_add_i32 s20, s21, s20
	v_mov_b32_e32 v6, s20
	s_waitcnt vmcnt(0)
	v_add_co_u32_e32 v34, vcc, s24, v22
	v_addc_co_u32_e32 v35, vcc, v23, v6, vcc
	s_and_saveexec_b64 s[20:21], s[4:5]
	s_cbranch_execz .LBB1_346
; %bb.345:                              ;   in Loop: Header=BB1_282 Depth=1
	v_pk_mov_b32 v[6:7], s[16:17], s[16:17] op_sel:[0,1]
	global_store_dwordx4 v[34:35], v[6:9], off offset:8
.LBB1_346:                              ;   in Loop: Header=BB1_282 Depth=1
	s_or_b64 exec, exec, s[20:21]
	s_lshl_b64 s[16:17], s[18:19], 12
	v_mov_b32_e32 v7, s17
	v_add_co_u32_e32 v6, vcc, s16, v24
	v_addc_co_u32_e32 v7, vcc, v25, v7, vcc
	v_or_b32_e32 v24, 0, v1
	v_cmp_lt_u64_e32 vcc, 56, v[26:27]
	v_or_b32_e32 v25, v0, v28
	v_cndmask_b32_e32 v1, v24, v1, vcc
	v_lshl_add_u32 v24, v32, 2, 28
	v_cndmask_b32_e32 v0, v25, v0, vcc
	v_and_b32_e32 v24, 0x1e0, v24
	v_and_or_b32 v0, v0, s23, v24
	v_readfirstlane_b32 s16, v6
	v_readfirstlane_b32 s17, v7
	s_nop 4
	global_store_dwordx4 v36, v[0:3], s[16:17]
	global_store_dwordx4 v36, v[10:13], s[16:17] offset:16
	global_store_dwordx4 v36, v[14:17], s[16:17] offset:32
	;; [unrolled: 1-line block ×3, first 2 shown]
	s_and_saveexec_b64 s[16:17], s[4:5]
	s_cbranch_execz .LBB1_354
; %bb.347:                              ;   in Loop: Header=BB1_282 Depth=1
	global_load_dwordx2 v[14:15], v31, s[10:11] offset:32 glc
	global_load_dwordx2 v[0:1], v31, s[10:11] offset:40
	v_mov_b32_e32 v12, s14
	v_mov_b32_e32 v13, s15
	s_waitcnt vmcnt(0)
	v_readfirstlane_b32 s18, v0
	v_readfirstlane_b32 s19, v1
	s_and_b64 s[18:19], s[18:19], s[14:15]
	s_mul_i32 s19, s19, 24
	s_mul_hi_u32 s20, s18, 24
	s_mul_i32 s18, s18, 24
	s_add_i32 s19, s20, s19
	v_mov_b32_e32 v0, s19
	v_add_co_u32_e32 v10, vcc, s18, v22
	v_addc_co_u32_e32 v11, vcc, v23, v0, vcc
	global_store_dwordx2 v[10:11], v[14:15], off
	buffer_wbl2
	s_waitcnt vmcnt(0)
	global_atomic_cmpswap_x2 v[2:3], v31, v[12:15], s[10:11] offset:32 glc
	s_waitcnt vmcnt(0)
	v_cmp_ne_u64_e32 vcc, v[2:3], v[14:15]
	s_and_saveexec_b64 s[18:19], vcc
	s_cbranch_execz .LBB1_350
; %bb.348:                              ;   in Loop: Header=BB1_282 Depth=1
	s_mov_b64 s[20:21], 0
.LBB1_349:                              ;   Parent Loop BB1_282 Depth=1
                                        ; =>  This Inner Loop Header: Depth=2
	s_sleep 1
	global_store_dwordx2 v[10:11], v[2:3], off
	v_mov_b32_e32 v0, s14
	v_mov_b32_e32 v1, s15
	buffer_wbl2
	s_waitcnt vmcnt(0)
	global_atomic_cmpswap_x2 v[0:1], v31, v[0:3], s[10:11] offset:32 glc
	s_waitcnt vmcnt(0)
	v_cmp_eq_u64_e32 vcc, v[0:1], v[2:3]
	s_or_b64 s[20:21], vcc, s[20:21]
	v_pk_mov_b32 v[2:3], v[0:1], v[0:1] op_sel:[0,1]
	s_andn2_b64 exec, exec, s[20:21]
	s_cbranch_execnz .LBB1_349
.LBB1_350:                              ;   in Loop: Header=BB1_282 Depth=1
	s_or_b64 exec, exec, s[18:19]
	global_load_dwordx2 v[0:1], v31, s[10:11] offset:16
	s_mov_b64 s[20:21], exec
	v_mbcnt_lo_u32_b32 v2, s20, 0
	v_mbcnt_hi_u32_b32 v2, s21, v2
	v_cmp_eq_u32_e32 vcc, 0, v2
	s_and_saveexec_b64 s[18:19], vcc
	s_cbranch_execz .LBB1_352
; %bb.351:                              ;   in Loop: Header=BB1_282 Depth=1
	s_bcnt1_i32_b64 s20, s[20:21]
	v_mov_b32_e32 v30, s20
	buffer_wbl2
	s_waitcnt vmcnt(0)
	global_atomic_add_x2 v[0:1], v[30:31], off offset:8
.LBB1_352:                              ;   in Loop: Header=BB1_282 Depth=1
	s_or_b64 exec, exec, s[18:19]
	s_waitcnt vmcnt(0)
	global_load_dwordx2 v[2:3], v[0:1], off offset:16
	s_waitcnt vmcnt(0)
	v_cmp_eq_u64_e32 vcc, 0, v[2:3]
	s_cbranch_vccnz .LBB1_354
; %bb.353:                              ;   in Loop: Header=BB1_282 Depth=1
	global_load_dword v30, v[0:1], off offset:24
	s_waitcnt vmcnt(0)
	v_and_b32_e32 v0, 0xffffff, v30
	v_readfirstlane_b32 m0, v0
	buffer_wbl2
	global_store_dwordx2 v[2:3], v[30:31], off
	s_sendmsg sendmsg(MSG_INTERRUPT)
.LBB1_354:                              ;   in Loop: Header=BB1_282 Depth=1
	s_or_b64 exec, exec, s[16:17]
	v_add_co_u32_e32 v0, vcc, v6, v36
	v_addc_co_u32_e32 v1, vcc, 0, v7, vcc
	s_branch .LBB1_358
.LBB1_355:                              ;   in Loop: Header=BB1_358 Depth=2
	s_or_b64 exec, exec, s[16:17]
	v_readfirstlane_b32 s16, v2
	s_cmp_eq_u32 s16, 0
	s_cbranch_scc1 .LBB1_357
; %bb.356:                              ;   in Loop: Header=BB1_358 Depth=2
	s_sleep 1
	s_cbranch_execnz .LBB1_358
	s_branch .LBB1_360
.LBB1_357:                              ;   in Loop: Header=BB1_282 Depth=1
	s_branch .LBB1_360
.LBB1_358:                              ;   Parent Loop BB1_282 Depth=1
                                        ; =>  This Inner Loop Header: Depth=2
	v_mov_b32_e32 v2, 1
	s_and_saveexec_b64 s[16:17], s[4:5]
	s_cbranch_execz .LBB1_355
; %bb.359:                              ;   in Loop: Header=BB1_358 Depth=2
	global_load_dword v2, v[34:35], off offset:20 glc
	s_waitcnt vmcnt(0)
	buffer_invl2
	buffer_wbinvl1_vol
	v_and_b32_e32 v2, 1, v2
	s_branch .LBB1_355
.LBB1_360:                              ;   in Loop: Header=BB1_282 Depth=1
	global_load_dwordx4 v[0:3], v[0:1], off
	s_and_saveexec_b64 s[16:17], s[4:5]
	s_cbranch_execz .LBB1_281
; %bb.361:                              ;   in Loop: Header=BB1_282 Depth=1
	global_load_dwordx2 v[2:3], v31, s[10:11] offset:40
	global_load_dwordx2 v[6:7], v31, s[10:11] offset:24 glc
	global_load_dwordx2 v[14:15], v31, s[10:11]
	v_mov_b32_e32 v11, s15
	s_waitcnt vmcnt(2)
	v_add_co_u32_e32 v13, vcc, 1, v2
	v_addc_co_u32_e32 v16, vcc, 0, v3, vcc
	v_add_co_u32_e32 v10, vcc, s14, v13
	v_addc_co_u32_e32 v11, vcc, v16, v11, vcc
	v_cmp_eq_u64_e32 vcc, 0, v[10:11]
	v_cndmask_b32_e32 v11, v11, v16, vcc
	v_cndmask_b32_e32 v10, v10, v13, vcc
	v_and_b32_e32 v3, v11, v3
	v_and_b32_e32 v2, v10, v2
	v_mul_lo_u32 v3, v3, 24
	v_mul_hi_u32 v13, v2, 24
	v_mul_lo_u32 v2, v2, 24
	v_add_u32_e32 v3, v13, v3
	s_waitcnt vmcnt(0)
	v_add_co_u32_e32 v2, vcc, v14, v2
	v_addc_co_u32_e32 v3, vcc, v15, v3, vcc
	v_mov_b32_e32 v12, v6
	global_store_dwordx2 v[2:3], v[6:7], off
	v_mov_b32_e32 v13, v7
	buffer_wbl2
	s_waitcnt vmcnt(0)
	global_atomic_cmpswap_x2 v[12:13], v31, v[10:13], s[10:11] offset:24 glc
	s_waitcnt vmcnt(0)
	v_cmp_ne_u64_e32 vcc, v[12:13], v[6:7]
	s_and_b64 exec, exec, vcc
	s_cbranch_execz .LBB1_281
; %bb.362:                              ;   in Loop: Header=BB1_282 Depth=1
	s_mov_b64 s[4:5], 0
.LBB1_363:                              ;   Parent Loop BB1_282 Depth=1
                                        ; =>  This Inner Loop Header: Depth=2
	s_sleep 1
	global_store_dwordx2 v[2:3], v[12:13], off
	buffer_wbl2
	s_waitcnt vmcnt(0)
	global_atomic_cmpswap_x2 v[6:7], v31, v[10:13], s[10:11] offset:24 glc
	s_waitcnt vmcnt(0)
	v_cmp_eq_u64_e32 vcc, v[6:7], v[12:13]
	s_or_b64 s[4:5], vcc, s[4:5]
	v_pk_mov_b32 v[12:13], v[6:7], v[6:7] op_sel:[0,1]
	s_andn2_b64 exec, exec, s[4:5]
	s_cbranch_execnz .LBB1_363
	s_branch .LBB1_281
.LBB1_364:
	s_or_b64 exec, exec, s[6:7]
                                        ; implicit-def: $vgpr36
                                        ; implicit-def: $vgpr37
.LBB1_365:
	s_andn2_saveexec_b64 s[6:7], s[12:13]
	s_cbranch_execz .LBB1_392
; %bb.366:
	v_readfirstlane_b32 s4, v37
	v_cmp_eq_u32_e64 s[4:5], s4, v37
	v_pk_mov_b32 v[8:9], 0, 0
	s_and_saveexec_b64 s[12:13], s[4:5]
	s_cbranch_execz .LBB1_372
; %bb.367:
	s_waitcnt vmcnt(0)
	v_mov_b32_e32 v2, 0
	global_load_dwordx2 v[6:7], v2, s[10:11] offset:24 glc
	s_waitcnt vmcnt(0)
	buffer_invl2
	buffer_wbinvl1_vol
	global_load_dwordx2 v[4:5], v2, s[10:11] offset:40
	global_load_dwordx2 v[8:9], v2, s[10:11]
	s_waitcnt vmcnt(1)
	v_and_b32_e32 v3, v4, v6
	v_and_b32_e32 v4, v5, v7
	v_mul_lo_u32 v4, v4, 24
	v_mul_hi_u32 v5, v3, 24
	v_mul_lo_u32 v3, v3, 24
	v_add_u32_e32 v5, v5, v4
	s_waitcnt vmcnt(0)
	v_add_co_u32_e32 v4, vcc, v8, v3
	v_addc_co_u32_e32 v5, vcc, v9, v5, vcc
	global_load_dwordx2 v[4:5], v[4:5], off glc
	s_waitcnt vmcnt(0)
	global_atomic_cmpswap_x2 v[8:9], v2, v[4:7], s[10:11] offset:24 glc
	s_waitcnt vmcnt(0)
	buffer_invl2
	buffer_wbinvl1_vol
	v_cmp_ne_u64_e32 vcc, v[8:9], v[6:7]
	s_and_saveexec_b64 s[14:15], vcc
	s_cbranch_execz .LBB1_371
; %bb.368:
	s_mov_b64 s[16:17], 0
.LBB1_369:                              ; =>This Inner Loop Header: Depth=1
	s_sleep 1
	global_load_dwordx2 v[4:5], v2, s[10:11] offset:40
	global_load_dwordx2 v[10:11], v2, s[10:11]
	v_pk_mov_b32 v[6:7], v[8:9], v[8:9] op_sel:[0,1]
	s_waitcnt vmcnt(1)
	v_and_b32_e32 v4, v4, v6
	v_and_b32_e32 v3, v5, v7
	s_waitcnt vmcnt(0)
	v_mad_u64_u32 v[4:5], s[18:19], v4, 24, v[10:11]
	v_mov_b32_e32 v8, v5
	v_mad_u64_u32 v[8:9], s[18:19], v3, 24, v[8:9]
	v_mov_b32_e32 v5, v8
	global_load_dwordx2 v[4:5], v[4:5], off glc
	s_waitcnt vmcnt(0)
	global_atomic_cmpswap_x2 v[8:9], v2, v[4:7], s[10:11] offset:24 glc
	s_waitcnt vmcnt(0)
	buffer_invl2
	buffer_wbinvl1_vol
	v_cmp_eq_u64_e32 vcc, v[8:9], v[6:7]
	s_or_b64 s[16:17], vcc, s[16:17]
	s_andn2_b64 exec, exec, s[16:17]
	s_cbranch_execnz .LBB1_369
; %bb.370:
	s_or_b64 exec, exec, s[16:17]
.LBB1_371:
	s_or_b64 exec, exec, s[14:15]
.LBB1_372:
	s_or_b64 exec, exec, s[12:13]
	s_waitcnt vmcnt(0)
	v_mov_b32_e32 v2, 0
	global_load_dwordx2 v[10:11], v2, s[10:11] offset:40
	global_load_dwordx4 v[4:7], v2, s[10:11]
	v_readfirstlane_b32 s12, v8
	v_readfirstlane_b32 s13, v9
	s_mov_b64 s[14:15], exec
	s_waitcnt vmcnt(1)
	v_readfirstlane_b32 s16, v10
	v_readfirstlane_b32 s17, v11
	s_and_b64 s[16:17], s[12:13], s[16:17]
	s_mul_i32 s18, s17, 24
	s_mul_hi_u32 s19, s16, 24
	s_mul_i32 s20, s16, 24
	s_add_i32 s18, s19, s18
	v_mov_b32_e32 v3, s18
	s_waitcnt vmcnt(0)
	v_add_co_u32_e32 v8, vcc, s20, v4
	v_addc_co_u32_e32 v9, vcc, v5, v3, vcc
	s_and_saveexec_b64 s[18:19], s[4:5]
	s_cbranch_execz .LBB1_374
; %bb.373:
	v_pk_mov_b32 v[10:11], s[14:15], s[14:15] op_sel:[0,1]
	v_mov_b32_e32 v12, 2
	v_mov_b32_e32 v13, 1
	global_store_dwordx4 v[8:9], v[10:13], off offset:8
.LBB1_374:
	s_or_b64 exec, exec, s[18:19]
	s_lshl_b64 s[14:15], s[16:17], 12
	v_mov_b32_e32 v3, s15
	v_add_co_u32_e32 v10, vcc, s14, v6
	v_addc_co_u32_e32 v11, vcc, v7, v3, vcc
	s_movk_i32 s14, 0xff1f
	s_mov_b32 s16, 0
	v_and_or_b32 v0, v0, s14, 32
	v_mov_b32_e32 v3, v2
	v_readfirstlane_b32 s14, v10
	v_readfirstlane_b32 s15, v11
	s_mov_b32 s17, s16
	v_add_co_u32_e32 v6, vcc, v10, v36
	s_mov_b32 s18, s16
	s_mov_b32 s19, s16
	s_nop 0
	global_store_dwordx4 v36, v[0:3], s[14:15]
	v_addc_co_u32_e32 v7, vcc, 0, v11, vcc
	v_pk_mov_b32 v[0:1], s[16:17], s[16:17] op_sel:[0,1]
	v_pk_mov_b32 v[2:3], s[18:19], s[18:19] op_sel:[0,1]
	global_store_dwordx4 v36, v[0:3], s[14:15] offset:16
	global_store_dwordx4 v36, v[0:3], s[14:15] offset:32
	;; [unrolled: 1-line block ×3, first 2 shown]
	s_and_saveexec_b64 s[14:15], s[4:5]
	s_cbranch_execz .LBB1_382
; %bb.375:
	v_mov_b32_e32 v10, 0
	global_load_dwordx2 v[14:15], v10, s[10:11] offset:32 glc
	global_load_dwordx2 v[0:1], v10, s[10:11] offset:40
	v_mov_b32_e32 v12, s12
	v_mov_b32_e32 v13, s13
	s_waitcnt vmcnt(0)
	v_readfirstlane_b32 s16, v0
	v_readfirstlane_b32 s17, v1
	s_and_b64 s[16:17], s[16:17], s[12:13]
	s_mul_i32 s17, s17, 24
	s_mul_hi_u32 s18, s16, 24
	s_mul_i32 s16, s16, 24
	s_add_i32 s17, s18, s17
	v_mov_b32_e32 v0, s17
	v_add_co_u32_e32 v4, vcc, s16, v4
	v_addc_co_u32_e32 v5, vcc, v5, v0, vcc
	global_store_dwordx2 v[4:5], v[14:15], off
	buffer_wbl2
	s_waitcnt vmcnt(0)
	global_atomic_cmpswap_x2 v[2:3], v10, v[12:15], s[10:11] offset:32 glc
	s_waitcnt vmcnt(0)
	v_cmp_ne_u64_e32 vcc, v[2:3], v[14:15]
	s_and_saveexec_b64 s[16:17], vcc
	s_cbranch_execz .LBB1_378
; %bb.376:
	s_mov_b64 s[18:19], 0
.LBB1_377:                              ; =>This Inner Loop Header: Depth=1
	s_sleep 1
	global_store_dwordx2 v[4:5], v[2:3], off
	v_mov_b32_e32 v0, s12
	v_mov_b32_e32 v1, s13
	buffer_wbl2
	s_waitcnt vmcnt(0)
	global_atomic_cmpswap_x2 v[0:1], v10, v[0:3], s[10:11] offset:32 glc
	s_waitcnt vmcnt(0)
	v_cmp_eq_u64_e32 vcc, v[0:1], v[2:3]
	s_or_b64 s[18:19], vcc, s[18:19]
	v_pk_mov_b32 v[2:3], v[0:1], v[0:1] op_sel:[0,1]
	s_andn2_b64 exec, exec, s[18:19]
	s_cbranch_execnz .LBB1_377
.LBB1_378:
	s_or_b64 exec, exec, s[16:17]
	v_mov_b32_e32 v3, 0
	global_load_dwordx2 v[0:1], v3, s[10:11] offset:16
	s_mov_b64 s[16:17], exec
	v_mbcnt_lo_u32_b32 v2, s16, 0
	v_mbcnt_hi_u32_b32 v2, s17, v2
	v_cmp_eq_u32_e32 vcc, 0, v2
	s_and_saveexec_b64 s[18:19], vcc
	s_cbranch_execz .LBB1_380
; %bb.379:
	s_bcnt1_i32_b64 s16, s[16:17]
	v_mov_b32_e32 v2, s16
	buffer_wbl2
	s_waitcnt vmcnt(0)
	global_atomic_add_x2 v[0:1], v[2:3], off offset:8
.LBB1_380:
	s_or_b64 exec, exec, s[18:19]
	s_waitcnt vmcnt(0)
	global_load_dwordx2 v[2:3], v[0:1], off offset:16
	s_waitcnt vmcnt(0)
	v_cmp_eq_u64_e32 vcc, 0, v[2:3]
	s_cbranch_vccnz .LBB1_382
; %bb.381:
	global_load_dword v0, v[0:1], off offset:24
	v_mov_b32_e32 v1, 0
	buffer_wbl2
	s_waitcnt vmcnt(0)
	global_store_dwordx2 v[2:3], v[0:1], off
	v_and_b32_e32 v0, 0xffffff, v0
	v_readfirstlane_b32 m0, v0
	s_sendmsg sendmsg(MSG_INTERRUPT)
.LBB1_382:
	s_or_b64 exec, exec, s[14:15]
	s_branch .LBB1_386
.LBB1_383:                              ;   in Loop: Header=BB1_386 Depth=1
	s_or_b64 exec, exec, s[14:15]
	v_readfirstlane_b32 s14, v0
	s_cmp_eq_u32 s14, 0
	s_cbranch_scc1 .LBB1_385
; %bb.384:                              ;   in Loop: Header=BB1_386 Depth=1
	s_sleep 1
	s_cbranch_execnz .LBB1_386
	s_branch .LBB1_388
.LBB1_385:
	s_branch .LBB1_388
.LBB1_386:                              ; =>This Inner Loop Header: Depth=1
	v_mov_b32_e32 v0, 1
	s_and_saveexec_b64 s[14:15], s[4:5]
	s_cbranch_execz .LBB1_383
; %bb.387:                              ;   in Loop: Header=BB1_386 Depth=1
	global_load_dword v0, v[8:9], off offset:20 glc
	s_waitcnt vmcnt(0)
	buffer_invl2
	buffer_wbinvl1_vol
	v_and_b32_e32 v0, 1, v0
	s_branch .LBB1_383
.LBB1_388:
	global_load_dwordx2 v[0:1], v[6:7], off
	s_and_saveexec_b64 s[14:15], s[4:5]
	s_cbranch_execz .LBB1_391
; %bb.389:
	v_mov_b32_e32 v8, 0
	global_load_dwordx2 v[6:7], v8, s[10:11] offset:40
	global_load_dwordx2 v[10:11], v8, s[10:11] offset:24 glc
	global_load_dwordx2 v[12:13], v8, s[10:11]
	v_mov_b32_e32 v3, s13
	s_mov_b64 s[4:5], 0
	s_waitcnt vmcnt(2)
	v_add_co_u32_e32 v5, vcc, 1, v6
	v_addc_co_u32_e32 v9, vcc, 0, v7, vcc
	v_add_co_u32_e32 v2, vcc, s12, v5
	v_addc_co_u32_e32 v3, vcc, v9, v3, vcc
	v_cmp_eq_u64_e32 vcc, 0, v[2:3]
	v_cndmask_b32_e32 v3, v3, v9, vcc
	v_cndmask_b32_e32 v2, v2, v5, vcc
	v_and_b32_e32 v5, v3, v7
	v_and_b32_e32 v6, v2, v6
	v_mul_lo_u32 v5, v5, 24
	v_mul_hi_u32 v7, v6, 24
	v_mul_lo_u32 v6, v6, 24
	v_add_u32_e32 v5, v7, v5
	s_waitcnt vmcnt(0)
	v_add_co_u32_e32 v6, vcc, v12, v6
	v_addc_co_u32_e32 v7, vcc, v13, v5, vcc
	v_mov_b32_e32 v4, v10
	global_store_dwordx2 v[6:7], v[10:11], off
	v_mov_b32_e32 v5, v11
	buffer_wbl2
	s_waitcnt vmcnt(0)
	global_atomic_cmpswap_x2 v[4:5], v8, v[2:5], s[10:11] offset:24 glc
	s_waitcnt vmcnt(0)
	v_cmp_ne_u64_e32 vcc, v[4:5], v[10:11]
	s_and_b64 exec, exec, vcc
	s_cbranch_execz .LBB1_391
.LBB1_390:                              ; =>This Inner Loop Header: Depth=1
	s_sleep 1
	global_store_dwordx2 v[6:7], v[4:5], off
	buffer_wbl2
	s_waitcnt vmcnt(0)
	global_atomic_cmpswap_x2 v[10:11], v8, v[2:5], s[10:11] offset:24 glc
	s_waitcnt vmcnt(0)
	v_cmp_eq_u64_e32 vcc, v[10:11], v[4:5]
	s_or_b64 s[4:5], vcc, s[4:5]
	v_pk_mov_b32 v[4:5], v[10:11], v[10:11] op_sel:[0,1]
	s_andn2_b64 exec, exec, s[4:5]
	s_cbranch_execnz .LBB1_390
.LBB1_391:
	s_or_b64 exec, exec, s[14:15]
.LBB1_392:
	s_or_b64 exec, exec, s[6:7]
	s_getpc_b64 s[4:5]
	s_add_u32 s4, s4, .str.1@rel32@lo+4
	s_addc_u32 s5, s5, .str.1@rel32@hi+12
	s_getpc_b64 s[6:7]
	s_add_u32 s6, s6, .str.1@rel32@lo+32
	s_addc_u32 s7, s7, .str.1@rel32@hi+40
	s_sub_i32 s10, s6, s4
	s_ashr_i32 s11, s10, 31
	s_waitcnt vmcnt(0)
	v_mov_b32_e32 v2, s4
	v_mov_b32_e32 v3, s5
	;; [unrolled: 1-line block ×5, first 2 shown]
	s_getpc_b64 s[6:7]
	s_add_u32 s6, s6, __ockl_fprintf_append_string_n@rel32@lo+4
	s_addc_u32 s7, s7, __ockl_fprintf_append_string_n@rel32@hi+12
	s_swappc_b64 s[30:31], s[6:7]
	s_trap 2
.Lfunc_end1:
	.size	__assert_fail, .Lfunc_end1-__assert_fail
                                        ; -- End function
	.section	.AMDGPU.csdata,"",@progbits
; Function info:
; codeLenInByte = 15360
; NumSgprs: 38
; NumVgprs: 41
; NumAgprs: 0
; TotalNumVgprs: 41
; ScratchSize: 64
; MemoryBound: 0
	.text
	.p2align	2                               ; -- Begin function _ZN12_GLOBAL__N_17runRingI14__hip_fp8_e4m313FuncPreMulSumIS1_E11ProtoSimpleILi1ELi1ELi0ELi1ELi0ELi0EELi0ELi1ELi0EEEviiP15ncclDevWorkColl
	.type	_ZN12_GLOBAL__N_17runRingI14__hip_fp8_e4m313FuncPreMulSumIS1_E11ProtoSimpleILi1ELi1ELi0ELi1ELi0ELi0EELi0ELi1ELi0EEEviiP15ncclDevWorkColl,@function
_ZN12_GLOBAL__N_17runRingI14__hip_fp8_e4m313FuncPreMulSumIS1_E11ProtoSimpleILi1ELi1ELi0ELi1ELi0ELi0EELi0ELi1ELi0EEEviiP15ncclDevWorkColl: ; @_ZN12_GLOBAL__N_17runRingI14__hip_fp8_e4m313FuncPreMulSumIS1_E11ProtoSimpleILi1ELi1ELi0ELi1ELi0ELi0EELi0ELi1ELi0EEEviiP15ncclDevWorkColl
; %bb.0:
	s_waitcnt vmcnt(0) expcnt(0) lgkmcnt(0)
	s_mov_b32 s4, s33
	s_mov_b32 s33, s32
	s_or_saveexec_b64 s[6:7], -1
	buffer_store_dword v63, off, s[0:3], s33 offset:128 ; 4-byte Folded Spill
	s_mov_b64 exec, s[6:7]
	v_writelane_b32 v63, s4, 49
	s_addk_i32 s32, 0x2400
	buffer_store_dword v40, off, s[0:3], s33 offset:124 ; 4-byte Folded Spill
	buffer_store_dword v41, off, s[0:3], s33 offset:120 ; 4-byte Folded Spill
	;; [unrolled: 1-line block ×31, first 2 shown]
	buffer_store_dword a48, off, s[0:3], s33 ; 4-byte Folded Spill
	v_writelane_b32 v63, s34, 0
	v_writelane_b32 v63, s35, 1
	;; [unrolled: 1-line block ×49, first 2 shown]
	s_trap 2
	ds_read_b64 v[14:15], v0
	ds_read_b32 v4, v0
	v_accvgpr_write_b32 a0, v1
	v_accvgpr_write_b32 a3, v0
	flat_load_ushort v17, v[2:3] offset:8
	flat_load_dwordx2 v[8:9], v[2:3]
	s_waitcnt lgkmcnt(0)
	v_ashrrev_i32_e32 v1, 31, v15
	v_mov_b32_e32 v0, v15
	v_lshlrev_b64 v[0:1], 2, v[0:1]
	v_add_co_u32_e32 v0, vcc, v14, v0
	v_addc_co_u32_e32 v1, vcc, v15, v1, vcc
	v_add_co_u32_e32 v0, vcc, -4, v0
	v_addc_co_u32_e32 v1, vcc, -1, v1, vcc
	flat_load_dword v1, v[0:1]
	v_accvgpr_write_b32 a1, v31
                                        ; implicit-def: $vgpr32_vgpr33
                                        ; implicit-def: $vgpr22_vgpr23
                                        ; implicit-def: $agpr6_agpr7
	s_waitcnt vmcnt(0)
	v_mov_b32_e32 v16, v9
	v_cmp_ne_u32_sdwa s[4:5], v8, v4 src0_sel:BYTE_0 src1_sel:DWORD
	s_and_saveexec_b64 s[6:7], s[4:5]
	s_xor_b64 s[4:5], exec, s[6:7]
	s_cbranch_execz .LBB2_6
; %bb.1:
	v_not_b32_sdwa v0, v8 dst_sel:DWORD dst_unused:UNUSED_PAD src0_sel:BYTE_0
	v_cmp_ne_u32_sdwa s[6:7], v8, v4 src0_sel:BYTE_1 src1_sel:DWORD
                                        ; implicit-def: $vgpr32_vgpr33
                                        ; implicit-def: $vgpr22_vgpr23
                                        ; implicit-def: $agpr6_agpr7
	s_and_saveexec_b64 s[10:11], s[6:7]
	s_xor_b64 s[6:7], exec, s[10:11]
	s_cbranch_execz .LBB2_3
; %bb.2:
	flat_load_dwordx4 v[6:9], v[2:3] offset:72
	flat_load_dwordx2 v[10:11], v[2:3] offset:96
	v_add_u32_e32 v0, v4, v0
	v_ashrrev_i32_e32 v4, 31, v0
	s_waitcnt vmcnt(0) lgkmcnt(0)
	v_mul_lo_u32 v4, v8, v4
	v_mad_u64_u32 v[6:7], s[10:11], v8, v0, v[6:7]
	v_mul_lo_u32 v0, v9, v0
	v_add3_u32 v7, v0, v7, v4
	v_accvgpr_write_b32 a6, v6
	v_lshrrev_b64 v[32:33], 12, v[10:11]
	v_accvgpr_write_b32 a7, v7
	v_pk_mov_b32 v[22:23], v[8:9], v[8:9] op_sel:[0,1]
                                        ; implicit-def: $vgpr8
                                        ; implicit-def: $vgpr0
.LBB2_3:
	s_andn2_saveexec_b64 s[6:7], s[6:7]
	s_cbranch_execz .LBB2_5
; %bb.4:
	flat_load_dwordx4 v[4:7], v[2:3] offset:72
	flat_load_dwordx4 v[22:25], v[2:3] offset:88
	v_add_u32_sdwa v0, v8, v0 dst_sel:DWORD dst_unused:UNUSED_PAD src0_sel:BYTE_1 src1_sel:DWORD
	v_ashrrev_i32_e32 v8, 31, v0
	s_waitcnt vmcnt(0) lgkmcnt(0)
	v_mul_lo_u32 v8, v6, v8
	v_mad_u64_u32 v[4:5], s[10:11], v6, v0, v[4:5]
	v_mul_lo_u32 v0, v7, v0
	v_add3_u32 v5, v0, v5, v8
	v_accvgpr_write_b32 a7, v5
	v_accvgpr_write_b32 a6, v4
	v_lshrrev_b32_e32 v32, 1, v25
.LBB2_5:
	s_or_b64 exec, exec, s[6:7]
.LBB2_6:
	s_andn2_saveexec_b64 s[4:5], s[4:5]
	s_cbranch_execz .LBB2_8
; %bb.7:
	flat_load_dwordx2 v[4:5], v[2:3] offset:96
	flat_load_dwordx2 v[22:23], v[2:3] offset:72
	s_waitcnt vmcnt(0) lgkmcnt(0)
	v_lshlrev_b64 v[32:33], 9, v[4:5]
	v_pk_mov_b32 v[4:5], 0, 0
	v_accvgpr_write_b32 a7, v5
	v_accvgpr_write_b32 a6, v4
.LBB2_8:
	s_or_b64 exec, exec, s[4:5]
	s_trap 2
	ds_read_b64 v[4:5], v0
	v_accvgpr_read_b32 v6, a0
	s_waitcnt lgkmcnt(0)
	v_cmp_ne_u32_e32 vcc, -1, v4
	v_cndmask_b32_e64 v0, 0, 1, vcc
	v_cmp_ne_u32_e32 vcc, -1, v5
	v_addc_co_u32_e64 v4, s[4:5], 0, v0, vcc
	v_lshlrev_b32_e32 v5, 1, v4
	v_cmp_le_i32_e64 s[4:5], v5, v6
	s_and_saveexec_b64 s[6:7], s[4:5]
	s_xor_b64 s[26:27], exec, s[6:7]
	s_cbranch_execnz .LBB2_9
; %bb.5985:
	s_getpc_b64 s[82:83]
.Lpost_getpc0:
	s_add_u32 s82, s82, (.LBB2_5982-.Lpost_getpc0)&4294967295
	s_addc_u32 s83, s83, (.LBB2_5982-.Lpost_getpc0)>>32
	s_setpc_b64 s[82:83]
.LBB2_9:
	flat_load_dwordx4 v[10:13], v[2:3] offset:16
	flat_load_dwordx2 v[34:35], v[2:3] offset:104
	s_trap 2
	s_load_dword s4, s[8:9], 0x0
	v_mov_b32_e32 v2, 0
	v_mov_b32_e32 v59, 4
	s_waitcnt lgkmcnt(0)
	s_cmp_lt_u32 s12, s4
	s_cselect_b32 s4, 12, 18
	s_add_u32 s4, s8, s4
	s_addc_u32 s5, s9, 0
	global_load_ushort a2, v2, s[4:5]
	ds_read_b32 v2, v0
	s_waitcnt lgkmcnt(0)
	v_readfirstlane_b32 s70, v2
	v_accvgpr_read_b32 v2, a3
	v_cmp_ge_i32_e64 s[4:5], v2, v0
	s_and_saveexec_b64 s[6:7], s[4:5]
	s_cbranch_execz .LBB2_19
; %bb.10:
	v_accvgpr_read_b32 v2, a3
	v_cmp_le_u32_e64 s[4:5], v4, v2
                                        ; implicit-def: $vgpr59
	s_and_saveexec_b64 s[10:11], s[4:5]
	s_xor_b64 s[4:5], exec, s[10:11]
	s_cbranch_execz .LBB2_16
; %bb.11:
	v_cndmask_b32_e64 v2, 0, 1, vcc
	v_accvgpr_read_b32 v3, a0
	v_sub_u32_e32 v2, v3, v2
	v_accvgpr_read_b32 v3, a3
	v_cmp_ge_u32_e32 vcc, v3, v2
                                        ; implicit-def: $sgpr12
	s_and_saveexec_b64 s[10:11], vcc
	s_xor_b64 s[10:11], exec, s[10:11]
; %bb.12:
	s_mov_b32 s12, 16
                                        ; implicit-def: $vgpr4
; %bb.13:
	s_or_saveexec_b64 s[10:11], s[10:11]
	v_mov_b32_e32 v59, s12
	s_xor_b64 exec, exec, s[10:11]
; %bb.14:
	v_accvgpr_read_b32 v2, a0
	v_sub_u32_e32 v2, v2, v4
	v_accvgpr_read_b32 v3, a3
	v_cmp_ge_i32_e32 vcc, v3, v2
	v_cndmask_b32_e64 v2, 0, 1, vcc
	v_lshlrev_b32_e32 v59, 5, v2
; %bb.15:
	s_or_b64 exec, exec, s[10:11]
.LBB2_16:
	s_andn2_saveexec_b64 s[4:5], s[4:5]
; %bb.17:
	v_mov_b32_e32 v59, 8
; %bb.18:
	s_or_b64 exec, exec, s[4:5]
.LBB2_19:
	s_or_b64 exec, exec, s[6:7]
	v_and_b32_e32 v2, 36, v59
	v_cmp_ne_u32_e32 vcc, 0, v2
	v_mov_b32_e32 v2, -1
	s_and_saveexec_b64 s[4:5], vcc
	s_cbranch_execz .LBB2_21
; %bb.20:
	s_trap 2
	ds_read_b32 v2, v0
.LBB2_21:
	s_or_b64 exec, exec, s[4:5]
	v_and_b32_e32 v3, 24, v59
	v_cmp_ne_u32_e64 s[4:5], 0, v3
	s_and_saveexec_b64 s[6:7], s[4:5]
	s_cbranch_execz .LBB2_23
; %bb.22:
	s_trap 2
	s_waitcnt lgkmcnt(0)
	ds_read_b32 v2, v0
.LBB2_23:
	s_or_b64 exec, exec, s[6:7]
	v_pk_mov_b32 v[6:7], 0, 0
	v_lshrrev_b64 v[4:5], 31, v[16:17]
	v_accvgpr_write_b32 a11, v7
	v_and_b32_e32 v4, 3, v4
	s_waitcnt lgkmcnt(0)
	v_ashrrev_i32_e32 v3, 31, v2
	v_accvgpr_write_b32 a10, v6
	v_pk_mov_b32 v[18:19], v[6:7], v[6:7] op_sel:[0,1]
                                        ; implicit-def: $agpr8_agpr9
                                        ; implicit-def: $agpr18
                                        ; implicit-def: $vgpr28_vgpr29
                                        ; implicit-def: $agpr20_agpr21
                                        ; implicit-def: $agpr16_agpr17
	s_and_saveexec_b64 s[4:5], vcc
	s_cbranch_execz .LBB2_33
; %bb.24:
	s_trap 2
	ds_read_b64 v[6:7], v0
	v_lshlrev_b64 v[8:9], 3, v[2:3]
	v_and_b32_e32 v5, 0xffff, v4
	s_movk_i32 s6, 0xa8
                                        ; implicit-def: $agpr8_agpr9
	s_waitcnt lgkmcnt(0)
	v_add_co_u32_e32 v6, vcc, v6, v8
	v_addc_co_u32_e32 v7, vcc, v7, v9, vcc
	flat_load_dwordx2 v[6:7], v[6:7]
	s_waitcnt vmcnt(0) lgkmcnt(0)
	v_mad_u64_u32 v[6:7], s[6:7], v5, s6, v[6:7]
	flat_load_dword v5, v[6:7] offset:640
	v_add_co_u32_e32 v18, vcc, 0x1f8, v6
	v_addc_co_u32_e32 v19, vcc, 0, v7, vcc
	s_waitcnt vmcnt(0) lgkmcnt(0)
	v_cmp_eq_u32_e32 vcc, 1, v5
	s_and_saveexec_b64 s[6:7], vcc
	s_cbranch_execz .LBB2_26
; %bb.25:
	flat_load_dwordx2 v[8:9], v[18:19] offset:144
	v_or_b32_e32 v59, 0x2000, v59
	s_waitcnt vmcnt(0) lgkmcnt(0)
	flat_load_dwordx2 v[6:7], v[8:9]
	s_trap 2
	v_accvgpr_write_b32 a8, v8
	v_accvgpr_write_b32 a9, v9
	s_waitcnt vmcnt(0) lgkmcnt(0)
	ds_write_b64 v0, v[6:7]
	flat_load_dwordx2 v[6:7], v[8:9] offset:8
	s_waitcnt vmcnt(0) lgkmcnt(0)
	ds_write_b64 v0, v[6:7]
	flat_load_dwordx2 v[6:7], v[8:9] offset:16
	s_waitcnt vmcnt(0) lgkmcnt(0)
	ds_write_b64 v0, v[6:7]
.LBB2_26:
	s_or_b64 exec, exec, s[6:7]
	flat_load_dwordx2 v[20:21], v[18:19] offset:104
	v_accvgpr_write_b32 a10, v18
	v_and_b32_e32 v5, 32, v59
	v_accvgpr_write_b32 a11, v19
	v_cmp_ne_u32_e32 vcc, 0, v5
                                        ; implicit-def: $agpr16_agpr17
	s_and_saveexec_b64 s[6:7], vcc
	s_cbranch_execz .LBB2_28
; %bb.27:
	v_accvgpr_read_b32 v6, a10
	v_accvgpr_read_b32 v7, a11
	flat_load_dwordx2 v[6:7], v[6:7] offset:56
	s_waitcnt vmcnt(0) lgkmcnt(0)
	v_accvgpr_write_b32 a17, v7
	v_accvgpr_write_b32 a16, v6
	flat_store_dwordx2 v[6:7], v[20:21]
.LBB2_28:
	s_or_b64 exec, exec, s[6:7]
	v_and_b32_e32 v5, 4, v59
	v_cmp_ne_u32_e32 vcc, 0, v5
	v_pk_mov_b32 v[18:19], 0, 0
                                        ; implicit-def: $agpr18
                                        ; implicit-def: $vgpr28_vgpr29
                                        ; implicit-def: $agpr20_agpr21
	s_and_saveexec_b64 s[6:7], vcc
	s_cbranch_execz .LBB2_32
; %bb.29:
	v_and_b32_e32 v5, 0x800, v59
	v_cmp_eq_u32_e32 vcc, 0, v5
	s_and_saveexec_b64 s[10:11], vcc
	s_cbranch_execz .LBB2_31
; %bb.30:
	s_trap 2
	ds_write_b64 v0, a[10:11]
.LBB2_31:
	s_or_b64 exec, exec, s[10:11]
	v_accvgpr_read_b32 v6, a10
	v_accvgpr_read_b32 v7, a11
	flat_load_dwordx2 v[8:9], v[6:7] offset:48
	v_or_b32_e32 v5, 0x100, v59
	s_waitcnt vmcnt(0) lgkmcnt(0)
	flat_load_dwordx2 v[28:29], v[8:9] glc
	flat_load_dwordx2 v[18:19], v[6:7] offset:96
	flat_load_dword a18, v[6:7] offset:72
	flat_load_dwordx2 a[20:21], v[6:7] offset:16
	v_accvgpr_write_b32 a17, v9
	v_accvgpr_write_b32 a16, v8
	s_waitcnt vmcnt(0) lgkmcnt(0)
	v_cmp_eq_u64_e32 vcc, 0, v[18:19]
	v_cndmask_b32_e32 v59, v5, v59, vcc
.LBB2_32:
	s_or_b64 exec, exec, s[6:7]
.LBB2_33:
	s_or_b64 exec, exec, s[4:5]
	v_and_b32_e32 v5, 24, v59
	v_cmp_ne_u32_e32 vcc, 0, v5
                                        ; implicit-def: $agpr26_agpr27
	s_and_saveexec_b64 s[4:5], vcc
	s_cbranch_execz .LBB2_41
; %bb.34:
	s_trap 2
	ds_read_b64 v[6:7], v0
	v_lshlrev_b64 v[2:3], 3, v[2:3]
	v_and_b32_e32 v4, 0xffff, v4
	s_movk_i32 s6, 0xa8
                                        ; implicit-def: $agpr26_agpr27
	s_waitcnt lgkmcnt(0)
	v_add_co_u32_e32 v2, vcc, v6, v2
	v_addc_co_u32_e32 v3, vcc, v7, v3, vcc
	flat_load_dwordx2 v[2:3], v[2:3]
	s_waitcnt vmcnt(0) lgkmcnt(0)
	v_mad_u64_u32 v[2:3], s[6:7], v4, s6, v[2:3]
	flat_load_dwordx4 v[18:21], v[2:3] offset:96
	v_accvgpr_write_b32 a11, v3
	v_accvgpr_write_b32 a10, v2
	v_or_b32_e32 v2, 0x100, v59
	s_waitcnt vmcnt(0) lgkmcnt(0)
	v_cmp_eq_u64_e32 vcc, 0, v[18:19]
	v_cndmask_b32_e32 v59, v2, v59, vcc
	v_and_b32_e32 v2, 16, v59
	v_cmp_ne_u32_e32 vcc, 0, v2
	s_and_saveexec_b64 s[6:7], vcc
	s_cbranch_execz .LBB2_36
; %bb.35:
	v_accvgpr_read_b32 v2, a10
	v_accvgpr_read_b32 v3, a11
	flat_load_dwordx2 a[26:27], v[2:3] offset:120
	flat_load_dwordx2 a[16:17], v[2:3] offset:48
	;; [unrolled: 1-line block ×3, first 2 shown]
.LBB2_36:
	s_or_b64 exec, exec, s[6:7]
	v_and_b32_e32 v2, 8, v59
	v_cmp_ne_u32_e32 vcc, 0, v2
	s_and_saveexec_b64 s[6:7], vcc
	s_cbranch_execz .LBB2_40
; %bb.37:
	v_and_b32_e32 v2, 0x800, v59
	v_cmp_eq_u32_e32 vcc, 0, v2
	s_and_saveexec_b64 s[10:11], vcc
	s_cbranch_execz .LBB2_39
; %bb.38:
	s_trap 2
	ds_write_b64 v0, a[10:11]
.LBB2_39:
	s_or_b64 exec, exec, s[10:11]
	v_accvgpr_read_b32 v2, a10
	v_accvgpr_read_b32 v3, a11
	flat_load_dwordx2 v[4:5], v[2:3] offset:56
	s_waitcnt vmcnt(0) lgkmcnt(0)
	flat_load_dwordx2 v[28:29], v[4:5] glc
	flat_load_dword a18, v[2:3] offset:72
	flat_load_dwordx2 a[20:21], v[2:3] offset:16
	v_accvgpr_write_b32 a17, v5
	v_accvgpr_write_b32 a16, v4
.LBB2_40:
	s_or_b64 exec, exec, s[6:7]
.LBB2_41:
	s_or_b64 exec, exec, s[4:5]
	v_accvgpr_read_b32 v2, a3
	v_cmp_eq_u32_e64 s[4:5], 0, v2
	s_and_saveexec_b64 s[6:7], s[4:5]
	s_cbranch_execz .LBB2_43
; %bb.42:
	s_waitcnt vmcnt(0)
	v_mov_b32_e32 v2, v12
	v_mov_b32_e32 v3, v13
	;; [unrolled: 1-line block ×4, first 2 shown]
	ds_write2_b64 v0, v[2:3], v[4:5] offset1:1
	v_mov_b32_e32 v2, 0
	v_mov_b32_e32 v3, v2
	s_trap 2
	ds_write_b64 v0, v[2:3]
	ds_write_b64 v0, v[34:35]
.LBB2_43:
	s_or_b64 exec, exec, s[6:7]
	v_mov_b32_e32 v3, 0
	v_and_b32_e32 v2, 0x3ffffe00, v32
	v_accvgpr_write_b32 a25, v3
	v_accvgpr_write_b32 a24, v2
	v_bfe_u32 v2, v16, 1, 30
	v_cmp_ne_u32_e32 vcc, v1, v2
                                        ; implicit-def: $agpr22_agpr23
	s_and_saveexec_b64 s[6:7], vcc
	s_xor_b64 s[28:29], exec, s[6:7]
	s_cbranch_execnz .LBB2_44
; %bb.5987:
	s_getpc_b64 s[82:83]
.Lpost_getpc1:
	s_add_u32 s82, s82, (.LBB2_4975-.Lpost_getpc1)&4294967295
	s_addc_u32 s83, s83, (.LBB2_4975-.Lpost_getpc1)>>32
	s_setpc_b64 s[82:83]
.LBB2_44:
	v_cmp_ne_u32_e32 vcc, v14, v2
	v_cmp_ne_u64_e64 s[6:7], 0, v[22:23]
                                        ; implicit-def: $agpr22_agpr23
	s_and_saveexec_b64 s[10:11], vcc
	s_xor_b64 s[30:31], exec, s[10:11]
	s_cbranch_execz .LBB2_2513
; %bb.45:
	v_pk_mov_b32 v[2:3], 0, 0
	v_accvgpr_write_b32 a23, v3
	v_accvgpr_write_b32 a22, v2
	s_and_saveexec_b64 s[34:35], s[6:7]
	s_cbranch_execz .LBB2_2512
; %bb.46:
	v_accvgpr_read_b32 v3, a0
	s_waitcnt vmcnt(0)
	v_accvgpr_read_b32 v1, a2
	v_cmp_ne_u32_sdwa s[36:37], v1, v3 src0_sel:WORD_0 src1_sel:DWORD
	v_accvgpr_read_b32 v1, a1
	v_accvgpr_read_b32 v4, a3
	v_and_b32_e32 v1, 63, v1
	v_cmp_eq_u32_e64 s[14:15], 0, v1
	v_ashrrev_i32_e32 v1, 31, v4
	v_lshrrev_b32_e32 v1, 26, v1
	s_waitcnt lgkmcnt(0)
	v_accvgpr_read_b32 v2, a18
	v_add_u32_e32 v1, v4, v1
	v_ashrrev_i32_e32 v53, 31, v2
	v_and_b32_e32 v2, 0xffffffc0, v1
	v_sub_u32_e32 v2, v4, v2
	v_ashrrev_i32_e32 v54, 6, v1
	v_cmp_le_i32_e64 s[16:17], v2, v0
	v_cmp_lt_i32_e64 s[18:19], v2, v0
	v_lshlrev_b32_e32 v0, 11, v54
	v_lshl_add_u32 v0, v2, 4, v0
	v_lshrrev_b32_e32 v52, 6, v3
	v_accvgpr_write_b32 a32, v0
	v_ashrrev_i32_e32 v1, 31, v0
	v_mov_b32_e32 v0, 0xfffff800
	v_lshl_add_u32 v0, v52, 11, v0
	s_movk_i32 s20, 0x800
	v_accvgpr_write_b32 a31, v1
	v_ashrrev_i32_e32 v1, 31, v0
	v_add_co_u32_e64 v0, s[20:21], s20, v0
	v_accvgpr_write_b32 a33, v0
	v_addc_co_u32_e64 v0, s[20:21], 0, v1, s[20:21]
	v_lshlrev_b32_e32 v55, 10, v52
	v_accvgpr_write_b32 a34, v0
	v_add_u32_e32 v0, 0xfffffc00, v55
	s_movk_i32 s20, 0x400
	v_ashrrev_i32_e32 v1, 31, v0
	v_add_co_u32_e64 v40, s[20:21], s20, v0
	v_addc_co_u32_e64 v56, s[20:21], 0, v1, s[20:21]
	v_mov_b32_e32 v0, 0xffffff00
	s_ashr_i32 s10, s70, 31
	v_lshl_add_u32 v0, v52, 8, v0
	s_movk_i32 s20, 0x100
	s_lshr_b32 s10, s10, 24
	v_ashrrev_i32_e32 v1, 31, v0
	v_add_co_u32_e64 v57, s[20:21], s20, v0
	s_add_i32 s10, s70, s10
	v_addc_co_u32_e64 v32, s[20:21], 0, v1, s[20:21]
	v_accvgpr_read_b32 v0, a26
	v_pk_mov_b32 v[60:61], 0, 0
	v_accvgpr_write_b32 a12, v18
	s_ashr_i32 s71, s10, 8
	v_cmp_ge_i32_e64 s[10:11], v4, v3
	v_cmp_eq_u32_e32 vcc, 64, v3
	v_cmp_ne_u32_e64 s[12:13], 64, v3
	v_accvgpr_write_b32 a29, v2
	v_and_b32_e32 v34, 0xffffffc0, v3
	v_accvgpr_read_b32 v1, a27
	s_mov_b32 s46, -1
	v_accvgpr_write_b32 a22, v60
	v_accvgpr_read_b32 v2, a24
	v_accvgpr_write_b32 a13, v19
	v_accvgpr_write_b32 a14, v20
	;; [unrolled: 1-line block ×3, first 2 shown]
	v_mov_b32_e32 v39, 0
	v_ashrrev_i32_e32 v33, 31, v34
	s_mov_b64 s[38:39], 0
	v_cmp_eq_u64_e64 s[20:21], 0, v[0:1]
	s_movk_i32 s72, 0x270e
	s_movk_i32 s73, 0x108
	v_mov_b32_e32 v35, 1
	s_xor_b64 s[40:41], vcc, -1
	s_movk_i32 s74, 0x7f
	s_movk_i32 s75, 0x80
	s_mov_b64 s[42:43], 0x7f800000
	s_mov_b64 s[44:45], 0x43e00001
	s_movk_i32 s76, 0x7a
	s_mov_b32 s47, 0xffffff
	s_mov_b64 s[48:49], 0xffffff
	s_mov_b32 s77, 0xc0c0500
	s_mov_b32 s78, 0x8000
	;; [unrolled: 1-line block ×3, first 2 shown]
	v_bfrev_b32_e32 v20, 60
	v_mov_b32_e32 v18, 0x78
	v_accvgpr_write_b32 a23, v61
	v_accvgpr_read_b32 v3, a25
	s_trap 2
	s_branch .LBB2_49
.LBB2_47:                               ;   in Loop: Header=BB2_49 Depth=1
	s_or_b64 exec, exec, s[22:23]
.LBB2_48:                               ;   in Loop: Header=BB2_49 Depth=1
	s_or_b64 exec, exec, s[24:25]
	v_accvgpr_read_b32 v2, a24
	v_add_co_u32_e32 v60, vcc, v60, v2
	v_accvgpr_read_b32 v23, a5
	v_addc_co_u32_e32 v61, vcc, 0, v61, vcc
	v_accvgpr_read_b32 v22, a4
	v_cmp_ge_u64_e32 vcc, v[60:61], v[22:23]
	v_accvgpr_read_b32 v3, a25
	s_or_b64 s[38:39], vcc, s[38:39]
	s_andn2_b64 exec, exec, s[38:39]
	s_cbranch_execz .LBB2_2511
.LBB2_49:                               ; =>This Loop Header: Depth=1
                                        ;     Child Loop BB2_58 Depth 2
                                        ;     Child Loop BB2_84 Depth 2
	;; [unrolled: 1-line block ×10, first 2 shown]
	v_sub_co_u32_e32 v0, vcc, v22, v60
	v_subb_co_u32_e32 v1, vcc, v23, v61, vcc
	v_cmp_lt_u64_e32 vcc, v[2:3], v[0:1]
	v_cndmask_b32_e64 v37, v1, 0, vcc
	v_cndmask_b32_e32 v36, v0, v2, vcc
	v_add_u32_e32 v0, 15, v36
	v_cmp_eq_u64_e32 vcc, 0, v[36:37]
	v_accvgpr_write_b32 a4, v22
	v_and_b32_e32 v0, 0x7ffffff0, v0
	s_or_b64 s[50:51], s[10:11], vcc
	v_accvgpr_write_b32 a5, v23
	v_max_i32_e32 v48, s71, v0
	s_xor_b64 s[22:23], s[50:51], -1
	v_mov_b32_e32 v0, v39
	s_and_saveexec_b64 s[52:53], s[22:23]
	s_cbranch_execz .LBB2_2461
; %bb.50:                               ;   in Loop: Header=BB2_49 Depth=1
	s_and_saveexec_b64 s[22:23], s[4:5]
	s_cbranch_execz .LBB2_52
; %bb.51:                               ;   in Loop: Header=BB2_49 Depth=1
	s_trap 2
	ds_read_b64 v[0:1], v0
	v_accvgpr_read_b32 v2, a6
	v_accvgpr_read_b32 v3, a7
	v_mov_b32_e32 v38, v39
	s_waitcnt lgkmcnt(0)
	v_add_co_u32_e32 v0, vcc, v0, v2
	v_addc_co_u32_e32 v1, vcc, v1, v3, vcc
	v_add_co_u32_e32 v0, vcc, v0, v60
	v_addc_co_u32_e32 v1, vcc, v1, v61, vcc
	ds_write_b64 v0, v[0:1]
	ds_write_b64 v0, v[38:39]
.LBB2_52:                               ;   in Loop: Header=BB2_49 Depth=1
	s_or_b64 exec, exec, s[22:23]
	v_and_b32_e32 v0, 12, v59
	v_cmp_ne_u32_e32 vcc, 0, v0
	s_mov_b64 s[24:25], -1
	s_and_saveexec_b64 s[22:23], vcc
	s_cbranch_execz .LBB2_64
; %bb.53:                               ;   in Loop: Header=BB2_49 Depth=1
	v_and_b32_e32 v2, 8, v59
	v_add_co_u32_e32 v0, vcc, v28, v2
	v_accvgpr_read_b32 v4, a12
	v_addc_co_u32_e32 v1, vcc, 0, v29, vcc
	v_accvgpr_read_b32 v6, a14
	v_accvgpr_read_b32 v7, a15
	v_add_co_u32_e32 v10, vcc, 1, v6
	v_addc_co_u32_e32 v11, vcc, 0, v7, vcc
	v_cmp_lt_u64_e32 vcc, v[0:1], v[10:11]
	v_mov_b32_e32 v0, 1
	v_accvgpr_read_b32 v5, a13
	s_and_saveexec_b64 s[24:25], vcc
	s_cbranch_execz .LBB2_63
; %bb.54:                               ;   in Loop: Header=BB2_49 Depth=1
	s_mov_b64 s[54:55], 0
	v_mov_b32_e32 v0, 0
                                        ; implicit-def: $sgpr56_sgpr57
	s_branch .LBB2_58
.LBB2_55:                               ;   in Loop: Header=BB2_58 Depth=2
	s_or_b64 exec, exec, s[64:65]
	v_mov_b32_e32 v1, 0
	s_orn2_b64 s[62:63], s[62:63], exec
.LBB2_56:                               ;   in Loop: Header=BB2_58 Depth=2
	s_or_b64 exec, exec, s[60:61]
	s_andn2_b64 vcc, s[56:57], exec
	s_and_b64 s[56:57], s[62:63], exec
	s_or_b64 s[56:57], vcc, s[56:57]
	v_mov_b32_e32 v0, v1
.LBB2_57:                               ;   in Loop: Header=BB2_58 Depth=2
	s_or_b64 exec, exec, s[58:59]
	s_waitcnt vmcnt(0) lgkmcnt(0)
	v_add_co_u32_e32 v4, vcc, v28, v2
	v_addc_co_u32_e32 v5, vcc, 0, v29, vcc
	v_cmp_ge_u64_e32 vcc, v[4:5], v[10:11]
	s_xor_b64 s[58:59], s[56:57], -1
	s_or_b64 vcc, s[58:59], vcc
	s_and_b64 vcc, exec, vcc
	s_or_b64 s[54:55], vcc, s[54:55]
	s_andn2_b64 exec, exec, s[54:55]
	s_cbranch_execz .LBB2_62
.LBB2_58:                               ;   Parent Loop BB2_49 Depth=1
                                        ; =>  This Inner Loop Header: Depth=2
	v_accvgpr_read_b32 v4, a16
	v_accvgpr_read_b32 v5, a17
	s_sleep 1
	flat_load_dwordx2 v[28:29], v[4:5] glc
	v_and_b32_e32 v1, 64, v59
	v_cmp_eq_u32_e32 vcc, 0, v1
	s_andn2_b64 s[56:57], s[56:57], exec
	s_and_saveexec_b64 s[58:59], vcc
	s_cbranch_execz .LBB2_57
; %bb.59:                               ;   in Loop: Header=BB2_58 Depth=2
	v_add_u32_e32 v1, 1, v0
	v_cmp_lt_i32_e32 vcc, s72, v0
	s_mov_b64 s[62:63], -1
	s_and_saveexec_b64 s[60:61], vcc
	s_cbranch_execz .LBB2_56
; %bb.60:                               ;   in Loop: Header=BB2_58 Depth=2
	s_trap 2
	ds_read_b64 v[0:1], v0
	s_waitcnt vmcnt(0) lgkmcnt(0)
	flat_load_dword v0, v[0:1] glc
	s_waitcnt vmcnt(0) lgkmcnt(0)
	buffer_invl2
	buffer_wbinvl1_vol
	v_cmp_ne_u32_e32 vcc, 0, v0
	s_and_saveexec_b64 s[64:65], vcc
	s_cbranch_execz .LBB2_55
; %bb.61:                               ;   in Loop: Header=BB2_58 Depth=2
	v_or_b32_e32 v59, 64, v59
	s_xor_b64 s[62:63], exec, -1
	ds_write_b32 v0, v0
	s_trap 2
	s_branch .LBB2_55
.LBB2_62:                               ;   in Loop: Header=BB2_49 Depth=1
	s_or_b64 exec, exec, s[54:55]
	v_and_b32_e32 v0, 12, v59
.LBB2_63:                               ;   in Loop: Header=BB2_49 Depth=1
	s_or_b64 exec, exec, s[24:25]
	v_cmp_eq_u32_e32 vcc, 0, v0
	s_orn2_b64 s[24:25], vcc, exec
	;;#ASMSTART
	s_wakeup
	;;#ASMEND
.LBB2_64:                               ;   in Loop: Header=BB2_49 Depth=1
	s_or_b64 exec, exec, s[22:23]
	s_xor_b64 s[22:23], s[24:25], -1
	v_min_u32_e32 v48, v48, v36
	s_and_saveexec_b64 s[24:25], s[22:23]
	s_cbranch_execz .LBB2_76
; %bb.65:                               ;   in Loop: Header=BB2_49 Depth=1
	v_and_b32_e32 v0, 0x108, v59
	v_cmp_ne_u32_e32 vcc, s73, v0
	v_accvgpr_read_b32 v0, a12
	v_accvgpr_read_b32 v2, a14
	v_and_b32_e32 v2, 7, v2
	v_accvgpr_read_b32 v1, a13
	v_accvgpr_read_b32 v3, a15
	s_and_saveexec_b64 s[22:23], vcc
	s_xor_b64 s[22:23], exec, s[22:23]
	s_andn2_saveexec_b64 s[22:23], s[22:23]
	s_cbranch_execz .LBB2_67
; %bb.66:                               ;   in Loop: Header=BB2_49 Depth=1
	v_accvgpr_read_b32 v4, a12
	v_accvgpr_read_b32 v5, a13
	v_mad_u64_u32 v[0:1], vcc, v2, 24, v[4:5]
	v_mov_b32_e32 v49, v39
	v_accvgpr_read_b32 v6, a14
	v_accvgpr_read_b32 v7, a15
	flat_store_dwordx2 v[0:1], v[48:49] offset:8
.LBB2_67:                               ;   in Loop: Header=BB2_49 Depth=1
	s_or_b64 exec, exec, s[22:23]
	v_and_b32_e32 v0, 0x100, v59
	v_cmp_ne_u32_e32 vcc, 0, v0
	s_mov_b64 s[22:23], -1
                                        ; implicit-def: $vgpr10_vgpr11
	s_and_saveexec_b64 s[54:55], vcc
	s_cbranch_execz .LBB2_71
; %bb.68:                               ;   in Loop: Header=BB2_49 Depth=1
	v_accvgpr_read_b32 v4, a12
	v_accvgpr_read_b32 v5, a13
	v_mad_u64_u32 v[12:13], s[22:23], v2, 24, v[4:5]
	v_mov_b32_e32 v0, v13
	v_mad_u64_u32 v[0:1], s[22:23], v39, 24, v[0:1]
	v_mov_b32_e32 v13, v0
	flat_load_dword v0, v[12:13]
	v_accvgpr_read_b32 v6, a14
	v_accvgpr_read_b32 v7, a15
                                        ; implicit-def: $vgpr10_vgpr11
	s_waitcnt vmcnt(0) lgkmcnt(0)
	v_cmp_ne_u32_e32 vcc, 1, v0
	v_cmp_eq_u32_e64 s[22:23], 1, v0
	s_and_saveexec_b64 s[56:57], s[22:23]
	s_cbranch_execz .LBB2_70
; %bb.69:                               ;   in Loop: Header=BB2_49 Depth=1
	flat_load_dword v10, v[12:13] offset:4 glc
	s_waitcnt vmcnt(0) lgkmcnt(0)
	v_ashrrev_i32_e32 v11, 31, v10
.LBB2_70:                               ;   in Loop: Header=BB2_49 Depth=1
	s_or_b64 exec, exec, s[56:57]
	s_orn2_b64 s[22:23], vcc, exec
.LBB2_71:                               ;   in Loop: Header=BB2_49 Depth=1
	s_or_b64 exec, exec, s[54:55]
	s_and_saveexec_b64 vcc, s[22:23]
; %bb.72:                               ;   in Loop: Header=BB2_49 Depth=1
	v_accvgpr_read_b32 v4, a18
	v_mul_lo_u32 v0, v39, v4
	v_mul_lo_u32 v1, v2, v53
	v_mad_u64_u32 v[10:11], s[22:23], v2, v4, 0
	v_add3_u32 v11, v11, v1, v0
; %bb.73:                               ;   in Loop: Header=BB2_49 Depth=1
	s_or_b64 exec, exec, vcc
	v_accvgpr_read_b32 v0, a20
	v_accvgpr_read_b32 v1, a21
	v_add_co_u32_e32 v0, vcc, v0, v10
	v_addc_co_u32_e32 v1, vcc, v1, v11, vcc
	s_trap 2
	ds_write_b64 v0, v[0:1]
	v_and_b32_e32 v0, 0x2000, v59
	v_cmp_ne_u32_e32 vcc, 0, v0
	s_and_saveexec_b64 s[22:23], vcc
	s_cbranch_execz .LBB2_75
; %bb.74:                               ;   in Loop: Header=BB2_49 Depth=1
	ds_read_b64 v[0:1], v0 offset:584
	s_waitcnt lgkmcnt(0)
	v_add_co_u32_e32 v0, vcc, 1, v0
	v_addc_co_u32_e32 v1, vcc, 0, v1, vcc
	ds_write_b64 v0, v[0:1] offset:584
.LBB2_75:                               ;   in Loop: Header=BB2_49 Depth=1
	s_or_b64 exec, exec, s[22:23]
	v_accvgpr_read_b32 v0, a12
	v_accvgpr_read_b32 v2, a14
	;; [unrolled: 1-line block ×3, first 2 shown]
	v_add_co_u32_e32 v2, vcc, 1, v2
	v_addc_co_u32_e32 v3, vcc, 0, v3, vcc
	v_accvgpr_read_b32 v1, a13
	v_accvgpr_write_b32 a15, v3
	v_accvgpr_write_b32 a14, v2
	;; [unrolled: 1-line block ×4, first 2 shown]
.LBB2_76:                               ;   in Loop: Header=BB2_49 Depth=1
	s_or_b64 exec, exec, s[24:25]
	s_and_saveexec_b64 s[22:23], s[12:13]
	s_cbranch_execz .LBB2_95
; %bb.77:                               ;   in Loop: Header=BB2_49 Depth=1
	s_and_saveexec_b64 s[24:25], s[36:37]
	s_xor_b64 s[24:25], exec, s[24:25]
	s_cbranch_execz .LBB2_92
; %bb.78:                               ;   in Loop: Header=BB2_49 Depth=1
	s_and_saveexec_b64 s[54:55], s[14:15]
	s_cbranch_execz .LBB2_91
; %bb.79:                               ;   in Loop: Header=BB2_49 Depth=1
	s_mov_b64 s[58:59], exec
	v_mbcnt_lo_u32_b32 v0, s58, 0
	v_mbcnt_hi_u32_b32 v0, s59, v0
	v_cmp_eq_u32_e32 vcc, 0, v0
	s_waitcnt vmcnt(0) lgkmcnt(0)
	buffer_wbinvl1_vol
	s_and_saveexec_b64 s[56:57], vcc
	s_cbranch_execz .LBB2_81
; %bb.80:                               ;   in Loop: Header=BB2_49 Depth=1
	s_bcnt1_i32_b64 vcc_lo, s[58:59]
	v_mov_b32_e32 v38, vcc_lo
	ds_add_u64 v0, v[38:39]
	s_trap 2
.LBB2_81:                               ;   in Loop: Header=BB2_49 Depth=1
	s_or_b64 exec, exec, s[56:57]
	s_trap 2
	ds_read_b64 v[0:1], v0
	v_accvgpr_read_b32 v2, a22
	v_accvgpr_read_b32 v3, a23
	v_add_co_u32_e32 v2, vcc, v2, v52
	v_addc_co_u32_e32 v3, vcc, 0, v3, vcc
	v_accvgpr_write_b32 a23, v3
	v_accvgpr_write_b32 a22, v2
	s_waitcnt lgkmcnt(0)
	v_cmp_lt_u64_e32 vcc, v[0:1], v[2:3]
	s_and_saveexec_b64 s[56:57], vcc
	s_cbranch_execz .LBB2_90
; %bb.82:                               ;   in Loop: Header=BB2_49 Depth=1
	s_mov_b32 s68, 0
	s_mov_b64 s[58:59], 0
                                        ; implicit-def: $sgpr60_sgpr61
                                        ; implicit-def: $sgpr62_sgpr63
	s_branch .LBB2_84
.LBB2_83:                               ;   in Loop: Header=BB2_84 Depth=2
	s_or_b64 exec, exec, s[66:67]
	s_and_b64 vcc, exec, vcc
	s_or_b64 s[58:59], vcc, s[58:59]
	s_andn2_b64 vcc, s[60:61], exec
	s_and_b64 s[60:61], s[62:63], exec
	s_or_b64 s[60:61], vcc, s[60:61]
	s_andn2_b64 exec, exec, s[58:59]
	s_cbranch_execz .LBB2_88
.LBB2_84:                               ;   Parent Loop BB2_49 Depth=1
                                        ; =>  This Inner Loop Header: Depth=2
	s_add_i32 s68, s68, 1
	s_cmpk_lg_i32 s68, 0x2710
	s_cselect_b64 s[64:65], -1, 0
	s_and_b64 vcc, exec, s[64:65]
                                        ; implicit-def: $sgpr66_sgpr67
	s_cbranch_vccnz .LBB2_86
; %bb.85:                               ;   in Loop: Header=BB2_84 Depth=2
	s_trap 2
	ds_read_b64 v[0:1], v0
	s_andn2_b64 s[64:65], s[64:65], exec
	s_mov_b32 s68, 0
	s_mov_b64 s[66:67], -1
	s_waitcnt lgkmcnt(0)
	flat_load_dword v0, v[0:1] glc
	s_waitcnt vmcnt(0) lgkmcnt(0)
	buffer_invl2
	buffer_wbinvl1_vol
	v_cmp_eq_u32_e32 vcc, 0, v0
	s_and_b64 vcc, vcc, exec
	s_or_b64 s[64:65], s[64:65], vcc
.LBB2_86:                               ;   in Loop: Header=BB2_84 Depth=2
	s_andn2_b64 s[62:63], s[62:63], exec
	s_and_b64 s[66:67], s[66:67], exec
	s_mov_b64 vcc, -1
	s_or_b64 s[62:63], s[62:63], s[66:67]
	s_and_saveexec_b64 s[66:67], s[64:65]
	s_cbranch_execz .LBB2_83
; %bb.87:                               ;   in Loop: Header=BB2_84 Depth=2
	s_sleep 1
	s_trap 2
	ds_read_b64 v[0:1], v0
	v_accvgpr_read_b32 v2, a22
	v_accvgpr_read_b32 v3, a23
	s_andn2_b64 s[62:63], s[62:63], exec
	s_waitcnt lgkmcnt(0)
	v_cmp_ge_u64_e32 vcc, v[0:1], v[2:3]
	s_orn2_b64 vcc, vcc, exec
	s_branch .LBB2_83
.LBB2_88:                               ;   in Loop: Header=BB2_49 Depth=1
	s_or_b64 exec, exec, s[58:59]
	s_and_saveexec_b64 vcc, s[60:61]
	s_xor_b64 vcc, exec, vcc
	s_cbranch_execz .LBB2_90
; %bb.89:                               ;   in Loop: Header=BB2_49 Depth=1
	ds_write_b32 v0, v35
	s_trap 2
.LBB2_90:                               ;   in Loop: Header=BB2_49 Depth=1
	s_or_b64 exec, exec, s[56:57]
	;;#ASMSTART
	s_wakeup
	;;#ASMEND
.LBB2_91:                               ;   in Loop: Header=BB2_49 Depth=1
	s_or_b64 exec, exec, s[54:55]
.LBB2_92:                               ;   in Loop: Header=BB2_49 Depth=1
	s_andn2_saveexec_b64 s[24:25], s[24:25]
	s_cbranch_execz .LBB2_94
; %bb.93:                               ;   in Loop: Header=BB2_49 Depth=1
	s_waitcnt vmcnt(0) lgkmcnt(0)
	buffer_wbinvl1_vol
	s_barrier
.LBB2_94:                               ;   in Loop: Header=BB2_49 Depth=1
	s_or_b64 exec, exec, s[24:25]
.LBB2_95:                               ;   in Loop: Header=BB2_49 Depth=1
	s_or_b64 exec, exec, s[22:23]
	s_trap 2
	ds_read_b32 v0, v0
	v_and_b32_e32 v1, 0x4000, v59
	v_cmp_ne_u32_e32 vcc, 0, v1
	s_and_b64 s[24:25], s[40:41], vcc
	s_and_saveexec_b64 s[22:23], s[24:25]
	s_cbranch_execz .LBB2_114
; %bb.96:                               ;   in Loop: Header=BB2_49 Depth=1
	s_and_saveexec_b64 s[24:25], s[36:37]
	s_xor_b64 s[24:25], exec, s[24:25]
	s_cbranch_execz .LBB2_111
; %bb.97:                               ;   in Loop: Header=BB2_49 Depth=1
	s_and_saveexec_b64 s[54:55], s[14:15]
	s_cbranch_execz .LBB2_110
; %bb.98:                               ;   in Loop: Header=BB2_49 Depth=1
	s_mov_b64 s[58:59], exec
	v_mbcnt_lo_u32_b32 v1, s58, 0
	v_mbcnt_hi_u32_b32 v1, s59, v1
	v_cmp_eq_u32_e32 vcc, 0, v1
	s_waitcnt vmcnt(0) lgkmcnt(0)
	buffer_wbinvl1_vol
	s_and_saveexec_b64 s[56:57], vcc
	s_cbranch_execz .LBB2_100
; %bb.99:                               ;   in Loop: Header=BB2_49 Depth=1
	s_bcnt1_i32_b64 vcc_lo, s[58:59]
	v_mov_b32_e32 v38, vcc_lo
	ds_add_u64 v0, v[38:39]
	s_trap 2
.LBB2_100:                              ;   in Loop: Header=BB2_49 Depth=1
	s_or_b64 exec, exec, s[56:57]
	s_trap 2
	ds_read_b64 v[2:3], v0
	v_accvgpr_read_b32 v4, a22
	v_accvgpr_read_b32 v5, a23
	v_add_co_u32_e32 v4, vcc, v4, v52
	v_addc_co_u32_e32 v5, vcc, 0, v5, vcc
	v_accvgpr_write_b32 a23, v5
	v_accvgpr_write_b32 a22, v4
	s_waitcnt lgkmcnt(0)
	v_cmp_lt_u64_e32 vcc, v[2:3], v[4:5]
	s_and_saveexec_b64 s[56:57], vcc
	s_cbranch_execz .LBB2_109
; %bb.101:                              ;   in Loop: Header=BB2_49 Depth=1
	s_mov_b32 s68, 0
	s_mov_b64 s[58:59], 0
                                        ; implicit-def: $sgpr60_sgpr61
                                        ; implicit-def: $sgpr62_sgpr63
	s_branch .LBB2_103
.LBB2_102:                              ;   in Loop: Header=BB2_103 Depth=2
	s_or_b64 exec, exec, s[66:67]
	s_and_b64 vcc, exec, vcc
	s_or_b64 s[58:59], vcc, s[58:59]
	s_andn2_b64 vcc, s[60:61], exec
	s_and_b64 s[60:61], s[62:63], exec
	s_or_b64 s[60:61], vcc, s[60:61]
	s_andn2_b64 exec, exec, s[58:59]
	s_cbranch_execz .LBB2_107
.LBB2_103:                              ;   Parent Loop BB2_49 Depth=1
                                        ; =>  This Inner Loop Header: Depth=2
	s_add_i32 s68, s68, 1
	s_cmpk_lg_i32 s68, 0x2710
	s_cselect_b64 s[64:65], -1, 0
	s_and_b64 vcc, exec, s[64:65]
                                        ; implicit-def: $sgpr66_sgpr67
	s_cbranch_vccnz .LBB2_105
; %bb.104:                              ;   in Loop: Header=BB2_103 Depth=2
	s_trap 2
	ds_read_b64 v[2:3], v0
	s_andn2_b64 s[64:65], s[64:65], exec
	s_mov_b32 s68, 0
	s_mov_b64 s[66:67], -1
	s_waitcnt lgkmcnt(0)
	flat_load_dword v1, v[2:3] glc
	s_waitcnt vmcnt(0) lgkmcnt(0)
	buffer_invl2
	buffer_wbinvl1_vol
	v_cmp_eq_u32_e32 vcc, 0, v1
	s_and_b64 vcc, vcc, exec
	s_or_b64 s[64:65], s[64:65], vcc
.LBB2_105:                              ;   in Loop: Header=BB2_103 Depth=2
	s_andn2_b64 s[62:63], s[62:63], exec
	s_and_b64 s[66:67], s[66:67], exec
	s_mov_b64 vcc, -1
	s_or_b64 s[62:63], s[62:63], s[66:67]
	s_and_saveexec_b64 s[66:67], s[64:65]
	s_cbranch_execz .LBB2_102
; %bb.106:                              ;   in Loop: Header=BB2_103 Depth=2
	s_sleep 1
	s_trap 2
	ds_read_b64 v[2:3], v0
	v_accvgpr_read_b32 v4, a22
	v_accvgpr_read_b32 v5, a23
	s_andn2_b64 s[62:63], s[62:63], exec
	s_waitcnt lgkmcnt(0)
	v_cmp_ge_u64_e32 vcc, v[2:3], v[4:5]
	s_orn2_b64 vcc, vcc, exec
	s_branch .LBB2_102
.LBB2_107:                              ;   in Loop: Header=BB2_49 Depth=1
	s_or_b64 exec, exec, s[58:59]
	s_and_saveexec_b64 vcc, s[60:61]
	s_xor_b64 vcc, exec, vcc
	s_cbranch_execz .LBB2_109
; %bb.108:                              ;   in Loop: Header=BB2_49 Depth=1
	ds_write_b32 v0, v35
	s_trap 2
.LBB2_109:                              ;   in Loop: Header=BB2_49 Depth=1
	s_or_b64 exec, exec, s[56:57]
	;;#ASMSTART
	s_wakeup
	;;#ASMEND
.LBB2_110:                              ;   in Loop: Header=BB2_49 Depth=1
	s_or_b64 exec, exec, s[54:55]
.LBB2_111:                              ;   in Loop: Header=BB2_49 Depth=1
	s_andn2_saveexec_b64 s[24:25], s[24:25]
	s_cbranch_execz .LBB2_113
; %bb.112:                              ;   in Loop: Header=BB2_49 Depth=1
	s_waitcnt vmcnt(0) lgkmcnt(0)
	buffer_wbinvl1_vol
	s_barrier
.LBB2_113:                              ;   in Loop: Header=BB2_49 Depth=1
	s_or_b64 exec, exec, s[24:25]
.LBB2_114:                              ;   in Loop: Header=BB2_49 Depth=1
	s_or_b64 exec, exec, s[22:23]
	s_trap 2
	s_waitcnt lgkmcnt(0)
	ds_read_b64 v[2:3], v0
	s_waitcnt lgkmcnt(0)
	v_readfirstlane_b32 s22, v2
	v_readfirstlane_b32 s23, v3
	s_cmp_eq_u64 s[22:23], 0
	s_cselect_b64 s[22:23], -1, 0
	s_or_b64 s[24:25], s[22:23], s[22:23]
	s_mov_b64 s[22:23], 0
	s_and_b64 vcc, exec, s[24:25]
	s_cbranch_vccnz .LBB2_2435
; %bb.115:                              ;   in Loop: Header=BB2_49 Depth=1
	s_mov_b64 s[24:25], -1
	s_and_saveexec_b64 s[22:23], s[16:17]
	s_cbranch_execz .LBB2_117
; %bb.116:                              ;   in Loop: Header=BB2_49 Depth=1
	ds_read_b32 v1, v0 offset:720
	s_waitcnt lgkmcnt(0)
	v_and_b32_e32 v1, 15, v1
	v_cmp_eq_u32_e32 vcc, 0, v1
	s_orn2_b64 s[24:25], vcc, exec
.LBB2_117:                              ;   in Loop: Header=BB2_49 Depth=1
	s_or_b64 exec, exec, s[22:23]
	s_and_saveexec_b64 s[22:23], s[18:19]
	s_cbranch_execz .LBB2_119
; %bb.118:                              ;   in Loop: Header=BB2_49 Depth=1
	ds_read_b32 v1, v0 offset:784
	s_waitcnt lgkmcnt(0)
	v_and_b32_e32 v1, 15, v1
	v_cmp_eq_u32_e32 vcc, 0, v1
	s_and_b64 vcc, s[24:25], vcc
	s_andn2_b64 s[24:25], s[24:25], exec
	s_and_b64 vcc, vcc, exec
	s_or_b64 s[24:25], s[24:25], vcc
.LBB2_119:                              ;   in Loop: Header=BB2_49 Depth=1
	s_or_b64 exec, exec, s[22:23]
	v_cmp_eq_u32_e32 vcc, 0, v0
	s_xor_b64 s[24:25], s[24:25], -1
	v_cndmask_b32_e32 v37, 0, v48, vcc
	v_cndmask_b32_e64 v0, 0, 1, s[24:25]
	v_mov_b32_e32 v4, 0
	s_mov_b64 s[22:23], -1
	;;#ASMSTART
	;;#ASMEND
	v_cmp_ne_u32_e32 vcc, 0, v0
	v_mov_b32_e32 v5, v37
	v_accvgpr_read_b32 v6, a3
	v_mov_b32_e32 v2, v54
	s_cbranch_vccz .LBB2_121
; %bb.120:                              ;   in Loop: Header=BB2_49 Depth=1
	s_and_saveexec_b64 s[24:25], s[22:23]
	s_cbranch_execnz .LBB2_2166
	s_branch .LBB2_2434
.LBB2_121:                              ;   in Loop: Header=BB2_49 Depth=1
	v_lshrrev_b32_e32 v0, 11, v37
	v_sub_u32_e32 v41, v0, v54
	v_cmp_lt_i32_e32 vcc, 0, v41
	s_and_saveexec_b64 s[24:25], vcc
	s_cbranch_execz .LBB2_1477
; %bb.122:                              ;   in Loop: Header=BB2_49 Depth=1
	s_trap 2
	ds_read_b128 v[0:3], v0
	v_accvgpr_read_b32 v4, a32
	v_accvgpr_read_b32 v5, a31
	v_accvgpr_write_b32 a37, v56
	v_accvgpr_write_b32 a38, v57
	s_waitcnt lgkmcnt(0)
	ds_read_b64 v[6:7], v0
	v_add_co_u32_e32 v44, vcc, v0, v4
	v_addc_co_u32_e32 v45, vcc, v1, v5, vcc
	v_add_co_u32_e32 v46, vcc, v2, v4
	s_waitcnt lgkmcnt(0)
	v_readfirstlane_b32 s22, v6
	v_addc_co_u32_e32 v47, vcc, v3, v5, vcc
	s_and_b32 s23, s22, 7
	v_add_co_u32_e32 v56, vcc, v6, v4
	s_flbit_i32_b32 s23, s23
	v_addc_co_u32_e32 v57, vcc, v7, v5, vcc
	s_min_u32 s23, s23, 32
	s_and_b32 vcc_lo, s22, 0x7f
	s_bfe_u32 vcc_hi, s22, 0x40003
	s_sub_i32 s54, s23, 28
	s_sub_i32 s23, 29, s23
	s_cmp_lt_u32 vcc_lo, 8
	s_cselect_b32 s23, s23, vcc_hi
	s_cselect_b32 vcc_hi, s54, 0
	s_lshl_b32 s22, s22, 24
	s_lshl_b32 s23, s23, 23
	v_lshlrev_b64 v[0:1], vcc_hi, v[6:7]
	s_and_b32 s22, s22, 0x80000000
	s_add_i32 s23, s23, 0x3c000000
	v_lshlrev_b32_e32 v0, 20, v0
	s_or_b32 s22, s22, s23
	v_and_b32_e32 v0, 0x700000, v0
	s_cmpk_lg_i32 vcc_lo, 0x7f
	v_or_b32_e32 v0, s22, v0
	s_cselect_b64 vcc, -1, 0
	v_mov_b32_e32 v1, 0x7f800001
	v_accvgpr_write_b32 a42, v60
	v_cndmask_b32_e32 v0, v1, v0, vcc
	v_accvgpr_write_b32 a45, v37
	v_accvgpr_write_b32 a46, v48
	;; [unrolled: 1-line block ×14, first 2 shown]
	s_mov_b64 s[54:55], 0
	s_branch .LBB2_124
.LBB2_123:                              ;   in Loop: Header=BB2_124 Depth=2
	s_or_b64 exec, exec, s[22:23]
	v_lshlrev_b32_e32 v3, 8, v24
	v_perm_b32 v3, v3, v62, s77
	v_lshl_or_b32 v3, v37, 16, v3
	v_lshl_or_b32 v51, v6, 24, v3
	v_and_b32_e32 v3, 0xff, v25
	v_lshlrev_b32_e32 v1, 8, v1
	v_lshlrev_b32_e32 v6, 24, v30
	;; [unrolled: 1-line block ×3, first 2 shown]
	v_perm_b32 v1, v1, v55, s77
	v_or3_b32 v50, v6, v3, v1
	v_and_b32_e32 v1, 0xff, v8
	v_lshlrev_b32_e32 v3, 24, v4
	v_lshlrev_b32_e32 v4, 8, v7
	;; [unrolled: 1-line block ×3, first 2 shown]
	v_perm_b32 v4, v4, v5, s77
	v_or3_b32 v52, v3, v1, v4
	v_lshlrev_b32_e32 v1, 8, v15
	v_perm_b32 v1, v1, v9, s77
	v_lshl_or_b32 v1, v21, 16, v1
	v_lshl_or_b32 v53, v16, 24, v1
	v_lshlrev_b32_e32 v1, 8, v14
	v_perm_b32 v1, v1, v27, s77
	v_lshl_or_b32 v1, v32, 16, v1
	v_lshl_or_b32 v5, v11, 24, v1
	v_and_b32_e32 v1, 0xff, v33
	v_lshlrev_b32_e32 v4, 8, v31
	v_lshlrev_b32_e32 v3, 24, v35
	;; [unrolled: 1-line block ×3, first 2 shown]
	v_perm_b32 v4, v4, v17, s77
	v_or3_b32 v4, v3, v1, v4
	v_and_b32_e32 v1, 0xff, v48
	v_lshlrev_b32_e32 v3, 8, v36
	v_lshlrev_b32_e32 v0, 24, v0
	;; [unrolled: 1-line block ×3, first 2 shown]
	v_perm_b32 v3, v3, v34, s77
	v_or3_b32 v6, v0, v1, v3
	v_lshlrev_b32_e32 v0, 8, v10
	v_perm_b32 v0, v0, v19, s77
	v_lshl_or_b32 v0, v26, 16, v0
	v_accvgpr_read_b32 v1, a33
	v_lshl_or_b32 v7, v2, 24, v0
	v_add_co_u32_e32 v44, vcc, v44, v1
	v_accvgpr_read_b32 v2, a34
	v_addc_co_u32_e32 v45, vcc, v45, v2, vcc
	v_add_co_u32_e32 v46, vcc, v46, v1
	v_accvgpr_read_b32 v0, a28
	v_addc_co_u32_e32 v47, vcc, v47, v2, vcc
	v_sub_u32_e32 v41, v41, v0
	v_cmp_gt_i32_e32 vcc, 1, v41
	global_store_dwordx4 v[56:57], v[50:53], off glc slc
	global_store_dwordx4 v[56:57], v[4:7], off offset:1024 glc slc
	s_or_b64 s[54:55], vcc, s[54:55]
	v_add_co_u32_e32 v56, vcc, v56, v1
	v_addc_co_u32_e32 v57, vcc, v57, v2, vcc
	s_andn2_b64 exec, exec, s[54:55]
	s_cbranch_execz .LBB2_1476
.LBB2_124:                              ;   Parent Loop BB2_49 Depth=1
                                        ; =>  This Inner Loop Header: Depth=2
	v_accvgpr_read_b32 v0, a48
	v_cmp_lt_i16_sdwa s[22:23], v0, s75 src0_sel:BYTE_0 src1_sel:DWORD
	s_and_b64 vcc, exec, s[22:23]
	s_cbranch_vccnz .LBB2_128
; %bb.125:                              ;   in Loop: Header=BB2_124 Depth=2
	v_cmp_eq_u16_sdwa vcc, v0, s75 src0_sel:BYTE_0 src1_sel:DWORD
	s_mov_b64 s[22:23], -1
	s_and_b64 vcc, exec, vcc
                                        ; implicit-def: $sgpr56
	s_cbranch_vccz .LBB2_127
; %bb.126:                              ;   in Loop: Header=BB2_124 Depth=2
	s_mov_b64 s[22:23], 0
	s_brev_b32 s56, 1
.LBB2_127:                              ;   in Loop: Header=BB2_124 Depth=2
	s_branch .LBB2_130
.LBB2_128:                              ;   in Loop: Header=BB2_124 Depth=2
	s_mov_b64 s[22:23], 0
                                        ; implicit-def: $sgpr56
	s_cbranch_execz .LBB2_130
; %bb.129:                              ;   in Loop: Header=BB2_124 Depth=2
	v_cmp_ne_u16_sdwa s[22:23], v0, v39 src0_sel:BYTE_0 src1_sel:DWORD
	s_mov_b32 s56, 0
.LBB2_130:                              ;   in Loop: Header=BB2_124 Depth=2
	s_andn2_b64 vcc, exec, s[22:23]
	v_mov_b32_e32 v7, s56
	s_cbranch_vccnz .LBB2_132
; %bb.131:                              ;   in Loop: Header=BB2_124 Depth=2
	v_accvgpr_read_b32 v7, a47
.LBB2_132:                              ;   in Loop: Header=BB2_124 Depth=2
	global_load_dwordx4 v[10:13], v[44:45], off glc slc
	v_mov_b32_e32 v0, 0
	s_waitcnt vmcnt(0)
	v_cmp_ne_u16_sdwa vcc, v10, v39 src0_sel:BYTE_0 src1_sel:DWORD
	s_and_saveexec_b64 s[22:23], vcc
	s_cbranch_execz .LBB2_138
; %bb.133:                              ;   in Loop: Header=BB2_124 Depth=2
	v_cmp_ne_u16_sdwa vcc, v10, s75 src0_sel:BYTE_0 src1_sel:DWORD
	v_bfrev_b32_e32 v0, 1
	s_and_saveexec_b64 s[56:57], vcc
	s_cbranch_execz .LBB2_137
; %bb.134:                              ;   in Loop: Header=BB2_124 Depth=2
	v_and_b32_e32 v1, 0x7f, v10
	v_cmp_ne_u32_e32 vcc, s74, v1
	v_mov_b32_e32 v0, 0x7f800001
	s_and_saveexec_b64 s[58:59], vcc
	s_cbranch_execz .LBB2_136
; %bb.135:                              ;   in Loop: Header=BB2_124 Depth=2
	v_and_b32_e32 v0, 7, v10
	v_ffbh_u32_e32 v0, v0
	v_min_u32_e32 v0, 32, v0
	v_lshrrev_b32_e32 v2, 3, v1
	v_subrev_u32_e32 v3, 28, v0
	v_sub_u32_e32 v0, 29, v0
	v_cmp_gt_u32_e32 vcc, 8, v1
	v_cndmask_b32_e32 v2, v2, v0, vcc
	v_cndmask_b32_e32 v0, 0, v3, vcc
	v_lshlrev_b64 v[0:1], v0, v[10:11]
	v_lshlrev_b32_e32 v0, 20, v0
	v_lshlrev_b32_e32 v1, 24, v10
	v_and_b32_e32 v0, 0x700000, v0
	v_and_b32_e32 v1, 0x80000000, v1
	v_lshl_add_u32 v2, v2, 23, v20
	v_or3_b32 v0, v1, v2, v0
.LBB2_136:                              ;   in Loop: Header=BB2_124 Depth=2
	s_or_b64 exec, exec, s[58:59]
.LBB2_137:                              ;   in Loop: Header=BB2_124 Depth=2
	s_or_b64 exec, exec, s[56:57]
.LBB2_138:                              ;   in Loop: Header=BB2_124 Depth=2
	s_or_b64 exec, exec, s[22:23]
	v_mul_f32_e32 v2, v7, v0
	v_and_b32_sdwa v0, v2, s75 dst_sel:DWORD dst_unused:UNUSED_PAD src0_sel:BYTE_3 src1_sel:DWORD
	v_and_b32_e32 v4, 0x7f800000, v2
	v_mov_b32_e32 v5, v39
	v_and_b32_e32 v38, 0x7fffff, v2
	v_or_b32_e32 v1, 0x7e, v0
	v_cmp_ne_u64_e32 vcc, s[42:43], v[4:5]
	s_and_saveexec_b64 s[22:23], vcc
	s_xor_b64 s[56:57], exec, s[22:23]
	s_cbranch_execz .LBB2_148
; %bb.139:                              ;   in Loop: Header=BB2_124 Depth=2
	v_and_b32_e32 v4, 0x7fffffff, v2
	v_mov_b32_e32 v5, v39
	v_cmp_gt_u64_e32 vcc, s[44:45], v[4:5]
	s_and_saveexec_b64 s[58:59], vcc
	s_cbranch_execz .LBB2_147
; %bb.140:                              ;   in Loop: Header=BB2_124 Depth=2
	v_cmp_ne_u32_e32 vcc, 0, v2
	v_mov_b32_e32 v1, 0
	s_and_saveexec_b64 s[60:61], vcc
	s_cbranch_execz .LBB2_146
; %bb.141:                              ;   in Loop: Header=BB2_124 Depth=2
	v_bfe_u32 v1, v2, 23, 8
	v_sub_u32_e32 v3, 0x79, v1
	v_cmp_gt_u32_e32 vcc, s76, v1
	v_cndmask_b32_e32 v3, 0, v3, vcc
	v_cmp_eq_u32_e32 vcc, 0, v1
	v_add_u32_e32 v2, 0xffffff81, v1
	v_or_b32_e32 v4, 0x800000, v38
	v_mov_b32_e32 v1, 0xffffff82
	v_cndmask_b32_e32 v5, v3, v18, vcc
	v_cndmask_b32_e32 v1, v2, v1, vcc
	;; [unrolled: 1-line block ×3, first 2 shown]
	v_add_u32_e32 v2, 20, v5
	v_lshlrev_b64 v[2:3], v2, -1
	v_add_u32_e32 v4, 19, v5
	v_lshrrev_b64 v[14:15], v5, v[38:39]
	v_not_b32_e32 v3, v3
	v_not_b32_e32 v2, v2
	v_lshlrev_b64 v[8:9], v4, 1
	v_lshrrev_b32_e32 v4, 23, v14
	v_and_b32_e32 v3, 0, v3
	v_and_b32_e32 v2, v38, v2
	v_add3_u32 v5, v5, v1, v4
	v_bfe_u32 v1, v14, 20, 1
	v_add_u32_e32 v1, -1, v1
	v_cmp_eq_u64_e32 vcc, v[2:3], v[8:9]
	v_cndmask_b32_e32 v1, 0, v1, vcc
	v_add_u32_e32 v1, v1, v14
	v_and_b32_e32 v1, 0xfffff, v1
	v_add_co_u32_e32 v2, vcc, v1, v14
	v_add_u32_e32 v4, 6, v5
	v_addc_co_u32_e32 v3, vcc, 0, v15, vcc
	v_cmp_ne_u32_e32 vcc, 0, v4
                                        ; implicit-def: $vgpr1
	s_and_saveexec_b64 s[22:23], vcc
	s_xor_b64 s[22:23], exec, s[22:23]
; %bb.142:                              ;   in Loop: Header=BB2_124 Depth=2
	v_add_u32_e32 v1, 7, v5
	v_cmp_lt_u64_e32 vcc, s[48:49], v[2:3]
	v_cndmask_b32_e32 v1, v4, v1, vcc
	v_cndmask_b32_e64 v4, 0, 1, vcc
	v_lshrrev_b64 v[2:3], v4, v[2:3]
; %bb.143:                              ;   in Loop: Header=BB2_124 Depth=2
	s_andn2_saveexec_b64 s[22:23], s[22:23]
; %bb.144:                              ;   in Loop: Header=BB2_124 Depth=2
	v_bfe_u32 v1, v2, 23, 1
; %bb.145:                              ;   in Loop: Header=BB2_124 Depth=2
	s_or_b64 exec, exec, s[22:23]
	v_lshrrev_b64 v[2:3], 20, v[2:3]
	v_cmp_gt_i32_e32 vcc, 16, v1
	v_cndmask_b32_e32 v3, 0, v3, vcc
	v_cndmask_b32_e32 v2, 7, v2, vcc
	v_cmp_eq_u32_e32 vcc, 0, v1
	v_min_i32_e32 v1, 15, v1
	v_cmp_eq_u64_e64 s[22:23], 0, v[2:3]
	v_lshlrev_b32_e32 v1, 3, v1
	v_and_or_b32 v1, v2, 7, v1
	s_and_b64 s[22:23], vcc, s[22:23]
	v_cndmask_b32_e64 v1, v1, 0, s[22:23]
	v_or_b32_e32 v1, v1, v0
.LBB2_146:                              ;   in Loop: Header=BB2_124 Depth=2
	s_or_b64 exec, exec, s[60:61]
.LBB2_147:                              ;   in Loop: Header=BB2_124 Depth=2
	s_or_b64 exec, exec, s[58:59]
                                        ; implicit-def: $vgpr2
.LBB2_148:                              ;   in Loop: Header=BB2_124 Depth=2
	s_andn2_saveexec_b64 s[22:23], s[56:57]
; %bb.149:                              ;   in Loop: Header=BB2_124 Depth=2
	v_or_b32_sdwa v0, v2, s74 dst_sel:DWORD dst_unused:UNUSED_PAD src0_sel:BYTE_3 src1_sel:DWORD
	v_cmp_eq_u64_e32 vcc, 0, v[38:39]
	v_cndmask_b32_e32 v1, v0, v1, vcc
; %bb.150:                              ;   in Loop: Header=BB2_124 Depth=2
	s_or_b64 exec, exec, s[22:23]
	v_lshrrev_b16_e32 v2, 8, v10
	v_cmp_ne_u16_e32 vcc, 0, v2
	v_mov_b32_e32 v0, 0
	s_and_saveexec_b64 s[22:23], vcc
	s_cbranch_execz .LBB2_156
; %bb.151:                              ;   in Loop: Header=BB2_124 Depth=2
	v_cmp_ne_u16_e32 vcc, s75, v2
	v_bfrev_b32_e32 v0, 1
	s_and_saveexec_b64 s[56:57], vcc
	s_cbranch_execz .LBB2_155
; %bb.152:                              ;   in Loop: Header=BB2_124 Depth=2
	v_and_b32_e32 v3, 0x7f, v2
	v_cmp_ne_u32_e32 vcc, s74, v3
	v_mov_b32_e32 v0, 0x7f800001
	s_and_saveexec_b64 s[58:59], vcc
	s_cbranch_execz .LBB2_154
; %bb.153:                              ;   in Loop: Header=BB2_124 Depth=2
	v_and_b32_e32 v0, 7, v2
	v_ffbh_u32_e32 v4, v0
	v_min_u32_e32 v8, 32, v4
	v_subrev_u32_e32 v4, 28, v8
	v_lshlrev_b64 v[4:5], v4, v[2:3]
	v_lshrrev_b32_e32 v6, 3, v3
	v_sub_u32_e32 v2, 29, v8
	v_and_b32_e32 v4, 7, v4
	v_cmp_gt_u32_e32 vcc, 8, v3
	v_cndmask_b32_e32 v2, v6, v2, vcc
	v_cndmask_b32_e32 v0, v0, v4, vcc
	v_lshlrev_b32_e32 v3, 16, v10
	v_lshlrev_b32_e32 v0, 20, v0
	v_and_b32_e32 v3, 0x80000000, v3
	v_lshl_add_u32 v2, v2, 23, v20
	v_or3_b32 v0, v3, v2, v0
.LBB2_154:                              ;   in Loop: Header=BB2_124 Depth=2
	s_or_b64 exec, exec, s[58:59]
.LBB2_155:                              ;   in Loop: Header=BB2_124 Depth=2
	s_or_b64 exec, exec, s[56:57]
.LBB2_156:                              ;   in Loop: Header=BB2_124 Depth=2
	s_or_b64 exec, exec, s[22:23]
	v_mul_f32_e32 v2, v7, v0
	v_and_b32_sdwa v0, v2, s75 dst_sel:DWORD dst_unused:UNUSED_PAD src0_sel:BYTE_3 src1_sel:DWORD
	v_and_b32_e32 v4, 0x7f800000, v2
	v_mov_b32_e32 v5, v39
	v_and_b32_e32 v38, 0x7fffff, v2
	v_or_b32_e32 v9, 0x7e, v0
	v_cmp_ne_u64_e32 vcc, s[42:43], v[4:5]
	s_and_saveexec_b64 s[22:23], vcc
	s_xor_b64 s[56:57], exec, s[22:23]
	s_cbranch_execz .LBB2_166
; %bb.157:                              ;   in Loop: Header=BB2_124 Depth=2
	v_and_b32_e32 v4, 0x7fffffff, v2
	v_mov_b32_e32 v5, v39
	v_cmp_gt_u64_e32 vcc, s[44:45], v[4:5]
	s_and_saveexec_b64 s[58:59], vcc
	s_cbranch_execz .LBB2_165
; %bb.158:                              ;   in Loop: Header=BB2_124 Depth=2
	v_cmp_ne_u32_e32 vcc, 0, v2
	v_mov_b32_e32 v9, 0
	s_and_saveexec_b64 s[60:61], vcc
	s_cbranch_execz .LBB2_164
; %bb.159:                              ;   in Loop: Header=BB2_124 Depth=2
	v_bfe_u32 v2, v2, 23, 8
	v_sub_u32_e32 v4, 0x79, v2
	v_cmp_gt_u32_e32 vcc, s76, v2
	v_cndmask_b32_e32 v4, 0, v4, vcc
	v_cmp_eq_u32_e32 vcc, 0, v2
	v_add_u32_e32 v3, 0xffffff81, v2
	v_or_b32_e32 v5, 0x800000, v38
	v_mov_b32_e32 v2, 0xffffff82
	v_cndmask_b32_e32 v4, v4, v18, vcc
	v_cndmask_b32_e32 v6, v3, v2, vcc
	;; [unrolled: 1-line block ×3, first 2 shown]
	v_add_u32_e32 v2, 20, v4
	v_lshlrev_b64 v[2:3], v2, -1
	v_add_u32_e32 v5, 19, v4
	v_lshrrev_b64 v[14:15], v4, v[38:39]
	v_not_b32_e32 v3, v3
	v_not_b32_e32 v2, v2
	v_lshlrev_b64 v[8:9], v5, 1
	v_lshrrev_b32_e32 v5, 23, v14
	v_and_b32_e32 v3, 0, v3
	v_and_b32_e32 v2, v38, v2
	v_add3_u32 v6, v4, v6, v5
	v_bfe_u32 v4, v14, 20, 1
	v_add_u32_e32 v4, -1, v4
	v_cmp_eq_u64_e32 vcc, v[2:3], v[8:9]
	v_cndmask_b32_e32 v2, 0, v4, vcc
	v_add_u32_e32 v2, v2, v14
	v_and_b32_e32 v2, 0xfffff, v2
	v_add_co_u32_e32 v2, vcc, v2, v14
	v_add_u32_e32 v5, 6, v6
	v_addc_co_u32_e32 v3, vcc, 0, v15, vcc
	v_cmp_ne_u32_e32 vcc, 0, v5
                                        ; implicit-def: $vgpr4
	s_and_saveexec_b64 s[22:23], vcc
	s_xor_b64 s[22:23], exec, s[22:23]
; %bb.160:                              ;   in Loop: Header=BB2_124 Depth=2
	v_add_u32_e32 v4, 7, v6
	v_cmp_lt_u64_e32 vcc, s[48:49], v[2:3]
	v_cndmask_b32_e32 v4, v5, v4, vcc
	v_cndmask_b32_e64 v5, 0, 1, vcc
	v_lshrrev_b64 v[2:3], v5, v[2:3]
; %bb.161:                              ;   in Loop: Header=BB2_124 Depth=2
	s_andn2_saveexec_b64 s[22:23], s[22:23]
; %bb.162:                              ;   in Loop: Header=BB2_124 Depth=2
	v_bfe_u32 v4, v2, 23, 1
; %bb.163:                              ;   in Loop: Header=BB2_124 Depth=2
	s_or_b64 exec, exec, s[22:23]
	v_lshrrev_b64 v[2:3], 20, v[2:3]
	v_cmp_gt_i32_e32 vcc, 16, v4
	v_cndmask_b32_e32 v3, 0, v3, vcc
	v_cndmask_b32_e32 v2, 7, v2, vcc
	v_cmp_eq_u64_e64 s[22:23], 0, v[2:3]
	v_min_i32_e32 v3, 15, v4
	v_cmp_eq_u32_e32 vcc, 0, v4
	v_lshlrev_b32_e32 v3, 3, v3
	v_and_or_b32 v2, v2, 7, v3
	s_and_b64 s[22:23], vcc, s[22:23]
	v_cndmask_b32_e64 v2, v2, 0, s[22:23]
	v_or_b32_e32 v9, v2, v0
.LBB2_164:                              ;   in Loop: Header=BB2_124 Depth=2
	s_or_b64 exec, exec, s[60:61]
.LBB2_165:                              ;   in Loop: Header=BB2_124 Depth=2
	s_or_b64 exec, exec, s[58:59]
                                        ; implicit-def: $vgpr2
.LBB2_166:                              ;   in Loop: Header=BB2_124 Depth=2
	s_andn2_saveexec_b64 s[22:23], s[56:57]
; %bb.167:                              ;   in Loop: Header=BB2_124 Depth=2
	v_or_b32_sdwa v0, v2, s74 dst_sel:DWORD dst_unused:UNUSED_PAD src0_sel:BYTE_3 src1_sel:DWORD
	v_cmp_eq_u64_e32 vcc, 0, v[38:39]
	v_cndmask_b32_e32 v9, v0, v9, vcc
; %bb.168:                              ;   in Loop: Header=BB2_124 Depth=2
	s_or_b64 exec, exec, s[22:23]
	v_lshrrev_b32_e32 v2, 16, v10
	v_cmp_ne_u16_sdwa vcc, v2, v39 src0_sel:BYTE_0 src1_sel:DWORD
	v_mov_b32_e32 v0, 0
	s_and_saveexec_b64 s[22:23], vcc
	s_cbranch_execz .LBB2_174
; %bb.169:                              ;   in Loop: Header=BB2_124 Depth=2
	v_cmp_ne_u16_sdwa vcc, v2, s75 src0_sel:BYTE_0 src1_sel:DWORD
	v_bfrev_b32_e32 v0, 1
	s_and_saveexec_b64 s[56:57], vcc
	s_cbranch_execz .LBB2_173
; %bb.170:                              ;   in Loop: Header=BB2_124 Depth=2
	v_bfe_u32 v3, v10, 16, 7
	v_cmp_ne_u32_e32 vcc, s74, v3
	v_mov_b32_e32 v0, 0x7f800001
	s_and_saveexec_b64 s[58:59], vcc
	s_cbranch_execz .LBB2_172
; %bb.171:                              ;   in Loop: Header=BB2_124 Depth=2
	v_and_b32_e32 v0, 7, v2
	v_ffbh_u32_e32 v4, v0
	v_min_u32_e32 v8, 32, v4
	v_subrev_u32_e32 v4, 28, v8
	v_lshlrev_b64 v[4:5], v4, v[2:3]
	v_lshrrev_b32_e32 v6, 3, v3
	v_sub_u32_e32 v5, 29, v8
	v_and_b32_e32 v4, 7, v4
	v_cmp_gt_u32_e32 vcc, 8, v3
	v_cndmask_b32_e32 v3, v6, v5, vcc
	v_cndmask_b32_e32 v0, v0, v4, vcc
	v_lshlrev_b32_e32 v2, 24, v2
	v_lshlrev_b32_e32 v0, 20, v0
	v_and_b32_e32 v2, 0x80000000, v2
	v_lshl_add_u32 v3, v3, 23, v20
	v_or3_b32 v0, v2, v3, v0
.LBB2_172:                              ;   in Loop: Header=BB2_124 Depth=2
	s_or_b64 exec, exec, s[58:59]
.LBB2_173:                              ;   in Loop: Header=BB2_124 Depth=2
	s_or_b64 exec, exec, s[56:57]
.LBB2_174:                              ;   in Loop: Header=BB2_124 Depth=2
	s_or_b64 exec, exec, s[22:23]
	v_mul_f32_e32 v3, v7, v0
	v_and_b32_sdwa v0, v3, s75 dst_sel:DWORD dst_unused:UNUSED_PAD src0_sel:BYTE_3 src1_sel:DWORD
	v_and_b32_e32 v4, 0x7f800000, v3
	v_mov_b32_e32 v5, v39
	v_and_b32_e32 v38, 0x7fffff, v3
	v_or_b32_e32 v2, 0x7e, v0
	v_cmp_ne_u64_e32 vcc, s[42:43], v[4:5]
	s_and_saveexec_b64 s[22:23], vcc
	s_xor_b64 s[56:57], exec, s[22:23]
	s_cbranch_execz .LBB2_184
; %bb.175:                              ;   in Loop: Header=BB2_124 Depth=2
	v_and_b32_e32 v4, 0x7fffffff, v3
	v_mov_b32_e32 v5, v39
	v_cmp_gt_u64_e32 vcc, s[44:45], v[4:5]
	s_and_saveexec_b64 s[58:59], vcc
	s_cbranch_execz .LBB2_183
; %bb.176:                              ;   in Loop: Header=BB2_124 Depth=2
	v_cmp_ne_u32_e32 vcc, 0, v3
	v_mov_b32_e32 v2, 0
	s_and_saveexec_b64 s[60:61], vcc
	s_cbranch_execz .LBB2_182
; %bb.177:                              ;   in Loop: Header=BB2_124 Depth=2
	v_bfe_u32 v2, v3, 23, 8
	v_sub_u32_e32 v4, 0x79, v2
	v_cmp_gt_u32_e32 vcc, s76, v2
	v_cndmask_b32_e32 v4, 0, v4, vcc
	v_cmp_eq_u32_e32 vcc, 0, v2
	v_add_u32_e32 v3, 0xffffff81, v2
	v_or_b32_e32 v5, 0x800000, v38
	v_mov_b32_e32 v2, 0xffffff82
	v_cndmask_b32_e32 v4, v4, v18, vcc
	v_cndmask_b32_e32 v6, v3, v2, vcc
	;; [unrolled: 1-line block ×3, first 2 shown]
	v_add_u32_e32 v2, 20, v4
	v_lshlrev_b64 v[2:3], v2, -1
	v_add_u32_e32 v5, 19, v4
	v_lshrrev_b64 v[16:17], v4, v[38:39]
	v_not_b32_e32 v3, v3
	v_not_b32_e32 v2, v2
	v_lshlrev_b64 v[14:15], v5, 1
	v_lshrrev_b32_e32 v5, 23, v16
	v_and_b32_e32 v3, 0, v3
	v_and_b32_e32 v2, v38, v2
	v_add3_u32 v6, v4, v6, v5
	v_bfe_u32 v4, v16, 20, 1
	v_add_u32_e32 v4, -1, v4
	v_cmp_eq_u64_e32 vcc, v[2:3], v[14:15]
	v_cndmask_b32_e32 v2, 0, v4, vcc
	v_add_u32_e32 v2, v2, v16
	v_and_b32_e32 v2, 0xfffff, v2
	v_add_co_u32_e32 v2, vcc, v2, v16
	v_add_u32_e32 v5, 6, v6
	v_addc_co_u32_e32 v3, vcc, 0, v17, vcc
	v_cmp_ne_u32_e32 vcc, 0, v5
                                        ; implicit-def: $vgpr4
	s_and_saveexec_b64 s[22:23], vcc
	s_xor_b64 s[22:23], exec, s[22:23]
; %bb.178:                              ;   in Loop: Header=BB2_124 Depth=2
	v_add_u32_e32 v4, 7, v6
	v_cmp_lt_u64_e32 vcc, s[48:49], v[2:3]
	v_cndmask_b32_e32 v4, v5, v4, vcc
	v_cndmask_b32_e64 v5, 0, 1, vcc
	v_lshrrev_b64 v[2:3], v5, v[2:3]
; %bb.179:                              ;   in Loop: Header=BB2_124 Depth=2
	s_andn2_saveexec_b64 s[22:23], s[22:23]
; %bb.180:                              ;   in Loop: Header=BB2_124 Depth=2
	v_bfe_u32 v4, v2, 23, 1
; %bb.181:                              ;   in Loop: Header=BB2_124 Depth=2
	s_or_b64 exec, exec, s[22:23]
	v_lshrrev_b64 v[2:3], 20, v[2:3]
	v_cmp_gt_i32_e32 vcc, 16, v4
	v_cndmask_b32_e32 v3, 0, v3, vcc
	v_cndmask_b32_e32 v2, 7, v2, vcc
	v_cmp_eq_u64_e64 s[22:23], 0, v[2:3]
	v_min_i32_e32 v3, 15, v4
	v_cmp_eq_u32_e32 vcc, 0, v4
	v_lshlrev_b32_e32 v3, 3, v3
	v_and_or_b32 v2, v2, 7, v3
	s_and_b64 s[22:23], vcc, s[22:23]
	v_cndmask_b32_e64 v2, v2, 0, s[22:23]
	v_or_b32_e32 v2, v2, v0
.LBB2_182:                              ;   in Loop: Header=BB2_124 Depth=2
	s_or_b64 exec, exec, s[60:61]
.LBB2_183:                              ;   in Loop: Header=BB2_124 Depth=2
	s_or_b64 exec, exec, s[58:59]
                                        ; implicit-def: $vgpr3
.LBB2_184:                              ;   in Loop: Header=BB2_124 Depth=2
	s_andn2_saveexec_b64 s[22:23], s[56:57]
; %bb.185:                              ;   in Loop: Header=BB2_124 Depth=2
	v_or_b32_sdwa v0, v3, s74 dst_sel:DWORD dst_unused:UNUSED_PAD src0_sel:BYTE_3 src1_sel:DWORD
	v_cmp_eq_u64_e32 vcc, 0, v[38:39]
	v_cndmask_b32_e32 v2, v0, v2, vcc
; %bb.186:                              ;   in Loop: Header=BB2_124 Depth=2
	s_or_b64 exec, exec, s[22:23]
	v_cmp_lt_u32_e32 vcc, s47, v10
	v_mov_b32_e32 v0, 0
	s_and_saveexec_b64 s[22:23], vcc
	s_cbranch_execz .LBB2_192
; %bb.187:                              ;   in Loop: Header=BB2_124 Depth=2
	v_lshrrev_b32_e32 v14, 24, v10
	v_cmp_ne_u32_e32 vcc, s75, v14
	v_bfrev_b32_e32 v0, 1
	s_and_saveexec_b64 s[56:57], vcc
	s_cbranch_execz .LBB2_191
; %bb.188:                              ;   in Loop: Header=BB2_124 Depth=2
	v_bfe_u32 v3, v10, 24, 7
	v_cmp_ne_u32_e32 vcc, s74, v3
	v_mov_b32_e32 v0, 0x7f800001
	s_and_saveexec_b64 s[58:59], vcc
	s_cbranch_execz .LBB2_190
; %bb.189:                              ;   in Loop: Header=BB2_124 Depth=2
	v_and_b32_e32 v0, 7, v14
	v_ffbh_u32_e32 v4, v0
	v_min_u32_e32 v8, 32, v4
	v_subrev_u32_e32 v4, 28, v8
	v_lshlrev_b64 v[4:5], v4, v[14:15]
	v_lshrrev_b32_e32 v6, 3, v3
	v_sub_u32_e32 v5, 29, v8
	v_and_b32_e32 v4, 7, v4
	v_cmp_gt_u32_e32 vcc, 8, v3
	v_cndmask_b32_e32 v3, v6, v5, vcc
	v_cndmask_b32_e32 v0, v0, v4, vcc
	v_lshlrev_b32_e32 v4, 24, v14
	v_lshlrev_b32_e32 v0, 20, v0
	v_and_b32_e32 v4, 0x80000000, v4
	v_lshl_add_u32 v3, v3, 23, v20
	v_or3_b32 v0, v4, v3, v0
.LBB2_190:                              ;   in Loop: Header=BB2_124 Depth=2
	s_or_b64 exec, exec, s[58:59]
.LBB2_191:                              ;   in Loop: Header=BB2_124 Depth=2
	s_or_b64 exec, exec, s[56:57]
.LBB2_192:                              ;   in Loop: Header=BB2_124 Depth=2
	s_or_b64 exec, exec, s[22:23]
	v_mul_f32_e32 v3, v7, v0
	v_and_b32_sdwa v0, v3, s75 dst_sel:DWORD dst_unused:UNUSED_PAD src0_sel:BYTE_3 src1_sel:DWORD
	v_and_b32_e32 v4, 0x7f800000, v3
	v_mov_b32_e32 v5, v39
	v_and_b32_e32 v38, 0x7fffff, v3
	v_or_b32_e32 v30, 0x7e, v0
	v_cmp_ne_u64_e32 vcc, s[42:43], v[4:5]
	s_and_saveexec_b64 s[22:23], vcc
	s_xor_b64 s[56:57], exec, s[22:23]
	s_cbranch_execz .LBB2_202
; %bb.193:                              ;   in Loop: Header=BB2_124 Depth=2
	v_and_b32_e32 v4, 0x7fffffff, v3
	v_mov_b32_e32 v5, v39
	v_cmp_gt_u64_e32 vcc, s[44:45], v[4:5]
	s_and_saveexec_b64 s[58:59], vcc
	s_cbranch_execz .LBB2_201
; %bb.194:                              ;   in Loop: Header=BB2_124 Depth=2
	v_cmp_ne_u32_e32 vcc, 0, v3
	v_mov_b32_e32 v30, 0
	s_and_saveexec_b64 s[60:61], vcc
	s_cbranch_execz .LBB2_200
; %bb.195:                              ;   in Loop: Header=BB2_124 Depth=2
	v_bfe_u32 v3, v3, 23, 8
	v_sub_u32_e32 v5, 0x79, v3
	v_cmp_gt_u32_e32 vcc, s76, v3
	v_cndmask_b32_e32 v5, 0, v5, vcc
	v_cmp_eq_u32_e32 vcc, 0, v3
	v_add_u32_e32 v4, 0xffffff81, v3
	v_mov_b32_e32 v3, 0xffffff82
	v_cndmask_b32_e32 v8, v5, v18, vcc
	v_cndmask_b32_e32 v3, v4, v3, vcc
	v_add_u32_e32 v4, 20, v8
	v_or_b32_e32 v6, 0x800000, v38
	v_lshlrev_b64 v[4:5], v4, -1
	v_cndmask_b32_e32 v38, v6, v38, vcc
	v_not_b32_e32 v4, v4
	v_and_b32_e32 v14, v38, v4
	v_add_u32_e32 v4, 19, v8
	v_lshrrev_b64 v[24:25], v8, v[38:39]
	v_not_b32_e32 v5, v5
	v_lshlrev_b64 v[16:17], v4, 1
	v_lshrrev_b32_e32 v4, 23, v24
	v_and_b32_e32 v15, 0, v5
	v_add3_u32 v5, v8, v3, v4
	v_bfe_u32 v3, v24, 20, 1
	v_add_u32_e32 v3, -1, v3
	v_cmp_eq_u64_e32 vcc, v[14:15], v[16:17]
	v_cndmask_b32_e32 v3, 0, v3, vcc
	v_add_u32_e32 v3, v3, v24
	v_and_b32_e32 v3, 0xfffff, v3
	v_add_co_u32_e32 v14, vcc, v3, v24
	v_add_u32_e32 v4, 6, v5
	v_addc_co_u32_e32 v15, vcc, 0, v25, vcc
	v_cmp_ne_u32_e32 vcc, 0, v4
                                        ; implicit-def: $vgpr3
	s_and_saveexec_b64 s[22:23], vcc
	s_xor_b64 s[22:23], exec, s[22:23]
; %bb.196:                              ;   in Loop: Header=BB2_124 Depth=2
	v_add_u32_e32 v3, 7, v5
	v_cmp_lt_u64_e32 vcc, s[48:49], v[14:15]
	v_cndmask_b32_e32 v3, v4, v3, vcc
	v_cndmask_b32_e64 v4, 0, 1, vcc
	v_lshrrev_b64 v[14:15], v4, v[14:15]
; %bb.197:                              ;   in Loop: Header=BB2_124 Depth=2
	s_andn2_saveexec_b64 s[22:23], s[22:23]
; %bb.198:                              ;   in Loop: Header=BB2_124 Depth=2
	v_bfe_u32 v3, v14, 23, 1
; %bb.199:                              ;   in Loop: Header=BB2_124 Depth=2
	s_or_b64 exec, exec, s[22:23]
	v_lshrrev_b64 v[4:5], 20, v[14:15]
	v_cmp_gt_i32_e32 vcc, 16, v3
	v_cndmask_b32_e32 v5, 0, v5, vcc
	v_cndmask_b32_e32 v4, 7, v4, vcc
	v_cmp_eq_u32_e32 vcc, 0, v3
	v_min_i32_e32 v3, 15, v3
	v_cmp_eq_u64_e64 s[22:23], 0, v[4:5]
	v_lshlrev_b32_e32 v3, 3, v3
	v_and_or_b32 v3, v4, 7, v3
	s_and_b64 s[22:23], vcc, s[22:23]
	v_cndmask_b32_e64 v3, v3, 0, s[22:23]
	v_or_b32_e32 v30, v3, v0
.LBB2_200:                              ;   in Loop: Header=BB2_124 Depth=2
	s_or_b64 exec, exec, s[60:61]
.LBB2_201:                              ;   in Loop: Header=BB2_124 Depth=2
	s_or_b64 exec, exec, s[58:59]
                                        ; implicit-def: $vgpr3
.LBB2_202:                              ;   in Loop: Header=BB2_124 Depth=2
	s_andn2_saveexec_b64 s[22:23], s[56:57]
; %bb.203:                              ;   in Loop: Header=BB2_124 Depth=2
	v_or_b32_sdwa v0, v3, s74 dst_sel:DWORD dst_unused:UNUSED_PAD src0_sel:BYTE_3 src1_sel:DWORD
	v_cmp_eq_u64_e32 vcc, 0, v[38:39]
	v_cndmask_b32_e32 v30, v0, v30, vcc
; %bb.204:                              ;   in Loop: Header=BB2_124 Depth=2
	s_or_b64 exec, exec, s[22:23]
	v_mov_b32_e32 v38, v11
	v_cmp_ne_u16_sdwa vcc, v11, v39 src0_sel:BYTE_0 src1_sel:DWORD
	v_mov_b32_e32 v0, 0
	s_and_saveexec_b64 s[22:23], vcc
	s_cbranch_execz .LBB2_210
; %bb.205:                              ;   in Loop: Header=BB2_124 Depth=2
	v_cmp_ne_u16_sdwa vcc, v11, s75 src0_sel:BYTE_0 src1_sel:DWORD
	v_bfrev_b32_e32 v0, 1
	s_and_saveexec_b64 s[56:57], vcc
	s_cbranch_execz .LBB2_209
; %bb.206:                              ;   in Loop: Header=BB2_124 Depth=2
	v_and_b32_e32 v3, 0x7f, v11
	v_cmp_ne_u32_e32 vcc, s74, v3
	v_mov_b32_e32 v0, 0x7f800001
	s_and_saveexec_b64 s[58:59], vcc
	s_cbranch_execz .LBB2_208
; %bb.207:                              ;   in Loop: Header=BB2_124 Depth=2
	v_and_b32_e32 v0, 7, v11
	v_ffbh_u32_e32 v0, v0
	v_min_u32_e32 v0, 32, v0
	v_subrev_u32_e32 v5, 28, v0
	v_cmp_gt_u32_e32 vcc, 8, v3
	v_lshrrev_b32_e32 v4, 3, v3
	v_sub_u32_e32 v0, 29, v0
	v_cndmask_b32_e32 v3, 0, v5, vcc
	v_cndmask_b32_e32 v0, v4, v0, vcc
	v_lshlrev_b64 v[4:5], v3, v[38:39]
	v_lshlrev_b32_e32 v3, 20, v4
	v_lshlrev_b32_e32 v4, 24, v38
	v_and_b32_e32 v3, 0x700000, v3
	v_and_b32_e32 v4, 0x80000000, v4
	v_lshl_add_u32 v0, v0, 23, v20
	v_or3_b32 v0, v4, v0, v3
.LBB2_208:                              ;   in Loop: Header=BB2_124 Depth=2
	s_or_b64 exec, exec, s[58:59]
.LBB2_209:                              ;   in Loop: Header=BB2_124 Depth=2
	s_or_b64 exec, exec, s[56:57]
.LBB2_210:                              ;   in Loop: Header=BB2_124 Depth=2
	s_or_b64 exec, exec, s[22:23]
	v_mul_f32_e32 v3, v7, v0
	v_and_b32_sdwa v0, v3, s75 dst_sel:DWORD dst_unused:UNUSED_PAD src0_sel:BYTE_3 src1_sel:DWORD
	v_and_b32_e32 v4, 0x7f800000, v3
	v_mov_b32_e32 v5, v39
	v_and_b32_e32 v14, 0x7fffff, v3
	v_mov_b32_e32 v15, v39
	v_or_b32_e32 v62, 0x7e, v0
	v_cmp_ne_u64_e32 vcc, s[42:43], v[4:5]
	s_and_saveexec_b64 s[22:23], vcc
	s_xor_b64 s[56:57], exec, s[22:23]
	s_cbranch_execz .LBB2_220
; %bb.211:                              ;   in Loop: Header=BB2_124 Depth=2
	v_and_b32_e32 v4, 0x7fffffff, v3
	v_mov_b32_e32 v5, v39
	v_cmp_gt_u64_e32 vcc, s[44:45], v[4:5]
	s_and_saveexec_b64 s[58:59], vcc
	s_cbranch_execz .LBB2_219
; %bb.212:                              ;   in Loop: Header=BB2_124 Depth=2
	v_cmp_ne_u32_e32 vcc, 0, v3
	v_mov_b32_e32 v62, 0
	s_and_saveexec_b64 s[60:61], vcc
	s_cbranch_execz .LBB2_218
; %bb.213:                              ;   in Loop: Header=BB2_124 Depth=2
	v_bfe_u32 v3, v3, 23, 8
	v_sub_u32_e32 v5, 0x79, v3
	v_cmp_gt_u32_e32 vcc, s76, v3
	v_cndmask_b32_e32 v5, 0, v5, vcc
	v_cmp_eq_u32_e32 vcc, 0, v3
	v_add_u32_e32 v4, 0xffffff81, v3
	v_mov_b32_e32 v3, 0xffffff82
	v_cndmask_b32_e32 v8, v5, v18, vcc
	v_cndmask_b32_e32 v3, v4, v3, vcc
	v_add_u32_e32 v4, 20, v8
	v_or_b32_e32 v6, 0x800000, v14
	v_lshlrev_b64 v[4:5], v4, -1
	v_cndmask_b32_e32 v14, v6, v14, vcc
	v_not_b32_e32 v4, v4
	v_and_b32_e32 v16, v14, v4
	v_add_u32_e32 v4, 19, v8
	v_lshrrev_b64 v[14:15], v8, v[14:15]
	v_not_b32_e32 v5, v5
	v_lshlrev_b64 v[24:25], v4, 1
	v_lshrrev_b32_e32 v4, 23, v14
	v_and_b32_e32 v17, 0, v5
	v_add3_u32 v5, v8, v3, v4
	v_bfe_u32 v3, v14, 20, 1
	v_add_u32_e32 v3, -1, v3
	v_cmp_eq_u64_e32 vcc, v[16:17], v[24:25]
	v_cndmask_b32_e32 v3, 0, v3, vcc
	v_add_u32_e32 v3, v3, v14
	v_and_b32_e32 v3, 0xfffff, v3
	v_add_co_u32_e32 v14, vcc, v3, v14
	v_add_u32_e32 v4, 6, v5
	v_addc_co_u32_e32 v15, vcc, 0, v15, vcc
	v_cmp_ne_u32_e32 vcc, 0, v4
                                        ; implicit-def: $vgpr3
	s_and_saveexec_b64 s[22:23], vcc
	s_xor_b64 s[22:23], exec, s[22:23]
; %bb.214:                              ;   in Loop: Header=BB2_124 Depth=2
	v_add_u32_e32 v3, 7, v5
	v_cmp_lt_u64_e32 vcc, s[48:49], v[14:15]
	v_cndmask_b32_e32 v3, v4, v3, vcc
	v_cndmask_b32_e64 v4, 0, 1, vcc
	v_lshrrev_b64 v[14:15], v4, v[14:15]
; %bb.215:                              ;   in Loop: Header=BB2_124 Depth=2
	s_andn2_saveexec_b64 s[22:23], s[22:23]
; %bb.216:                              ;   in Loop: Header=BB2_124 Depth=2
	v_bfe_u32 v3, v14, 23, 1
; %bb.217:                              ;   in Loop: Header=BB2_124 Depth=2
	s_or_b64 exec, exec, s[22:23]
	v_lshrrev_b64 v[4:5], 20, v[14:15]
	v_cmp_gt_i32_e32 vcc, 16, v3
	v_cndmask_b32_e32 v5, 0, v5, vcc
	v_cndmask_b32_e32 v4, 7, v4, vcc
	v_cmp_eq_u32_e32 vcc, 0, v3
	v_min_i32_e32 v3, 15, v3
	v_cmp_eq_u64_e64 s[22:23], 0, v[4:5]
	v_lshlrev_b32_e32 v3, 3, v3
	v_and_or_b32 v3, v4, 7, v3
	s_and_b64 s[22:23], vcc, s[22:23]
	v_cndmask_b32_e64 v3, v3, 0, s[22:23]
	v_or_b32_e32 v62, v3, v0
.LBB2_218:                              ;   in Loop: Header=BB2_124 Depth=2
	s_or_b64 exec, exec, s[60:61]
.LBB2_219:                              ;   in Loop: Header=BB2_124 Depth=2
	s_or_b64 exec, exec, s[58:59]
                                        ; implicit-def: $vgpr3
                                        ; implicit-def: $vgpr14_vgpr15
.LBB2_220:                              ;   in Loop: Header=BB2_124 Depth=2
	s_andn2_saveexec_b64 s[22:23], s[56:57]
; %bb.221:                              ;   in Loop: Header=BB2_124 Depth=2
	v_or_b32_sdwa v0, v3, s74 dst_sel:DWORD dst_unused:UNUSED_PAD src0_sel:BYTE_3 src1_sel:DWORD
	v_cmp_eq_u64_e32 vcc, 0, v[14:15]
	v_cndmask_b32_e32 v62, v0, v62, vcc
; %bb.222:                              ;   in Loop: Header=BB2_124 Depth=2
	s_or_b64 exec, exec, s[22:23]
	v_lshrrev_b16_e32 v14, 8, v38
	v_cmp_ne_u16_e32 vcc, 0, v14
	v_mov_b32_e32 v0, 0
	s_and_saveexec_b64 s[22:23], vcc
	s_cbranch_execz .LBB2_228
; %bb.223:                              ;   in Loop: Header=BB2_124 Depth=2
	v_cmp_ne_u16_e32 vcc, s75, v14
	v_bfrev_b32_e32 v0, 1
	s_and_saveexec_b64 s[56:57], vcc
	s_cbranch_execz .LBB2_227
; %bb.224:                              ;   in Loop: Header=BB2_124 Depth=2
	v_and_b32_e32 v3, 0x7f, v14
	v_cmp_ne_u32_e32 vcc, s74, v3
	v_mov_b32_e32 v0, 0x7f800001
	s_and_saveexec_b64 s[58:59], vcc
	s_cbranch_execz .LBB2_226
; %bb.225:                              ;   in Loop: Header=BB2_124 Depth=2
	v_and_b32_e32 v0, 7, v14
	v_ffbh_u32_e32 v4, v0
	v_min_u32_e32 v8, 32, v4
	v_subrev_u32_e32 v4, 28, v8
	v_lshlrev_b64 v[4:5], v4, v[14:15]
	v_lshrrev_b32_e32 v6, 3, v3
	v_sub_u32_e32 v5, 29, v8
	v_and_b32_e32 v4, 7, v4
	v_cmp_gt_u32_e32 vcc, 8, v3
	v_cndmask_b32_e32 v3, v6, v5, vcc
	v_cndmask_b32_e32 v0, v0, v4, vcc
	v_lshlrev_b32_e32 v4, 16, v38
	v_lshlrev_b32_e32 v0, 20, v0
	v_and_b32_e32 v4, 0x80000000, v4
	v_lshl_add_u32 v3, v3, 23, v20
	v_or3_b32 v0, v4, v3, v0
.LBB2_226:                              ;   in Loop: Header=BB2_124 Depth=2
	s_or_b64 exec, exec, s[58:59]
.LBB2_227:                              ;   in Loop: Header=BB2_124 Depth=2
	s_or_b64 exec, exec, s[56:57]
.LBB2_228:                              ;   in Loop: Header=BB2_124 Depth=2
	s_or_b64 exec, exec, s[22:23]
	v_mul_f32_e32 v3, v7, v0
	v_and_b32_sdwa v0, v3, s75 dst_sel:DWORD dst_unused:UNUSED_PAD src0_sel:BYTE_3 src1_sel:DWORD
	v_and_b32_e32 v4, 0x7f800000, v3
	v_mov_b32_e32 v5, v39
	v_and_b32_e32 v38, 0x7fffff, v3
	v_or_b32_e32 v6, 0x7e, v0
	v_cmp_ne_u64_e32 vcc, s[42:43], v[4:5]
	s_and_saveexec_b64 s[22:23], vcc
	s_xor_b64 s[56:57], exec, s[22:23]
	s_cbranch_execz .LBB2_238
; %bb.229:                              ;   in Loop: Header=BB2_124 Depth=2
	v_and_b32_e32 v4, 0x7fffffff, v3
	v_mov_b32_e32 v5, v39
	v_cmp_gt_u64_e32 vcc, s[44:45], v[4:5]
	s_and_saveexec_b64 s[58:59], vcc
	s_cbranch_execz .LBB2_237
; %bb.230:                              ;   in Loop: Header=BB2_124 Depth=2
	v_cmp_ne_u32_e32 vcc, 0, v3
	v_mov_b32_e32 v6, 0
	s_and_saveexec_b64 s[60:61], vcc
	s_cbranch_execz .LBB2_236
; %bb.231:                              ;   in Loop: Header=BB2_124 Depth=2
	v_bfe_u32 v3, v3, 23, 8
	v_sub_u32_e32 v5, 0x79, v3
	v_cmp_gt_u32_e32 vcc, s76, v3
	v_cndmask_b32_e32 v5, 0, v5, vcc
	v_cmp_eq_u32_e32 vcc, 0, v3
	v_add_u32_e32 v4, 0xffffff81, v3
	v_mov_b32_e32 v3, 0xffffff82
	v_cndmask_b32_e32 v8, v5, v18, vcc
	v_cndmask_b32_e32 v3, v4, v3, vcc
	v_add_u32_e32 v4, 20, v8
	v_or_b32_e32 v6, 0x800000, v38
	v_lshlrev_b64 v[4:5], v4, -1
	v_cndmask_b32_e32 v38, v6, v38, vcc
	v_not_b32_e32 v4, v4
	v_and_b32_e32 v14, v38, v4
	v_add_u32_e32 v4, 19, v8
	v_lshrrev_b64 v[24:25], v8, v[38:39]
	v_not_b32_e32 v5, v5
	v_lshlrev_b64 v[16:17], v4, 1
	v_lshrrev_b32_e32 v4, 23, v24
	v_and_b32_e32 v15, 0, v5
	v_add3_u32 v5, v8, v3, v4
	v_bfe_u32 v3, v24, 20, 1
	v_add_u32_e32 v3, -1, v3
	v_cmp_eq_u64_e32 vcc, v[14:15], v[16:17]
	v_cndmask_b32_e32 v3, 0, v3, vcc
	v_add_u32_e32 v3, v3, v24
	v_and_b32_e32 v3, 0xfffff, v3
	v_add_co_u32_e32 v14, vcc, v3, v24
	v_add_u32_e32 v4, 6, v5
	v_addc_co_u32_e32 v15, vcc, 0, v25, vcc
	v_cmp_ne_u32_e32 vcc, 0, v4
                                        ; implicit-def: $vgpr3
	s_and_saveexec_b64 s[22:23], vcc
	s_xor_b64 s[22:23], exec, s[22:23]
; %bb.232:                              ;   in Loop: Header=BB2_124 Depth=2
	v_add_u32_e32 v3, 7, v5
	v_cmp_lt_u64_e32 vcc, s[48:49], v[14:15]
	v_cndmask_b32_e32 v3, v4, v3, vcc
	v_cndmask_b32_e64 v4, 0, 1, vcc
	v_lshrrev_b64 v[14:15], v4, v[14:15]
; %bb.233:                              ;   in Loop: Header=BB2_124 Depth=2
	s_andn2_saveexec_b64 s[22:23], s[22:23]
; %bb.234:                              ;   in Loop: Header=BB2_124 Depth=2
	v_bfe_u32 v3, v14, 23, 1
; %bb.235:                              ;   in Loop: Header=BB2_124 Depth=2
	s_or_b64 exec, exec, s[22:23]
	v_lshrrev_b64 v[4:5], 20, v[14:15]
	v_cmp_gt_i32_e32 vcc, 16, v3
	v_cndmask_b32_e32 v5, 0, v5, vcc
	v_cndmask_b32_e32 v4, 7, v4, vcc
	v_cmp_eq_u32_e32 vcc, 0, v3
	v_min_i32_e32 v3, 15, v3
	v_lshlrev_b32_e32 v3, 3, v3
	v_cmp_eq_u64_e64 s[22:23], 0, v[4:5]
	v_and_b32_e32 v3, 0xf8, v3
	v_and_or_b32 v3, v4, 7, v3
	s_and_b64 s[22:23], vcc, s[22:23]
	v_cndmask_b32_e64 v3, v3, 0, s[22:23]
	v_or_b32_e32 v6, v3, v0
.LBB2_236:                              ;   in Loop: Header=BB2_124 Depth=2
	s_or_b64 exec, exec, s[60:61]
.LBB2_237:                              ;   in Loop: Header=BB2_124 Depth=2
	s_or_b64 exec, exec, s[58:59]
                                        ; implicit-def: $vgpr3
.LBB2_238:                              ;   in Loop: Header=BB2_124 Depth=2
	s_andn2_saveexec_b64 s[22:23], s[56:57]
; %bb.239:                              ;   in Loop: Header=BB2_124 Depth=2
	v_or_b32_sdwa v0, v3, s74 dst_sel:DWORD dst_unused:UNUSED_PAD src0_sel:BYTE_3 src1_sel:DWORD
	v_cmp_eq_u64_e32 vcc, 0, v[38:39]
	v_cndmask_b32_e32 v6, v0, v6, vcc
; %bb.240:                              ;   in Loop: Header=BB2_124 Depth=2
	s_or_b64 exec, exec, s[22:23]
	v_lshrrev_b32_e32 v14, 16, v11
	v_cmp_ne_u16_sdwa vcc, v14, v39 src0_sel:BYTE_0 src1_sel:DWORD
	v_mov_b32_e32 v0, 0
	s_and_saveexec_b64 s[22:23], vcc
	s_cbranch_execz .LBB2_246
; %bb.241:                              ;   in Loop: Header=BB2_124 Depth=2
	v_cmp_ne_u16_sdwa vcc, v14, s75 src0_sel:BYTE_0 src1_sel:DWORD
	v_bfrev_b32_e32 v0, 1
	s_and_saveexec_b64 s[56:57], vcc
	s_cbranch_execz .LBB2_245
; %bb.242:                              ;   in Loop: Header=BB2_124 Depth=2
	v_bfe_u32 v3, v11, 16, 7
	v_cmp_ne_u32_e32 vcc, s74, v3
	v_mov_b32_e32 v0, 0x7f800001
	s_and_saveexec_b64 s[58:59], vcc
	s_cbranch_execz .LBB2_244
; %bb.243:                              ;   in Loop: Header=BB2_124 Depth=2
	v_and_b32_e32 v0, 7, v14
	v_ffbh_u32_e32 v4, v0
	v_min_u32_e32 v15, 32, v4
	v_subrev_u32_e32 v4, 28, v15
	v_lshlrev_b64 v[4:5], v4, v[14:15]
	v_lshrrev_b32_e32 v8, 3, v3
	v_sub_u32_e32 v5, 29, v15
	v_and_b32_e32 v4, 7, v4
	v_cmp_gt_u32_e32 vcc, 8, v3
	v_cndmask_b32_e32 v3, v8, v5, vcc
	v_cndmask_b32_e32 v0, v0, v4, vcc
	v_lshlrev_b32_e32 v4, 24, v14
	v_lshlrev_b32_e32 v0, 20, v0
	v_and_b32_e32 v4, 0x80000000, v4
	v_lshl_add_u32 v3, v3, 23, v20
	v_or3_b32 v0, v4, v3, v0
.LBB2_244:                              ;   in Loop: Header=BB2_124 Depth=2
	s_or_b64 exec, exec, s[58:59]
.LBB2_245:                              ;   in Loop: Header=BB2_124 Depth=2
	s_or_b64 exec, exec, s[56:57]
.LBB2_246:                              ;   in Loop: Header=BB2_124 Depth=2
	s_or_b64 exec, exec, s[22:23]
	v_mul_f32_e32 v3, v7, v0
	v_and_b32_sdwa v0, v3, s75 dst_sel:DWORD dst_unused:UNUSED_PAD src0_sel:BYTE_3 src1_sel:DWORD
	v_and_b32_e32 v4, 0x7f800000, v3
	v_mov_b32_e32 v5, v39
	v_and_b32_e32 v38, 0x7fffff, v3
	v_or_b32_e32 v8, 0x7e, v0
	v_cmp_ne_u64_e32 vcc, s[42:43], v[4:5]
	s_and_saveexec_b64 s[22:23], vcc
	s_xor_b64 s[56:57], exec, s[22:23]
	s_cbranch_execz .LBB2_256
; %bb.247:                              ;   in Loop: Header=BB2_124 Depth=2
	v_and_b32_e32 v4, 0x7fffffff, v3
	v_mov_b32_e32 v5, v39
	v_cmp_gt_u64_e32 vcc, s[44:45], v[4:5]
	s_and_saveexec_b64 s[58:59], vcc
	s_cbranch_execz .LBB2_255
; %bb.248:                              ;   in Loop: Header=BB2_124 Depth=2
	v_cmp_ne_u32_e32 vcc, 0, v3
	v_mov_b32_e32 v8, 0
	s_and_saveexec_b64 s[60:61], vcc
	s_cbranch_execz .LBB2_254
; %bb.249:                              ;   in Loop: Header=BB2_124 Depth=2
	v_bfe_u32 v3, v3, 23, 8
	v_sub_u32_e32 v5, 0x79, v3
	v_cmp_gt_u32_e32 vcc, s76, v3
	v_cndmask_b32_e32 v5, 0, v5, vcc
	v_cmp_eq_u32_e32 vcc, 0, v3
	v_add_u32_e32 v4, 0xffffff81, v3
	v_mov_b32_e32 v3, 0xffffff82
	v_cndmask_b32_e32 v19, v5, v18, vcc
	v_cndmask_b32_e32 v3, v4, v3, vcc
	v_add_u32_e32 v4, 20, v19
	v_or_b32_e32 v8, 0x800000, v38
	v_lshlrev_b64 v[4:5], v4, -1
	v_cndmask_b32_e32 v38, v8, v38, vcc
	v_not_b32_e32 v4, v4
	v_and_b32_e32 v14, v38, v4
	v_add_u32_e32 v4, 19, v19
	v_lshrrev_b64 v[24:25], v19, v[38:39]
	v_not_b32_e32 v5, v5
	v_lshlrev_b64 v[16:17], v4, 1
	v_lshrrev_b32_e32 v4, 23, v24
	v_and_b32_e32 v15, 0, v5
	v_add3_u32 v5, v19, v3, v4
	v_bfe_u32 v3, v24, 20, 1
	v_add_u32_e32 v3, -1, v3
	v_cmp_eq_u64_e32 vcc, v[14:15], v[16:17]
	v_cndmask_b32_e32 v3, 0, v3, vcc
	v_add_u32_e32 v3, v3, v24
	v_and_b32_e32 v3, 0xfffff, v3
	v_add_co_u32_e32 v14, vcc, v3, v24
	v_add_u32_e32 v4, 6, v5
	v_addc_co_u32_e32 v15, vcc, 0, v25, vcc
	v_cmp_ne_u32_e32 vcc, 0, v4
                                        ; implicit-def: $vgpr3
	s_and_saveexec_b64 s[22:23], vcc
	s_xor_b64 s[22:23], exec, s[22:23]
; %bb.250:                              ;   in Loop: Header=BB2_124 Depth=2
	v_add_u32_e32 v3, 7, v5
	v_cmp_lt_u64_e32 vcc, s[48:49], v[14:15]
	v_cndmask_b32_e32 v3, v4, v3, vcc
	v_cndmask_b32_e64 v4, 0, 1, vcc
	v_lshrrev_b64 v[14:15], v4, v[14:15]
; %bb.251:                              ;   in Loop: Header=BB2_124 Depth=2
	s_andn2_saveexec_b64 s[22:23], s[22:23]
; %bb.252:                              ;   in Loop: Header=BB2_124 Depth=2
	v_bfe_u32 v3, v14, 23, 1
; %bb.253:                              ;   in Loop: Header=BB2_124 Depth=2
	s_or_b64 exec, exec, s[22:23]
	v_lshrrev_b64 v[4:5], 20, v[14:15]
	v_cmp_gt_i32_e32 vcc, 16, v3
	v_cndmask_b32_e32 v5, 0, v5, vcc
	v_cndmask_b32_e32 v4, 7, v4, vcc
	v_cmp_eq_u32_e32 vcc, 0, v3
	v_min_i32_e32 v3, 15, v3
	v_lshlrev_b32_e32 v3, 3, v3
	v_cmp_eq_u64_e64 s[22:23], 0, v[4:5]
	v_and_b32_e32 v3, 0xf8, v3
	v_and_or_b32 v3, v4, 7, v3
	s_and_b64 s[22:23], vcc, s[22:23]
	v_cndmask_b32_e64 v3, v3, 0, s[22:23]
	v_or_b32_e32 v8, v3, v0
.LBB2_254:                              ;   in Loop: Header=BB2_124 Depth=2
	s_or_b64 exec, exec, s[60:61]
.LBB2_255:                              ;   in Loop: Header=BB2_124 Depth=2
	s_or_b64 exec, exec, s[58:59]
                                        ; implicit-def: $vgpr3
.LBB2_256:                              ;   in Loop: Header=BB2_124 Depth=2
	s_andn2_saveexec_b64 s[22:23], s[56:57]
; %bb.257:                              ;   in Loop: Header=BB2_124 Depth=2
	v_or_b32_sdwa v0, v3, s74 dst_sel:DWORD dst_unused:UNUSED_PAD src0_sel:BYTE_3 src1_sel:DWORD
	v_cmp_eq_u64_e32 vcc, 0, v[38:39]
	v_cndmask_b32_e32 v8, v0, v8, vcc
; %bb.258:                              ;   in Loop: Header=BB2_124 Depth=2
	s_or_b64 exec, exec, s[22:23]
	v_cmp_lt_u64_e32 vcc, s[46:47], v[10:11]
	v_mov_b32_e32 v0, 0
	s_and_saveexec_b64 s[22:23], vcc
	s_cbranch_execz .LBB2_264
; %bb.259:                              ;   in Loop: Header=BB2_124 Depth=2
	v_lshrrev_b32_e32 v10, 24, v11
	v_cmp_ne_u32_e32 vcc, s75, v10
	v_bfrev_b32_e32 v0, 1
	s_and_saveexec_b64 s[56:57], vcc
	s_cbranch_execz .LBB2_263
; %bb.260:                              ;   in Loop: Header=BB2_124 Depth=2
	v_bfe_u32 v3, v11, 24, 7
	v_cmp_ne_u32_e32 vcc, s74, v3
	v_mov_b32_e32 v0, 0x7f800001
	s_and_saveexec_b64 s[58:59], vcc
	s_cbranch_execz .LBB2_262
; %bb.261:                              ;   in Loop: Header=BB2_124 Depth=2
	v_and_b32_e32 v0, 7, v10
	v_ffbh_u32_e32 v4, v0
	v_min_u32_e32 v14, 32, v4
	v_lshrrev_b32_e32 v11, 3, v3
	v_subrev_u32_e32 v4, 28, v14
	v_lshlrev_b64 v[4:5], v4, v[10:11]
	v_sub_u32_e32 v5, 29, v14
	v_and_b32_e32 v4, 7, v4
	v_cmp_gt_u32_e32 vcc, 8, v3
	v_cndmask_b32_e32 v3, v11, v5, vcc
	v_cndmask_b32_e32 v0, v0, v4, vcc
	v_lshlrev_b32_e32 v4, 24, v10
	v_lshlrev_b32_e32 v0, 20, v0
	v_and_b32_e32 v4, 0x80000000, v4
	v_lshl_add_u32 v3, v3, 23, v20
	v_or3_b32 v0, v4, v3, v0
.LBB2_262:                              ;   in Loop: Header=BB2_124 Depth=2
	s_or_b64 exec, exec, s[58:59]
.LBB2_263:                              ;   in Loop: Header=BB2_124 Depth=2
	s_or_b64 exec, exec, s[56:57]
.LBB2_264:                              ;   in Loop: Header=BB2_124 Depth=2
	s_or_b64 exec, exec, s[22:23]
	v_mul_f32_e32 v3, v7, v0
	v_and_b32_sdwa v0, v3, s75 dst_sel:DWORD dst_unused:UNUSED_PAD src0_sel:BYTE_3 src1_sel:DWORD
	v_and_b32_e32 v4, 0x7f800000, v3
	v_mov_b32_e32 v5, v39
	v_and_b32_e32 v38, 0x7fffff, v3
	v_or_b32_e32 v37, 0x7e, v0
	v_cmp_ne_u64_e32 vcc, s[42:43], v[4:5]
	s_and_saveexec_b64 s[22:23], vcc
	s_xor_b64 s[56:57], exec, s[22:23]
	s_cbranch_execz .LBB2_274
; %bb.265:                              ;   in Loop: Header=BB2_124 Depth=2
	v_and_b32_e32 v4, 0x7fffffff, v3
	v_mov_b32_e32 v5, v39
	v_cmp_gt_u64_e32 vcc, s[44:45], v[4:5]
	s_and_saveexec_b64 s[58:59], vcc
	s_cbranch_execz .LBB2_273
; %bb.266:                              ;   in Loop: Header=BB2_124 Depth=2
	v_cmp_ne_u32_e32 vcc, 0, v3
	v_mov_b32_e32 v37, 0
	s_and_saveexec_b64 s[60:61], vcc
	s_cbranch_execz .LBB2_272
; %bb.267:                              ;   in Loop: Header=BB2_124 Depth=2
	v_bfe_u32 v3, v3, 23, 8
	v_sub_u32_e32 v5, 0x79, v3
	v_cmp_gt_u32_e32 vcc, s76, v3
	v_cndmask_b32_e32 v5, 0, v5, vcc
	v_cmp_eq_u32_e32 vcc, 0, v3
	v_add_u32_e32 v4, 0xffffff81, v3
	v_mov_b32_e32 v3, 0xffffff82
	v_cndmask_b32_e32 v19, v5, v18, vcc
	v_cndmask_b32_e32 v3, v4, v3, vcc
	v_add_u32_e32 v4, 20, v19
	v_or_b32_e32 v10, 0x800000, v38
	v_lshlrev_b64 v[4:5], v4, -1
	v_cndmask_b32_e32 v38, v10, v38, vcc
	v_not_b32_e32 v4, v4
	v_and_b32_e32 v10, v38, v4
	v_add_u32_e32 v4, 19, v19
	v_lshrrev_b64 v[16:17], v19, v[38:39]
	v_not_b32_e32 v5, v5
	v_lshlrev_b64 v[14:15], v4, 1
	v_lshrrev_b32_e32 v4, 23, v16
	v_and_b32_e32 v11, 0, v5
	v_add3_u32 v5, v19, v3, v4
	v_bfe_u32 v3, v16, 20, 1
	v_add_u32_e32 v3, -1, v3
	v_cmp_eq_u64_e32 vcc, v[10:11], v[14:15]
	v_cndmask_b32_e32 v3, 0, v3, vcc
	v_add_u32_e32 v3, v3, v16
	v_and_b32_e32 v3, 0xfffff, v3
	v_add_co_u32_e32 v10, vcc, v3, v16
	v_add_u32_e32 v4, 6, v5
	v_addc_co_u32_e32 v11, vcc, 0, v17, vcc
	v_cmp_ne_u32_e32 vcc, 0, v4
                                        ; implicit-def: $vgpr3
	s_and_saveexec_b64 s[22:23], vcc
	s_xor_b64 s[22:23], exec, s[22:23]
; %bb.268:                              ;   in Loop: Header=BB2_124 Depth=2
	v_add_u32_e32 v3, 7, v5
	v_cmp_lt_u64_e32 vcc, s[48:49], v[10:11]
	v_cndmask_b32_e32 v3, v4, v3, vcc
	v_cndmask_b32_e64 v4, 0, 1, vcc
	v_lshrrev_b64 v[10:11], v4, v[10:11]
; %bb.269:                              ;   in Loop: Header=BB2_124 Depth=2
	s_andn2_saveexec_b64 s[22:23], s[22:23]
; %bb.270:                              ;   in Loop: Header=BB2_124 Depth=2
	v_bfe_u32 v3, v10, 23, 1
; %bb.271:                              ;   in Loop: Header=BB2_124 Depth=2
	s_or_b64 exec, exec, s[22:23]
	v_lshrrev_b64 v[4:5], 20, v[10:11]
	v_cmp_gt_i32_e32 vcc, 16, v3
	v_cndmask_b32_e32 v5, 0, v5, vcc
	v_cndmask_b32_e32 v4, 7, v4, vcc
	v_cmp_eq_u32_e32 vcc, 0, v3
	v_min_i32_e32 v3, 15, v3
	v_lshlrev_b32_e32 v3, 3, v3
	v_cmp_eq_u64_e64 s[22:23], 0, v[4:5]
	v_and_b32_e32 v3, 0xf8, v3
	v_and_or_b32 v3, v4, 7, v3
	s_and_b64 s[22:23], vcc, s[22:23]
	v_cndmask_b32_e64 v3, v3, 0, s[22:23]
	v_or_b32_e32 v37, v3, v0
.LBB2_272:                              ;   in Loop: Header=BB2_124 Depth=2
	s_or_b64 exec, exec, s[60:61]
.LBB2_273:                              ;   in Loop: Header=BB2_124 Depth=2
	s_or_b64 exec, exec, s[58:59]
                                        ; implicit-def: $vgpr3
.LBB2_274:                              ;   in Loop: Header=BB2_124 Depth=2
	s_andn2_saveexec_b64 s[22:23], s[56:57]
; %bb.275:                              ;   in Loop: Header=BB2_124 Depth=2
	v_or_b32_sdwa v0, v3, s74 dst_sel:DWORD dst_unused:UNUSED_PAD src0_sel:BYTE_3 src1_sel:DWORD
	v_cmp_eq_u64_e32 vcc, 0, v[38:39]
	v_cndmask_b32_e32 v37, v0, v37, vcc
; %bb.276:                              ;   in Loop: Header=BB2_124 Depth=2
	s_or_b64 exec, exec, s[22:23]
	v_cmp_ne_u16_sdwa vcc, v12, v39 src0_sel:BYTE_0 src1_sel:DWORD
	v_mov_b32_e32 v0, 0
	s_and_saveexec_b64 s[22:23], vcc
	s_cbranch_execz .LBB2_282
; %bb.277:                              ;   in Loop: Header=BB2_124 Depth=2
	v_cmp_ne_u16_sdwa vcc, v12, s75 src0_sel:BYTE_0 src1_sel:DWORD
	v_bfrev_b32_e32 v0, 1
	s_and_saveexec_b64 s[56:57], vcc
	s_cbranch_execz .LBB2_281
; %bb.278:                              ;   in Loop: Header=BB2_124 Depth=2
	v_and_b32_e32 v3, 0x7f, v12
	v_cmp_ne_u32_e32 vcc, s74, v3
	v_mov_b32_e32 v0, 0x7f800001
	s_and_saveexec_b64 s[58:59], vcc
	s_cbranch_execz .LBB2_280
; %bb.279:                              ;   in Loop: Header=BB2_124 Depth=2
	v_and_b32_e32 v0, 7, v12
	v_ffbh_u32_e32 v0, v0
	v_min_u32_e32 v0, 32, v0
	v_subrev_u32_e32 v5, 28, v0
	v_cmp_gt_u32_e32 vcc, 8, v3
	v_lshrrev_b32_e32 v4, 3, v3
	v_sub_u32_e32 v0, 29, v0
	v_cndmask_b32_e32 v3, 0, v5, vcc
	v_cndmask_b32_e32 v0, v4, v0, vcc
	v_lshlrev_b64 v[4:5], v3, v[12:13]
	v_lshlrev_b32_e32 v3, 20, v4
	v_lshlrev_b32_e32 v4, 24, v12
	v_and_b32_e32 v3, 0x700000, v3
	v_and_b32_e32 v4, 0x80000000, v4
	v_lshl_add_u32 v0, v0, 23, v20
	v_or3_b32 v0, v4, v0, v3
.LBB2_280:                              ;   in Loop: Header=BB2_124 Depth=2
	s_or_b64 exec, exec, s[58:59]
.LBB2_281:                              ;   in Loop: Header=BB2_124 Depth=2
	s_or_b64 exec, exec, s[56:57]
.LBB2_282:                              ;   in Loop: Header=BB2_124 Depth=2
	s_or_b64 exec, exec, s[22:23]
	v_mul_f32_e32 v3, v7, v0
	v_and_b32_sdwa v0, v3, s75 dst_sel:DWORD dst_unused:UNUSED_PAD src0_sel:BYTE_3 src1_sel:DWORD
	v_and_b32_e32 v10, 0x7f800000, v3
	v_mov_b32_e32 v11, v39
	v_and_b32_e32 v38, 0x7fffff, v3
	v_or_b32_e32 v5, 0x7e, v0
	v_cmp_ne_u64_e32 vcc, s[42:43], v[10:11]
	s_and_saveexec_b64 s[22:23], vcc
	s_xor_b64 s[56:57], exec, s[22:23]
	s_cbranch_execz .LBB2_292
; %bb.283:                              ;   in Loop: Header=BB2_124 Depth=2
	v_and_b32_e32 v10, 0x7fffffff, v3
	v_mov_b32_e32 v11, v39
	v_cmp_gt_u64_e32 vcc, s[44:45], v[10:11]
	s_and_saveexec_b64 s[58:59], vcc
	s_cbranch_execz .LBB2_291
; %bb.284:                              ;   in Loop: Header=BB2_124 Depth=2
	v_cmp_ne_u32_e32 vcc, 0, v3
	v_mov_b32_e32 v5, 0
	s_and_saveexec_b64 s[60:61], vcc
	s_cbranch_execz .LBB2_290
; %bb.285:                              ;   in Loop: Header=BB2_124 Depth=2
	v_bfe_u32 v3, v3, 23, 8
	v_sub_u32_e32 v5, 0x79, v3
	v_cmp_gt_u32_e32 vcc, s76, v3
	v_cndmask_b32_e32 v5, 0, v5, vcc
	v_cmp_eq_u32_e32 vcc, 0, v3
	v_add_u32_e32 v4, 0xffffff81, v3
	v_mov_b32_e32 v3, 0xffffff82
	v_cndmask_b32_e32 v19, v5, v18, vcc
	v_cndmask_b32_e32 v3, v4, v3, vcc
	v_add_u32_e32 v4, 20, v19
	v_or_b32_e32 v10, 0x800000, v38
	v_lshlrev_b64 v[4:5], v4, -1
	v_cndmask_b32_e32 v38, v10, v38, vcc
	v_not_b32_e32 v4, v4
	v_and_b32_e32 v10, v38, v4
	v_add_u32_e32 v4, 19, v19
	v_lshrrev_b64 v[16:17], v19, v[38:39]
	v_not_b32_e32 v5, v5
	v_lshlrev_b64 v[14:15], v4, 1
	v_lshrrev_b32_e32 v4, 23, v16
	v_and_b32_e32 v11, 0, v5
	v_add3_u32 v5, v19, v3, v4
	v_bfe_u32 v3, v16, 20, 1
	v_add_u32_e32 v3, -1, v3
	v_cmp_eq_u64_e32 vcc, v[10:11], v[14:15]
	v_cndmask_b32_e32 v3, 0, v3, vcc
	v_add_u32_e32 v3, v3, v16
	v_and_b32_e32 v3, 0xfffff, v3
	v_add_co_u32_e32 v10, vcc, v3, v16
	v_add_u32_e32 v4, 6, v5
	v_addc_co_u32_e32 v11, vcc, 0, v17, vcc
	v_cmp_ne_u32_e32 vcc, 0, v4
                                        ; implicit-def: $vgpr3
	s_and_saveexec_b64 s[22:23], vcc
	s_xor_b64 s[22:23], exec, s[22:23]
; %bb.286:                              ;   in Loop: Header=BB2_124 Depth=2
	v_add_u32_e32 v3, 7, v5
	v_cmp_lt_u64_e32 vcc, s[48:49], v[10:11]
	v_cndmask_b32_e32 v3, v4, v3, vcc
	v_cndmask_b32_e64 v4, 0, 1, vcc
	v_lshrrev_b64 v[10:11], v4, v[10:11]
; %bb.287:                              ;   in Loop: Header=BB2_124 Depth=2
	s_andn2_saveexec_b64 s[22:23], s[22:23]
; %bb.288:                              ;   in Loop: Header=BB2_124 Depth=2
	v_bfe_u32 v3, v10, 23, 1
; %bb.289:                              ;   in Loop: Header=BB2_124 Depth=2
	s_or_b64 exec, exec, s[22:23]
	v_lshrrev_b64 v[4:5], 20, v[10:11]
	v_cmp_gt_i32_e32 vcc, 16, v3
	v_cndmask_b32_e32 v5, 0, v5, vcc
	v_cndmask_b32_e32 v4, 7, v4, vcc
	v_cmp_eq_u32_e32 vcc, 0, v3
	v_min_i32_e32 v3, 15, v3
	v_cmp_eq_u64_e64 s[22:23], 0, v[4:5]
	v_lshlrev_b32_e32 v3, 3, v3
	v_and_or_b32 v3, v4, 7, v3
	s_and_b64 s[22:23], vcc, s[22:23]
	v_cndmask_b32_e64 v3, v3, 0, s[22:23]
	v_or_b32_e32 v5, v3, v0
.LBB2_290:                              ;   in Loop: Header=BB2_124 Depth=2
	s_or_b64 exec, exec, s[60:61]
.LBB2_291:                              ;   in Loop: Header=BB2_124 Depth=2
	s_or_b64 exec, exec, s[58:59]
                                        ; implicit-def: $vgpr3
.LBB2_292:                              ;   in Loop: Header=BB2_124 Depth=2
	s_andn2_saveexec_b64 s[22:23], s[56:57]
; %bb.293:                              ;   in Loop: Header=BB2_124 Depth=2
	v_or_b32_sdwa v0, v3, s74 dst_sel:DWORD dst_unused:UNUSED_PAD src0_sel:BYTE_3 src1_sel:DWORD
	v_cmp_eq_u64_e32 vcc, 0, v[38:39]
	v_cndmask_b32_e32 v5, v0, v5, vcc
; %bb.294:                              ;   in Loop: Header=BB2_124 Depth=2
	s_or_b64 exec, exec, s[22:23]
	v_lshrrev_b16_e32 v10, 8, v12
	v_cmp_ne_u16_e32 vcc, 0, v10
	v_mov_b32_e32 v0, 0
	s_and_saveexec_b64 s[22:23], vcc
	s_cbranch_execz .LBB2_300
; %bb.295:                              ;   in Loop: Header=BB2_124 Depth=2
	v_cmp_ne_u16_e32 vcc, s75, v10
	v_bfrev_b32_e32 v0, 1
	s_and_saveexec_b64 s[56:57], vcc
	s_cbranch_execz .LBB2_299
; %bb.296:                              ;   in Loop: Header=BB2_124 Depth=2
	v_and_b32_e32 v3, 0x7f, v10
	v_cmp_ne_u32_e32 vcc, s74, v3
	v_mov_b32_e32 v0, 0x7f800001
	s_and_saveexec_b64 s[58:59], vcc
	s_cbranch_execz .LBB2_298
; %bb.297:                              ;   in Loop: Header=BB2_124 Depth=2
	v_and_b32_e32 v0, 7, v10
	v_ffbh_u32_e32 v11, v0
	v_min_u32_e32 v14, 32, v11
	v_subrev_u32_e32 v11, 28, v14
	v_lshlrev_b64 v[10:11], v11, v[10:11]
	v_lshrrev_b32_e32 v4, 3, v3
	v_sub_u32_e32 v11, 29, v14
	v_and_b32_e32 v10, 7, v10
	v_cmp_gt_u32_e32 vcc, 8, v3
	v_cndmask_b32_e32 v3, v4, v11, vcc
	v_cndmask_b32_e32 v0, v0, v10, vcc
	v_lshlrev_b32_e32 v4, 16, v12
	v_lshlrev_b32_e32 v0, 20, v0
	v_and_b32_e32 v4, 0x80000000, v4
	v_lshl_add_u32 v3, v3, 23, v20
	v_or3_b32 v0, v4, v3, v0
.LBB2_298:                              ;   in Loop: Header=BB2_124 Depth=2
	s_or_b64 exec, exec, s[58:59]
.LBB2_299:                              ;   in Loop: Header=BB2_124 Depth=2
	s_or_b64 exec, exec, s[56:57]
.LBB2_300:                              ;   in Loop: Header=BB2_124 Depth=2
	s_or_b64 exec, exec, s[22:23]
	v_mul_f32_e32 v3, v7, v0
	v_and_b32_sdwa v0, v3, s75 dst_sel:DWORD dst_unused:UNUSED_PAD src0_sel:BYTE_3 src1_sel:DWORD
	v_and_b32_e32 v10, 0x7f800000, v3
	v_mov_b32_e32 v11, v39
	v_and_b32_e32 v38, 0x7fffff, v3
	v_or_b32_e32 v36, 0x7e, v0
	v_cmp_ne_u64_e32 vcc, s[42:43], v[10:11]
	s_and_saveexec_b64 s[22:23], vcc
	s_xor_b64 s[56:57], exec, s[22:23]
	s_cbranch_execz .LBB2_310
; %bb.301:                              ;   in Loop: Header=BB2_124 Depth=2
	v_and_b32_e32 v10, 0x7fffffff, v3
	v_mov_b32_e32 v11, v39
	v_cmp_gt_u64_e32 vcc, s[44:45], v[10:11]
	s_and_saveexec_b64 s[58:59], vcc
	s_cbranch_execz .LBB2_309
; %bb.302:                              ;   in Loop: Header=BB2_124 Depth=2
	v_cmp_ne_u32_e32 vcc, 0, v3
	v_mov_b32_e32 v36, 0
	s_and_saveexec_b64 s[60:61], vcc
	s_cbranch_execz .LBB2_308
; %bb.303:                              ;   in Loop: Header=BB2_124 Depth=2
	v_bfe_u32 v3, v3, 23, 8
	v_sub_u32_e32 v10, 0x79, v3
	v_cmp_gt_u32_e32 vcc, s76, v3
	v_add_u32_e32 v4, 0xffffff81, v3
	v_cndmask_b32_e32 v10, 0, v10, vcc
	v_cmp_eq_u32_e32 vcc, 0, v3
	v_mov_b32_e32 v3, 0xffffff82
	v_or_b32_e32 v11, 0x800000, v38
	v_cndmask_b32_e32 v3, v4, v3, vcc
	v_cndmask_b32_e32 v4, v10, v18, vcc
	;; [unrolled: 1-line block ×3, first 2 shown]
	v_add_u32_e32 v10, 20, v4
	v_lshlrev_b64 v[10:11], v10, -1
	v_add_u32_e32 v14, 19, v4
	v_lshrrev_b64 v[24:25], v4, v[38:39]
	v_not_b32_e32 v11, v11
	v_not_b32_e32 v10, v10
	v_lshlrev_b64 v[16:17], v14, 1
	v_lshrrev_b32_e32 v14, 23, v24
	v_and_b32_e32 v11, 0, v11
	v_and_b32_e32 v10, v38, v10
	v_add3_u32 v14, v4, v3, v14
	v_bfe_u32 v3, v24, 20, 1
	v_add_u32_e32 v3, -1, v3
	v_cmp_eq_u64_e32 vcc, v[10:11], v[16:17]
	v_cndmask_b32_e32 v3, 0, v3, vcc
	v_add_u32_e32 v3, v3, v24
	v_and_b32_e32 v3, 0xfffff, v3
	v_add_co_u32_e32 v10, vcc, v3, v24
	v_add_u32_e32 v4, 6, v14
	v_addc_co_u32_e32 v11, vcc, 0, v25, vcc
	v_cmp_ne_u32_e32 vcc, 0, v4
                                        ; implicit-def: $vgpr3
	s_and_saveexec_b64 s[22:23], vcc
	s_xor_b64 s[22:23], exec, s[22:23]
; %bb.304:                              ;   in Loop: Header=BB2_124 Depth=2
	v_add_u32_e32 v3, 7, v14
	v_cmp_lt_u64_e32 vcc, s[48:49], v[10:11]
	v_cndmask_b32_e32 v3, v4, v3, vcc
	v_cndmask_b32_e64 v4, 0, 1, vcc
	v_lshrrev_b64 v[10:11], v4, v[10:11]
; %bb.305:                              ;   in Loop: Header=BB2_124 Depth=2
	s_andn2_saveexec_b64 s[22:23], s[22:23]
; %bb.306:                              ;   in Loop: Header=BB2_124 Depth=2
	v_bfe_u32 v3, v10, 23, 1
; %bb.307:                              ;   in Loop: Header=BB2_124 Depth=2
	s_or_b64 exec, exec, s[22:23]
	v_lshrrev_b64 v[10:11], 20, v[10:11]
	v_cmp_gt_i32_e32 vcc, 16, v3
	v_cndmask_b32_e32 v11, 0, v11, vcc
	v_cndmask_b32_e32 v10, 7, v10, vcc
	v_cmp_eq_u32_e32 vcc, 0, v3
	v_min_i32_e32 v3, 15, v3
	v_cmp_eq_u64_e64 s[22:23], 0, v[10:11]
	v_lshlrev_b32_e32 v3, 3, v3
	v_and_or_b32 v3, v10, 7, v3
	s_and_b64 s[22:23], vcc, s[22:23]
	v_cndmask_b32_e64 v3, v3, 0, s[22:23]
	v_or_b32_e32 v36, v3, v0
.LBB2_308:                              ;   in Loop: Header=BB2_124 Depth=2
	s_or_b64 exec, exec, s[60:61]
.LBB2_309:                              ;   in Loop: Header=BB2_124 Depth=2
	s_or_b64 exec, exec, s[58:59]
                                        ; implicit-def: $vgpr3
.LBB2_310:                              ;   in Loop: Header=BB2_124 Depth=2
	s_andn2_saveexec_b64 s[22:23], s[56:57]
; %bb.311:                              ;   in Loop: Header=BB2_124 Depth=2
	v_or_b32_sdwa v0, v3, s74 dst_sel:DWORD dst_unused:UNUSED_PAD src0_sel:BYTE_3 src1_sel:DWORD
	v_cmp_eq_u64_e32 vcc, 0, v[38:39]
	v_cndmask_b32_e32 v36, v0, v36, vcc
; %bb.312:                              ;   in Loop: Header=BB2_124 Depth=2
	s_or_b64 exec, exec, s[22:23]
	v_lshrrev_b32_e32 v10, 16, v12
	v_cmp_ne_u16_sdwa vcc, v10, v39 src0_sel:BYTE_0 src1_sel:DWORD
	v_mov_b32_e32 v0, 0
	s_and_saveexec_b64 s[22:23], vcc
	s_cbranch_execz .LBB2_318
; %bb.313:                              ;   in Loop: Header=BB2_124 Depth=2
	v_cmp_ne_u16_sdwa vcc, v10, s75 src0_sel:BYTE_0 src1_sel:DWORD
	v_bfrev_b32_e32 v0, 1
	s_and_saveexec_b64 s[56:57], vcc
	s_cbranch_execz .LBB2_317
; %bb.314:                              ;   in Loop: Header=BB2_124 Depth=2
	v_bfe_u32 v3, v12, 16, 7
	v_cmp_ne_u32_e32 vcc, s74, v3
	v_mov_b32_e32 v0, 0x7f800001
	s_and_saveexec_b64 s[58:59], vcc
	s_cbranch_execz .LBB2_316
; %bb.315:                              ;   in Loop: Header=BB2_124 Depth=2
	v_and_b32_e32 v0, 7, v10
	v_ffbh_u32_e32 v11, v0
	v_min_u32_e32 v11, 32, v11
	v_subrev_u32_e32 v14, 28, v11
	v_lshlrev_b64 v[14:15], v14, v[10:11]
	v_lshrrev_b32_e32 v4, 3, v3
	v_sub_u32_e32 v11, 29, v11
	v_and_b32_e32 v14, 7, v14
	v_cmp_gt_u32_e32 vcc, 8, v3
	v_cndmask_b32_e32 v3, v4, v11, vcc
	v_cndmask_b32_e32 v0, v0, v14, vcc
	v_lshlrev_b32_e32 v4, 24, v10
	v_lshlrev_b32_e32 v0, 20, v0
	v_and_b32_e32 v4, 0x80000000, v4
	v_lshl_add_u32 v3, v3, 23, v20
	v_or3_b32 v0, v4, v3, v0
.LBB2_316:                              ;   in Loop: Header=BB2_124 Depth=2
	s_or_b64 exec, exec, s[58:59]
.LBB2_317:                              ;   in Loop: Header=BB2_124 Depth=2
	s_or_b64 exec, exec, s[56:57]
.LBB2_318:                              ;   in Loop: Header=BB2_124 Depth=2
	s_or_b64 exec, exec, s[22:23]
	v_mul_f32_e32 v3, v7, v0
	v_and_b32_sdwa v0, v3, s75 dst_sel:DWORD dst_unused:UNUSED_PAD src0_sel:BYTE_3 src1_sel:DWORD
	v_and_b32_e32 v10, 0x7f800000, v3
	v_mov_b32_e32 v11, v39
	v_and_b32_e32 v38, 0x7fffff, v3
	v_or_b32_e32 v48, 0x7e, v0
	v_cmp_ne_u64_e32 vcc, s[42:43], v[10:11]
	s_and_saveexec_b64 s[22:23], vcc
	s_xor_b64 s[56:57], exec, s[22:23]
	s_cbranch_execz .LBB2_328
; %bb.319:                              ;   in Loop: Header=BB2_124 Depth=2
	v_and_b32_e32 v10, 0x7fffffff, v3
	v_mov_b32_e32 v11, v39
	v_cmp_gt_u64_e32 vcc, s[44:45], v[10:11]
	s_and_saveexec_b64 s[58:59], vcc
	s_cbranch_execz .LBB2_327
; %bb.320:                              ;   in Loop: Header=BB2_124 Depth=2
	v_cmp_ne_u32_e32 vcc, 0, v3
	v_mov_b32_e32 v48, 0
	s_and_saveexec_b64 s[60:61], vcc
	s_cbranch_execz .LBB2_326
; %bb.321:                              ;   in Loop: Header=BB2_124 Depth=2
	v_bfe_u32 v3, v3, 23, 8
	v_sub_u32_e32 v10, 0x79, v3
	v_cmp_gt_u32_e32 vcc, s76, v3
	v_add_u32_e32 v4, 0xffffff81, v3
	v_cndmask_b32_e32 v10, 0, v10, vcc
	v_cmp_eq_u32_e32 vcc, 0, v3
	v_mov_b32_e32 v3, 0xffffff82
	v_or_b32_e32 v11, 0x800000, v38
	v_cndmask_b32_e32 v3, v4, v3, vcc
	v_cndmask_b32_e32 v4, v10, v18, vcc
	v_cndmask_b32_e32 v38, v11, v38, vcc
	v_add_u32_e32 v10, 20, v4
	v_lshlrev_b64 v[10:11], v10, -1
	v_add_u32_e32 v14, 19, v4
	v_lshrrev_b64 v[24:25], v4, v[38:39]
	v_not_b32_e32 v11, v11
	v_not_b32_e32 v10, v10
	v_lshlrev_b64 v[16:17], v14, 1
	v_lshrrev_b32_e32 v14, 23, v24
	v_and_b32_e32 v11, 0, v11
	v_and_b32_e32 v10, v38, v10
	v_add3_u32 v14, v4, v3, v14
	v_bfe_u32 v3, v24, 20, 1
	v_add_u32_e32 v3, -1, v3
	v_cmp_eq_u64_e32 vcc, v[10:11], v[16:17]
	v_cndmask_b32_e32 v3, 0, v3, vcc
	v_add_u32_e32 v3, v3, v24
	v_and_b32_e32 v3, 0xfffff, v3
	v_add_co_u32_e32 v10, vcc, v3, v24
	v_add_u32_e32 v4, 6, v14
	v_addc_co_u32_e32 v11, vcc, 0, v25, vcc
	v_cmp_ne_u32_e32 vcc, 0, v4
                                        ; implicit-def: $vgpr3
	s_and_saveexec_b64 s[22:23], vcc
	s_xor_b64 s[22:23], exec, s[22:23]
; %bb.322:                              ;   in Loop: Header=BB2_124 Depth=2
	v_add_u32_e32 v3, 7, v14
	v_cmp_lt_u64_e32 vcc, s[48:49], v[10:11]
	v_cndmask_b32_e32 v3, v4, v3, vcc
	v_cndmask_b32_e64 v4, 0, 1, vcc
	v_lshrrev_b64 v[10:11], v4, v[10:11]
; %bb.323:                              ;   in Loop: Header=BB2_124 Depth=2
	s_andn2_saveexec_b64 s[22:23], s[22:23]
; %bb.324:                              ;   in Loop: Header=BB2_124 Depth=2
	v_bfe_u32 v3, v10, 23, 1
; %bb.325:                              ;   in Loop: Header=BB2_124 Depth=2
	s_or_b64 exec, exec, s[22:23]
	v_lshrrev_b64 v[10:11], 20, v[10:11]
	v_cmp_gt_i32_e32 vcc, 16, v3
	v_cndmask_b32_e32 v11, 0, v11, vcc
	v_cndmask_b32_e32 v10, 7, v10, vcc
	v_cmp_eq_u32_e32 vcc, 0, v3
	v_min_i32_e32 v3, 15, v3
	v_cmp_eq_u64_e64 s[22:23], 0, v[10:11]
	v_lshlrev_b32_e32 v3, 3, v3
	v_and_or_b32 v3, v10, 7, v3
	s_and_b64 s[22:23], vcc, s[22:23]
	v_cndmask_b32_e64 v3, v3, 0, s[22:23]
	v_or_b32_e32 v48, v3, v0
.LBB2_326:                              ;   in Loop: Header=BB2_124 Depth=2
	s_or_b64 exec, exec, s[60:61]
.LBB2_327:                              ;   in Loop: Header=BB2_124 Depth=2
	s_or_b64 exec, exec, s[58:59]
                                        ; implicit-def: $vgpr3
.LBB2_328:                              ;   in Loop: Header=BB2_124 Depth=2
	s_andn2_saveexec_b64 s[22:23], s[56:57]
; %bb.329:                              ;   in Loop: Header=BB2_124 Depth=2
	v_or_b32_sdwa v0, v3, s74 dst_sel:DWORD dst_unused:UNUSED_PAD src0_sel:BYTE_3 src1_sel:DWORD
	v_cmp_eq_u64_e32 vcc, 0, v[38:39]
	v_cndmask_b32_e32 v48, v0, v48, vcc
; %bb.330:                              ;   in Loop: Header=BB2_124 Depth=2
	s_or_b64 exec, exec, s[22:23]
	v_cmp_lt_u32_e32 vcc, s47, v12
	v_mov_b32_e32 v0, 0
	s_and_saveexec_b64 s[22:23], vcc
	s_cbranch_execz .LBB2_336
; %bb.331:                              ;   in Loop: Header=BB2_124 Depth=2
	v_lshrrev_b32_e32 v10, 24, v12
	v_cmp_ne_u32_e32 vcc, s75, v10
	v_bfrev_b32_e32 v0, 1
	s_and_saveexec_b64 s[56:57], vcc
	s_cbranch_execz .LBB2_335
; %bb.332:                              ;   in Loop: Header=BB2_124 Depth=2
	v_bfe_u32 v3, v12, 24, 7
	v_cmp_ne_u32_e32 vcc, s74, v3
	v_mov_b32_e32 v0, 0x7f800001
	s_and_saveexec_b64 s[58:59], vcc
	s_cbranch_execz .LBB2_334
; %bb.333:                              ;   in Loop: Header=BB2_124 Depth=2
	v_and_b32_e32 v0, 7, v10
	v_ffbh_u32_e32 v11, v0
	v_min_u32_e32 v11, 32, v11
	v_subrev_u32_e32 v14, 28, v11
	v_lshlrev_b64 v[14:15], v14, v[10:11]
	v_lshrrev_b32_e32 v4, 3, v3
	v_sub_u32_e32 v11, 29, v11
	v_and_b32_e32 v14, 7, v14
	v_cmp_gt_u32_e32 vcc, 8, v3
	v_cndmask_b32_e32 v3, v4, v11, vcc
	v_cndmask_b32_e32 v0, v0, v14, vcc
	v_lshlrev_b32_e32 v4, 24, v10
	v_lshlrev_b32_e32 v0, 20, v0
	v_and_b32_e32 v4, 0x80000000, v4
	v_lshl_add_u32 v3, v3, 23, v20
	v_or3_b32 v0, v4, v3, v0
.LBB2_334:                              ;   in Loop: Header=BB2_124 Depth=2
	s_or_b64 exec, exec, s[58:59]
.LBB2_335:                              ;   in Loop: Header=BB2_124 Depth=2
	s_or_b64 exec, exec, s[56:57]
.LBB2_336:                              ;   in Loop: Header=BB2_124 Depth=2
	s_or_b64 exec, exec, s[22:23]
	v_mul_f32_e32 v3, v7, v0
	v_and_b32_sdwa v0, v3, s75 dst_sel:DWORD dst_unused:UNUSED_PAD src0_sel:BYTE_3 src1_sel:DWORD
	v_and_b32_e32 v10, 0x7f800000, v3
	v_mov_b32_e32 v11, v39
	v_and_b32_e32 v38, 0x7fffff, v3
	v_or_b32_e32 v4, 0x7e, v0
	v_cmp_ne_u64_e32 vcc, s[42:43], v[10:11]
	s_and_saveexec_b64 s[22:23], vcc
	s_xor_b64 s[56:57], exec, s[22:23]
	s_cbranch_execz .LBB2_346
; %bb.337:                              ;   in Loop: Header=BB2_124 Depth=2
	v_and_b32_e32 v10, 0x7fffffff, v3
	v_mov_b32_e32 v11, v39
	v_cmp_gt_u64_e32 vcc, s[44:45], v[10:11]
	s_and_saveexec_b64 s[58:59], vcc
	s_cbranch_execz .LBB2_345
; %bb.338:                              ;   in Loop: Header=BB2_124 Depth=2
	v_cmp_ne_u32_e32 vcc, 0, v3
	v_mov_b32_e32 v4, 0
	s_and_saveexec_b64 s[60:61], vcc
	s_cbranch_execz .LBB2_344
; %bb.339:                              ;   in Loop: Header=BB2_124 Depth=2
	v_bfe_u32 v3, v3, 23, 8
	v_sub_u32_e32 v10, 0x79, v3
	v_cmp_gt_u32_e32 vcc, s76, v3
	v_add_u32_e32 v4, 0xffffff81, v3
	v_cndmask_b32_e32 v10, 0, v10, vcc
	v_cmp_eq_u32_e32 vcc, 0, v3
	v_mov_b32_e32 v3, 0xffffff82
	v_or_b32_e32 v11, 0x800000, v38
	v_cndmask_b32_e32 v3, v4, v3, vcc
	v_cndmask_b32_e32 v4, v10, v18, vcc
	;; [unrolled: 1-line block ×3, first 2 shown]
	v_add_u32_e32 v10, 20, v4
	v_lshlrev_b64 v[10:11], v10, -1
	v_add_u32_e32 v14, 19, v4
	v_lshrrev_b64 v[24:25], v4, v[38:39]
	v_not_b32_e32 v11, v11
	v_not_b32_e32 v10, v10
	v_lshlrev_b64 v[16:17], v14, 1
	v_lshrrev_b32_e32 v14, 23, v24
	v_and_b32_e32 v11, 0, v11
	v_and_b32_e32 v10, v38, v10
	v_add3_u32 v14, v4, v3, v14
	v_bfe_u32 v3, v24, 20, 1
	v_add_u32_e32 v3, -1, v3
	v_cmp_eq_u64_e32 vcc, v[10:11], v[16:17]
	v_cndmask_b32_e32 v3, 0, v3, vcc
	v_add_u32_e32 v3, v3, v24
	v_and_b32_e32 v3, 0xfffff, v3
	v_add_co_u32_e32 v10, vcc, v3, v24
	v_add_u32_e32 v4, 6, v14
	v_addc_co_u32_e32 v11, vcc, 0, v25, vcc
	v_cmp_ne_u32_e32 vcc, 0, v4
                                        ; implicit-def: $vgpr3
	s_and_saveexec_b64 s[22:23], vcc
	s_xor_b64 s[22:23], exec, s[22:23]
; %bb.340:                              ;   in Loop: Header=BB2_124 Depth=2
	v_add_u32_e32 v3, 7, v14
	v_cmp_lt_u64_e32 vcc, s[48:49], v[10:11]
	v_cndmask_b32_e32 v3, v4, v3, vcc
	v_cndmask_b32_e64 v4, 0, 1, vcc
	v_lshrrev_b64 v[10:11], v4, v[10:11]
; %bb.341:                              ;   in Loop: Header=BB2_124 Depth=2
	s_andn2_saveexec_b64 s[22:23], s[22:23]
; %bb.342:                              ;   in Loop: Header=BB2_124 Depth=2
	v_bfe_u32 v3, v10, 23, 1
; %bb.343:                              ;   in Loop: Header=BB2_124 Depth=2
	s_or_b64 exec, exec, s[22:23]
	v_lshrrev_b64 v[10:11], 20, v[10:11]
	v_cmp_gt_i32_e32 vcc, 16, v3
	v_cndmask_b32_e32 v11, 0, v11, vcc
	v_cndmask_b32_e32 v10, 7, v10, vcc
	v_cmp_eq_u32_e32 vcc, 0, v3
	v_min_i32_e32 v3, 15, v3
	v_cmp_eq_u64_e64 s[22:23], 0, v[10:11]
	v_lshlrev_b32_e32 v3, 3, v3
	v_and_or_b32 v3, v10, 7, v3
	s_and_b64 s[22:23], vcc, s[22:23]
	v_cndmask_b32_e64 v3, v3, 0, s[22:23]
	v_or_b32_e32 v4, v3, v0
.LBB2_344:                              ;   in Loop: Header=BB2_124 Depth=2
	s_or_b64 exec, exec, s[60:61]
.LBB2_345:                              ;   in Loop: Header=BB2_124 Depth=2
	s_or_b64 exec, exec, s[58:59]
                                        ; implicit-def: $vgpr3
.LBB2_346:                              ;   in Loop: Header=BB2_124 Depth=2
	s_andn2_saveexec_b64 s[22:23], s[56:57]
; %bb.347:                              ;   in Loop: Header=BB2_124 Depth=2
	v_or_b32_sdwa v0, v3, s74 dst_sel:DWORD dst_unused:UNUSED_PAD src0_sel:BYTE_3 src1_sel:DWORD
	v_cmp_eq_u64_e32 vcc, 0, v[38:39]
	v_cndmask_b32_e32 v4, v0, v4, vcc
; %bb.348:                              ;   in Loop: Header=BB2_124 Depth=2
	s_or_b64 exec, exec, s[22:23]
	v_mov_b32_e32 v38, v13
	v_cmp_ne_u16_sdwa vcc, v13, v39 src0_sel:BYTE_0 src1_sel:DWORD
	v_mov_b32_e32 v0, 0
	s_and_saveexec_b64 s[22:23], vcc
	s_cbranch_execz .LBB2_354
; %bb.349:                              ;   in Loop: Header=BB2_124 Depth=2
	v_cmp_ne_u16_sdwa vcc, v13, s75 src0_sel:BYTE_0 src1_sel:DWORD
	v_bfrev_b32_e32 v0, 1
	s_and_saveexec_b64 s[56:57], vcc
	s_cbranch_execz .LBB2_353
; %bb.350:                              ;   in Loop: Header=BB2_124 Depth=2
	v_and_b32_e32 v3, 0x7f, v13
	v_cmp_ne_u32_e32 vcc, s74, v3
	v_mov_b32_e32 v0, 0x7f800001
	s_and_saveexec_b64 s[58:59], vcc
	s_cbranch_execz .LBB2_352
; %bb.351:                              ;   in Loop: Header=BB2_124 Depth=2
	v_and_b32_e32 v0, 7, v13
	v_ffbh_u32_e32 v0, v0
	v_min_u32_e32 v0, 32, v0
	v_subrev_u32_e32 v11, 28, v0
	v_cmp_gt_u32_e32 vcc, 8, v3
	v_lshrrev_b32_e32 v10, 3, v3
	v_sub_u32_e32 v0, 29, v0
	v_cndmask_b32_e32 v3, 0, v11, vcc
	v_cndmask_b32_e32 v0, v10, v0, vcc
	v_lshlrev_b64 v[10:11], v3, v[38:39]
	v_lshlrev_b32_e32 v3, 20, v10
	v_lshlrev_b32_e32 v10, 24, v38
	v_and_b32_e32 v3, 0x700000, v3
	v_and_b32_e32 v10, 0x80000000, v10
	v_lshl_add_u32 v0, v0, 23, v20
	v_or3_b32 v0, v10, v0, v3
.LBB2_352:                              ;   in Loop: Header=BB2_124 Depth=2
	s_or_b64 exec, exec, s[58:59]
.LBB2_353:                              ;   in Loop: Header=BB2_124 Depth=2
	s_or_b64 exec, exec, s[56:57]
.LBB2_354:                              ;   in Loop: Header=BB2_124 Depth=2
	s_or_b64 exec, exec, s[22:23]
	v_mul_f32_e32 v3, v7, v0
	v_and_b32_sdwa v0, v3, s75 dst_sel:DWORD dst_unused:UNUSED_PAD src0_sel:BYTE_3 src1_sel:DWORD
	v_and_b32_e32 v14, 0x7f800000, v3
	v_mov_b32_e32 v15, v39
	v_and_b32_e32 v10, 0x7fffff, v3
	v_mov_b32_e32 v11, v39
	v_or_b32_e32 v61, 0x7e, v0
	v_cmp_ne_u64_e32 vcc, s[42:43], v[14:15]
	s_and_saveexec_b64 s[22:23], vcc
	s_xor_b64 s[56:57], exec, s[22:23]
	s_cbranch_execz .LBB2_364
; %bb.355:                              ;   in Loop: Header=BB2_124 Depth=2
	v_and_b32_e32 v14, 0x7fffffff, v3
	v_mov_b32_e32 v15, v39
	v_cmp_gt_u64_e32 vcc, s[44:45], v[14:15]
	s_and_saveexec_b64 s[58:59], vcc
	s_cbranch_execz .LBB2_363
; %bb.356:                              ;   in Loop: Header=BB2_124 Depth=2
	v_cmp_ne_u32_e32 vcc, 0, v3
	v_mov_b32_e32 v61, 0
	s_and_saveexec_b64 s[60:61], vcc
	s_cbranch_execz .LBB2_362
; %bb.357:                              ;   in Loop: Header=BB2_124 Depth=2
	v_bfe_u32 v3, v3, 23, 8
	v_sub_u32_e32 v15, 0x79, v3
	v_cmp_gt_u32_e32 vcc, s76, v3
	v_cndmask_b32_e32 v15, 0, v15, vcc
	v_cmp_eq_u32_e32 vcc, 0, v3
	v_add_u32_e32 v14, 0xffffff81, v3
	v_mov_b32_e32 v3, 0xffffff82
	v_cndmask_b32_e32 v19, v15, v18, vcc
	v_cndmask_b32_e32 v3, v14, v3, vcc
	v_add_u32_e32 v14, 20, v19
	v_or_b32_e32 v16, 0x800000, v10
	v_lshlrev_b64 v[14:15], v14, -1
	v_cndmask_b32_e32 v10, v16, v10, vcc
	v_not_b32_e32 v14, v14
	v_and_b32_e32 v16, v10, v14
	v_add_u32_e32 v14, 19, v19
	v_lshrrev_b64 v[10:11], v19, v[10:11]
	v_not_b32_e32 v15, v15
	v_lshlrev_b64 v[24:25], v14, 1
	v_lshrrev_b32_e32 v14, 23, v10
	v_and_b32_e32 v17, 0, v15
	v_add3_u32 v15, v19, v3, v14
	v_bfe_u32 v3, v10, 20, 1
	v_add_u32_e32 v3, -1, v3
	v_cmp_eq_u64_e32 vcc, v[16:17], v[24:25]
	v_cndmask_b32_e32 v3, 0, v3, vcc
	v_add_u32_e32 v3, v3, v10
	v_and_b32_e32 v3, 0xfffff, v3
	v_add_co_u32_e32 v10, vcc, v3, v10
	v_add_u32_e32 v14, 6, v15
	v_addc_co_u32_e32 v11, vcc, 0, v11, vcc
	v_cmp_ne_u32_e32 vcc, 0, v14
                                        ; implicit-def: $vgpr3
	s_and_saveexec_b64 s[22:23], vcc
	s_xor_b64 s[22:23], exec, s[22:23]
; %bb.358:                              ;   in Loop: Header=BB2_124 Depth=2
	v_add_u32_e32 v3, 7, v15
	v_cmp_lt_u64_e32 vcc, s[48:49], v[10:11]
	v_cndmask_b32_e32 v3, v14, v3, vcc
	v_cndmask_b32_e64 v14, 0, 1, vcc
	v_lshrrev_b64 v[10:11], v14, v[10:11]
; %bb.359:                              ;   in Loop: Header=BB2_124 Depth=2
	s_andn2_saveexec_b64 s[22:23], s[22:23]
; %bb.360:                              ;   in Loop: Header=BB2_124 Depth=2
	v_bfe_u32 v3, v10, 23, 1
; %bb.361:                              ;   in Loop: Header=BB2_124 Depth=2
	s_or_b64 exec, exec, s[22:23]
	v_lshrrev_b64 v[10:11], 20, v[10:11]
	v_cmp_gt_i32_e32 vcc, 16, v3
	v_cndmask_b32_e32 v11, 0, v11, vcc
	v_cndmask_b32_e32 v10, 7, v10, vcc
	v_cmp_eq_u32_e32 vcc, 0, v3
	v_min_i32_e32 v3, 15, v3
	v_cmp_eq_u64_e64 s[22:23], 0, v[10:11]
	v_lshlrev_b32_e32 v3, 3, v3
	v_and_or_b32 v3, v10, 7, v3
	s_and_b64 s[22:23], vcc, s[22:23]
	v_cndmask_b32_e64 v3, v3, 0, s[22:23]
	v_or_b32_e32 v61, v3, v0
.LBB2_362:                              ;   in Loop: Header=BB2_124 Depth=2
	s_or_b64 exec, exec, s[60:61]
.LBB2_363:                              ;   in Loop: Header=BB2_124 Depth=2
	s_or_b64 exec, exec, s[58:59]
                                        ; implicit-def: $vgpr3
                                        ; implicit-def: $vgpr10_vgpr11
.LBB2_364:                              ;   in Loop: Header=BB2_124 Depth=2
	s_andn2_saveexec_b64 s[22:23], s[56:57]
; %bb.365:                              ;   in Loop: Header=BB2_124 Depth=2
	v_or_b32_sdwa v0, v3, s74 dst_sel:DWORD dst_unused:UNUSED_PAD src0_sel:BYTE_3 src1_sel:DWORD
	v_cmp_eq_u64_e32 vcc, 0, v[10:11]
	v_cndmask_b32_e32 v61, v0, v61, vcc
; %bb.366:                              ;   in Loop: Header=BB2_124 Depth=2
	s_or_b64 exec, exec, s[22:23]
	v_lshrrev_b16_e32 v10, 8, v38
	v_cmp_ne_u16_e32 vcc, 0, v10
	v_mov_b32_e32 v0, 0
	s_and_saveexec_b64 s[22:23], vcc
	s_cbranch_execz .LBB2_372
; %bb.367:                              ;   in Loop: Header=BB2_124 Depth=2
	v_cmp_ne_u16_e32 vcc, s75, v10
	v_bfrev_b32_e32 v0, 1
	s_and_saveexec_b64 s[56:57], vcc
	s_cbranch_execz .LBB2_371
; %bb.368:                              ;   in Loop: Header=BB2_124 Depth=2
	v_and_b32_e32 v3, 0x7f, v10
	v_cmp_ne_u32_e32 vcc, s74, v3
	v_mov_b32_e32 v0, 0x7f800001
	s_and_saveexec_b64 s[58:59], vcc
	s_cbranch_execz .LBB2_370
; %bb.369:                              ;   in Loop: Header=BB2_124 Depth=2
	v_and_b32_e32 v0, 7, v10
	v_ffbh_u32_e32 v11, v0
	v_min_u32_e32 v15, 32, v11
	v_subrev_u32_e32 v11, 28, v15
	v_lshlrev_b64 v[10:11], v11, v[10:11]
	v_lshrrev_b32_e32 v14, 3, v3
	v_sub_u32_e32 v11, 29, v15
	v_and_b32_e32 v10, 7, v10
	v_cmp_gt_u32_e32 vcc, 8, v3
	v_cndmask_b32_e32 v3, v14, v11, vcc
	v_cndmask_b32_e32 v0, v0, v10, vcc
	v_lshlrev_b32_e32 v10, 16, v38
	v_lshlrev_b32_e32 v0, 20, v0
	v_and_b32_e32 v10, 0x80000000, v10
	v_lshl_add_u32 v3, v3, 23, v20
	v_or3_b32 v0, v10, v3, v0
.LBB2_370:                              ;   in Loop: Header=BB2_124 Depth=2
	s_or_b64 exec, exec, s[58:59]
.LBB2_371:                              ;   in Loop: Header=BB2_124 Depth=2
	s_or_b64 exec, exec, s[56:57]
.LBB2_372:                              ;   in Loop: Header=BB2_124 Depth=2
	s_or_b64 exec, exec, s[22:23]
	v_mul_f32_e32 v3, v7, v0
	v_and_b32_sdwa v0, v3, s75 dst_sel:DWORD dst_unused:UNUSED_PAD src0_sel:BYTE_3 src1_sel:DWORD
	v_and_b32_e32 v10, 0x7f800000, v3
	v_mov_b32_e32 v11, v39
	v_and_b32_e32 v38, 0x7fffff, v3
	v_or_b32_e32 v33, 0x7e, v0
	v_cmp_ne_u64_e32 vcc, s[42:43], v[10:11]
	s_and_saveexec_b64 s[22:23], vcc
	s_xor_b64 s[56:57], exec, s[22:23]
	s_cbranch_execz .LBB2_382
; %bb.373:                              ;   in Loop: Header=BB2_124 Depth=2
	v_and_b32_e32 v10, 0x7fffffff, v3
	v_mov_b32_e32 v11, v39
	v_cmp_gt_u64_e32 vcc, s[44:45], v[10:11]
	s_and_saveexec_b64 s[58:59], vcc
	s_cbranch_execz .LBB2_381
; %bb.374:                              ;   in Loop: Header=BB2_124 Depth=2
	v_cmp_ne_u32_e32 vcc, 0, v3
	v_mov_b32_e32 v33, 0
	s_and_saveexec_b64 s[60:61], vcc
	s_cbranch_execz .LBB2_380
; %bb.375:                              ;   in Loop: Header=BB2_124 Depth=2
	v_bfe_u32 v3, v3, 23, 8
	v_sub_u32_e32 v11, 0x79, v3
	v_cmp_gt_u32_e32 vcc, s76, v3
	v_cndmask_b32_e32 v11, 0, v11, vcc
	v_cmp_eq_u32_e32 vcc, 0, v3
	v_add_u32_e32 v10, 0xffffff81, v3
	v_or_b32_e32 v14, 0x800000, v38
	v_mov_b32_e32 v3, 0xffffff82
	v_cndmask_b32_e32 v15, v11, v18, vcc
	v_cndmask_b32_e32 v3, v10, v3, vcc
	;; [unrolled: 1-line block ×3, first 2 shown]
	v_add_u32_e32 v10, 20, v15
	v_lshlrev_b64 v[10:11], v10, -1
	v_add_u32_e32 v14, 19, v15
	v_lshrrev_b64 v[24:25], v15, v[38:39]
	v_not_b32_e32 v11, v11
	v_not_b32_e32 v10, v10
	v_lshlrev_b64 v[16:17], v14, 1
	v_lshrrev_b32_e32 v14, 23, v24
	v_and_b32_e32 v11, 0, v11
	v_and_b32_e32 v10, v38, v10
	v_add3_u32 v15, v15, v3, v14
	v_bfe_u32 v3, v24, 20, 1
	v_add_u32_e32 v3, -1, v3
	v_cmp_eq_u64_e32 vcc, v[10:11], v[16:17]
	v_cndmask_b32_e32 v3, 0, v3, vcc
	v_add_u32_e32 v3, v3, v24
	v_and_b32_e32 v3, 0xfffff, v3
	v_add_co_u32_e32 v10, vcc, v3, v24
	v_add_u32_e32 v14, 6, v15
	v_addc_co_u32_e32 v11, vcc, 0, v25, vcc
	v_cmp_ne_u32_e32 vcc, 0, v14
                                        ; implicit-def: $vgpr3
	s_and_saveexec_b64 s[22:23], vcc
	s_xor_b64 s[22:23], exec, s[22:23]
; %bb.376:                              ;   in Loop: Header=BB2_124 Depth=2
	v_add_u32_e32 v3, 7, v15
	v_cmp_lt_u64_e32 vcc, s[48:49], v[10:11]
	v_cndmask_b32_e32 v3, v14, v3, vcc
	v_cndmask_b32_e64 v14, 0, 1, vcc
	v_lshrrev_b64 v[10:11], v14, v[10:11]
; %bb.377:                              ;   in Loop: Header=BB2_124 Depth=2
	s_andn2_saveexec_b64 s[22:23], s[22:23]
; %bb.378:                              ;   in Loop: Header=BB2_124 Depth=2
	v_bfe_u32 v3, v10, 23, 1
; %bb.379:                              ;   in Loop: Header=BB2_124 Depth=2
	s_or_b64 exec, exec, s[22:23]
	v_lshrrev_b64 v[10:11], 20, v[10:11]
	v_cmp_gt_i32_e32 vcc, 16, v3
	v_cndmask_b32_e32 v11, 0, v11, vcc
	v_cndmask_b32_e32 v10, 7, v10, vcc
	v_cmp_eq_u32_e32 vcc, 0, v3
	v_min_i32_e32 v3, 15, v3
	v_lshlrev_b32_e32 v3, 3, v3
	v_cmp_eq_u64_e64 s[22:23], 0, v[10:11]
	v_and_b32_e32 v3, 0xf8, v3
	v_and_or_b32 v3, v10, 7, v3
	s_and_b64 s[22:23], vcc, s[22:23]
	v_cndmask_b32_e64 v3, v3, 0, s[22:23]
	v_or_b32_e32 v33, v3, v0
.LBB2_380:                              ;   in Loop: Header=BB2_124 Depth=2
	s_or_b64 exec, exec, s[60:61]
.LBB2_381:                              ;   in Loop: Header=BB2_124 Depth=2
	s_or_b64 exec, exec, s[58:59]
                                        ; implicit-def: $vgpr3
.LBB2_382:                              ;   in Loop: Header=BB2_124 Depth=2
	s_andn2_saveexec_b64 s[22:23], s[56:57]
; %bb.383:                              ;   in Loop: Header=BB2_124 Depth=2
	v_or_b32_sdwa v0, v3, s74 dst_sel:DWORD dst_unused:UNUSED_PAD src0_sel:BYTE_3 src1_sel:DWORD
	v_cmp_eq_u64_e32 vcc, 0, v[38:39]
	v_cndmask_b32_e32 v33, v0, v33, vcc
; %bb.384:                              ;   in Loop: Header=BB2_124 Depth=2
	s_or_b64 exec, exec, s[22:23]
	v_lshrrev_b32_e32 v10, 16, v13
	v_cmp_ne_u16_sdwa vcc, v10, v39 src0_sel:BYTE_0 src1_sel:DWORD
	v_mov_b32_e32 v0, 0
	s_and_saveexec_b64 s[22:23], vcc
	s_cbranch_execz .LBB2_390
; %bb.385:                              ;   in Loop: Header=BB2_124 Depth=2
	v_cmp_ne_u16_sdwa vcc, v10, s75 src0_sel:BYTE_0 src1_sel:DWORD
	v_bfrev_b32_e32 v0, 1
	s_and_saveexec_b64 s[56:57], vcc
	s_cbranch_execz .LBB2_389
; %bb.386:                              ;   in Loop: Header=BB2_124 Depth=2
	v_bfe_u32 v3, v13, 16, 7
	v_cmp_ne_u32_e32 vcc, s74, v3
	v_mov_b32_e32 v0, 0x7f800001
	s_and_saveexec_b64 s[58:59], vcc
	s_cbranch_execz .LBB2_388
; %bb.387:                              ;   in Loop: Header=BB2_124 Depth=2
	v_and_b32_e32 v0, 7, v10
	v_ffbh_u32_e32 v14, v0
	v_min_u32_e32 v16, 32, v14
	v_lshrrev_b32_e32 v11, 3, v3
	v_subrev_u32_e32 v14, 28, v16
	v_lshlrev_b64 v[14:15], v14, v[10:11]
	v_sub_u32_e32 v15, 29, v16
	v_and_b32_e32 v14, 7, v14
	v_cmp_gt_u32_e32 vcc, 8, v3
	v_cndmask_b32_e32 v3, v11, v15, vcc
	v_cndmask_b32_e32 v0, v0, v14, vcc
	v_lshlrev_b32_e32 v10, 24, v10
	v_lshlrev_b32_e32 v0, 20, v0
	v_and_b32_e32 v10, 0x80000000, v10
	v_lshl_add_u32 v3, v3, 23, v20
	v_or3_b32 v0, v10, v3, v0
.LBB2_388:                              ;   in Loop: Header=BB2_124 Depth=2
	s_or_b64 exec, exec, s[58:59]
.LBB2_389:                              ;   in Loop: Header=BB2_124 Depth=2
	s_or_b64 exec, exec, s[56:57]
.LBB2_390:                              ;   in Loop: Header=BB2_124 Depth=2
	s_or_b64 exec, exec, s[22:23]
	v_mul_f32_e32 v3, v7, v0
	v_and_b32_sdwa v0, v3, s75 dst_sel:DWORD dst_unused:UNUSED_PAD src0_sel:BYTE_3 src1_sel:DWORD
	v_and_b32_e32 v10, 0x7f800000, v3
	v_mov_b32_e32 v11, v39
	v_and_b32_e32 v38, 0x7fffff, v3
	v_or_b32_e32 v42, 0x7e, v0
	v_cmp_ne_u64_e32 vcc, s[42:43], v[10:11]
	s_and_saveexec_b64 s[22:23], vcc
	s_xor_b64 s[56:57], exec, s[22:23]
	s_cbranch_execz .LBB2_400
; %bb.391:                              ;   in Loop: Header=BB2_124 Depth=2
	v_and_b32_e32 v10, 0x7fffffff, v3
	v_mov_b32_e32 v11, v39
	v_cmp_gt_u64_e32 vcc, s[44:45], v[10:11]
	s_and_saveexec_b64 s[58:59], vcc
	s_cbranch_execz .LBB2_399
; %bb.392:                              ;   in Loop: Header=BB2_124 Depth=2
	v_cmp_ne_u32_e32 vcc, 0, v3
	v_mov_b32_e32 v42, 0
	s_and_saveexec_b64 s[60:61], vcc
	s_cbranch_execz .LBB2_398
; %bb.393:                              ;   in Loop: Header=BB2_124 Depth=2
	v_bfe_u32 v3, v3, 23, 8
	v_sub_u32_e32 v11, 0x79, v3
	v_cmp_gt_u32_e32 vcc, s76, v3
	v_cndmask_b32_e32 v11, 0, v11, vcc
	v_cmp_eq_u32_e32 vcc, 0, v3
	v_add_u32_e32 v10, 0xffffff81, v3
	v_or_b32_e32 v14, 0x800000, v38
	v_mov_b32_e32 v3, 0xffffff82
	v_cndmask_b32_e32 v15, v11, v18, vcc
	v_cndmask_b32_e32 v3, v10, v3, vcc
	;; [unrolled: 1-line block ×3, first 2 shown]
	v_add_u32_e32 v10, 20, v15
	v_lshlrev_b64 v[10:11], v10, -1
	v_add_u32_e32 v14, 19, v15
	v_lshrrev_b64 v[24:25], v15, v[38:39]
	v_not_b32_e32 v11, v11
	v_not_b32_e32 v10, v10
	v_lshlrev_b64 v[16:17], v14, 1
	v_lshrrev_b32_e32 v14, 23, v24
	v_and_b32_e32 v11, 0, v11
	v_and_b32_e32 v10, v38, v10
	v_add3_u32 v15, v15, v3, v14
	v_bfe_u32 v3, v24, 20, 1
	v_add_u32_e32 v3, -1, v3
	v_cmp_eq_u64_e32 vcc, v[10:11], v[16:17]
	v_cndmask_b32_e32 v3, 0, v3, vcc
	v_add_u32_e32 v3, v3, v24
	v_and_b32_e32 v3, 0xfffff, v3
	v_add_co_u32_e32 v10, vcc, v3, v24
	v_add_u32_e32 v14, 6, v15
	v_addc_co_u32_e32 v11, vcc, 0, v25, vcc
	v_cmp_ne_u32_e32 vcc, 0, v14
                                        ; implicit-def: $vgpr3
	s_and_saveexec_b64 s[22:23], vcc
	s_xor_b64 s[22:23], exec, s[22:23]
; %bb.394:                              ;   in Loop: Header=BB2_124 Depth=2
	v_add_u32_e32 v3, 7, v15
	v_cmp_lt_u64_e32 vcc, s[48:49], v[10:11]
	v_cndmask_b32_e32 v3, v14, v3, vcc
	v_cndmask_b32_e64 v14, 0, 1, vcc
	v_lshrrev_b64 v[10:11], v14, v[10:11]
; %bb.395:                              ;   in Loop: Header=BB2_124 Depth=2
	s_andn2_saveexec_b64 s[22:23], s[22:23]
; %bb.396:                              ;   in Loop: Header=BB2_124 Depth=2
	v_bfe_u32 v3, v10, 23, 1
; %bb.397:                              ;   in Loop: Header=BB2_124 Depth=2
	s_or_b64 exec, exec, s[22:23]
	v_lshrrev_b64 v[10:11], 20, v[10:11]
	v_cmp_gt_i32_e32 vcc, 16, v3
	v_cndmask_b32_e32 v11, 0, v11, vcc
	v_cndmask_b32_e32 v10, 7, v10, vcc
	v_cmp_eq_u32_e32 vcc, 0, v3
	v_min_i32_e32 v3, 15, v3
	v_lshlrev_b32_e32 v3, 3, v3
	v_cmp_eq_u64_e64 s[22:23], 0, v[10:11]
	v_and_b32_e32 v3, 0xf8, v3
	v_and_or_b32 v3, v10, 7, v3
	s_and_b64 s[22:23], vcc, s[22:23]
	v_cndmask_b32_e64 v3, v3, 0, s[22:23]
	v_or_b32_e32 v42, v3, v0
.LBB2_398:                              ;   in Loop: Header=BB2_124 Depth=2
	s_or_b64 exec, exec, s[60:61]
.LBB2_399:                              ;   in Loop: Header=BB2_124 Depth=2
	s_or_b64 exec, exec, s[58:59]
                                        ; implicit-def: $vgpr3
.LBB2_400:                              ;   in Loop: Header=BB2_124 Depth=2
	s_andn2_saveexec_b64 s[22:23], s[56:57]
; %bb.401:                              ;   in Loop: Header=BB2_124 Depth=2
	v_or_b32_sdwa v0, v3, s74 dst_sel:DWORD dst_unused:UNUSED_PAD src0_sel:BYTE_3 src1_sel:DWORD
	v_cmp_eq_u64_e32 vcc, 0, v[38:39]
	v_cndmask_b32_e32 v42, v0, v42, vcc
; %bb.402:                              ;   in Loop: Header=BB2_124 Depth=2
	s_or_b64 exec, exec, s[22:23]
	v_cmp_lt_u64_e32 vcc, s[46:47], v[12:13]
	v_mov_b32_e32 v0, 0
	s_and_saveexec_b64 s[22:23], vcc
	s_cbranch_execz .LBB2_408
; %bb.403:                              ;   in Loop: Header=BB2_124 Depth=2
	v_lshrrev_b32_e32 v10, 24, v13
	v_cmp_ne_u32_e32 vcc, s75, v10
	v_bfrev_b32_e32 v0, 1
	s_and_saveexec_b64 s[56:57], vcc
	s_cbranch_execz .LBB2_407
; %bb.404:                              ;   in Loop: Header=BB2_124 Depth=2
	v_bfe_u32 v3, v13, 24, 7
	v_cmp_ne_u32_e32 vcc, s74, v3
	v_mov_b32_e32 v0, 0x7f800001
	s_and_saveexec_b64 s[58:59], vcc
	s_cbranch_execz .LBB2_406
; %bb.405:                              ;   in Loop: Header=BB2_124 Depth=2
	v_and_b32_e32 v0, 7, v10
	v_ffbh_u32_e32 v12, v0
	v_min_u32_e32 v14, 32, v12
	v_lshrrev_b32_e32 v11, 3, v3
	v_subrev_u32_e32 v12, 28, v14
	v_lshlrev_b64 v[12:13], v12, v[10:11]
	v_sub_u32_e32 v13, 29, v14
	v_and_b32_e32 v12, 7, v12
	v_cmp_gt_u32_e32 vcc, 8, v3
	v_cndmask_b32_e32 v3, v11, v13, vcc
	v_cndmask_b32_e32 v0, v0, v12, vcc
	v_lshlrev_b32_e32 v10, 24, v10
	v_lshlrev_b32_e32 v0, 20, v0
	v_and_b32_e32 v10, 0x80000000, v10
	v_lshl_add_u32 v3, v3, 23, v20
	v_or3_b32 v0, v10, v3, v0
.LBB2_406:                              ;   in Loop: Header=BB2_124 Depth=2
	s_or_b64 exec, exec, s[58:59]
.LBB2_407:                              ;   in Loop: Header=BB2_124 Depth=2
	s_or_b64 exec, exec, s[56:57]
.LBB2_408:                              ;   in Loop: Header=BB2_124 Depth=2
	s_or_b64 exec, exec, s[22:23]
	v_mul_f32_e32 v3, v7, v0
	v_and_b32_sdwa v0, v3, s75 dst_sel:DWORD dst_unused:UNUSED_PAD src0_sel:BYTE_3 src1_sel:DWORD
	v_and_b32_e32 v10, 0x7f800000, v3
	v_mov_b32_e32 v11, v39
	v_and_b32_e32 v38, 0x7fffff, v3
	v_or_b32_e32 v21, 0x7e, v0
	v_cmp_ne_u64_e32 vcc, s[42:43], v[10:11]
	s_and_saveexec_b64 s[22:23], vcc
	s_xor_b64 s[56:57], exec, s[22:23]
	s_cbranch_execz .LBB2_418
; %bb.409:                              ;   in Loop: Header=BB2_124 Depth=2
	v_and_b32_e32 v10, 0x7fffffff, v3
	v_mov_b32_e32 v11, v39
	v_cmp_gt_u64_e32 vcc, s[44:45], v[10:11]
	s_and_saveexec_b64 s[58:59], vcc
	s_cbranch_execz .LBB2_417
; %bb.410:                              ;   in Loop: Header=BB2_124 Depth=2
	v_cmp_ne_u32_e32 vcc, 0, v3
	v_mov_b32_e32 v21, 0
	s_and_saveexec_b64 s[60:61], vcc
	s_cbranch_execz .LBB2_416
; %bb.411:                              ;   in Loop: Header=BB2_124 Depth=2
	v_bfe_u32 v3, v3, 23, 8
	v_sub_u32_e32 v11, 0x79, v3
	v_cmp_gt_u32_e32 vcc, s76, v3
	v_cndmask_b32_e32 v11, 0, v11, vcc
	v_cmp_eq_u32_e32 vcc, 0, v3
	v_add_u32_e32 v10, 0xffffff81, v3
	v_or_b32_e32 v12, 0x800000, v38
	v_mov_b32_e32 v3, 0xffffff82
	v_cndmask_b32_e32 v13, v11, v18, vcc
	v_cndmask_b32_e32 v3, v10, v3, vcc
	;; [unrolled: 1-line block ×3, first 2 shown]
	v_add_u32_e32 v10, 20, v13
	v_lshlrev_b64 v[10:11], v10, -1
	v_add_u32_e32 v12, 19, v13
	v_lshrrev_b64 v[16:17], v13, v[38:39]
	v_not_b32_e32 v11, v11
	v_not_b32_e32 v10, v10
	v_lshlrev_b64 v[14:15], v12, 1
	v_lshrrev_b32_e32 v12, 23, v16
	v_and_b32_e32 v11, 0, v11
	v_and_b32_e32 v10, v38, v10
	v_add3_u32 v13, v13, v3, v12
	v_bfe_u32 v3, v16, 20, 1
	v_add_u32_e32 v3, -1, v3
	v_cmp_eq_u64_e32 vcc, v[10:11], v[14:15]
	v_cndmask_b32_e32 v3, 0, v3, vcc
	v_add_u32_e32 v3, v3, v16
	v_and_b32_e32 v3, 0xfffff, v3
	v_add_co_u32_e32 v10, vcc, v3, v16
	v_add_u32_e32 v12, 6, v13
	v_addc_co_u32_e32 v11, vcc, 0, v17, vcc
	v_cmp_ne_u32_e32 vcc, 0, v12
                                        ; implicit-def: $vgpr3
	s_and_saveexec_b64 s[22:23], vcc
	s_xor_b64 s[22:23], exec, s[22:23]
; %bb.412:                              ;   in Loop: Header=BB2_124 Depth=2
	v_add_u32_e32 v3, 7, v13
	v_cmp_lt_u64_e32 vcc, s[48:49], v[10:11]
	v_cndmask_b32_e32 v3, v12, v3, vcc
	v_cndmask_b32_e64 v12, 0, 1, vcc
	v_lshrrev_b64 v[10:11], v12, v[10:11]
; %bb.413:                              ;   in Loop: Header=BB2_124 Depth=2
	s_andn2_saveexec_b64 s[22:23], s[22:23]
; %bb.414:                              ;   in Loop: Header=BB2_124 Depth=2
	v_bfe_u32 v3, v10, 23, 1
; %bb.415:                              ;   in Loop: Header=BB2_124 Depth=2
	s_or_b64 exec, exec, s[22:23]
	v_lshrrev_b64 v[10:11], 20, v[10:11]
	v_cmp_gt_i32_e32 vcc, 16, v3
	v_cndmask_b32_e32 v11, 0, v11, vcc
	v_cndmask_b32_e32 v10, 7, v10, vcc
	v_cmp_eq_u32_e32 vcc, 0, v3
	v_min_i32_e32 v3, 15, v3
	v_lshlrev_b32_e32 v3, 3, v3
	v_cmp_eq_u64_e64 s[22:23], 0, v[10:11]
	v_and_b32_e32 v3, 0xf8, v3
	v_and_or_b32 v3, v10, 7, v3
	s_and_b64 s[22:23], vcc, s[22:23]
	v_cndmask_b32_e64 v3, v3, 0, s[22:23]
	v_or_b32_e32 v21, v3, v0
.LBB2_416:                              ;   in Loop: Header=BB2_124 Depth=2
	s_or_b64 exec, exec, s[60:61]
.LBB2_417:                              ;   in Loop: Header=BB2_124 Depth=2
	s_or_b64 exec, exec, s[58:59]
                                        ; implicit-def: $vgpr3
.LBB2_418:                              ;   in Loop: Header=BB2_124 Depth=2
	s_andn2_saveexec_b64 s[22:23], s[56:57]
; %bb.419:                              ;   in Loop: Header=BB2_124 Depth=2
	v_or_b32_sdwa v0, v3, s74 dst_sel:DWORD dst_unused:UNUSED_PAD src0_sel:BYTE_3 src1_sel:DWORD
	v_cmp_eq_u64_e32 vcc, 0, v[38:39]
	v_cndmask_b32_e32 v21, v0, v21, vcc
; %bb.420:                              ;   in Loop: Header=BB2_124 Depth=2
	s_or_b64 exec, exec, s[22:23]
	global_load_dwordx4 v[10:13], v[44:45], off offset:1024 glc slc
	v_mov_b32_e32 v0, 0
	s_waitcnt vmcnt(0)
	v_cmp_ne_u16_sdwa vcc, v10, v39 src0_sel:BYTE_0 src1_sel:DWORD
	s_and_saveexec_b64 s[22:23], vcc
	s_cbranch_execz .LBB2_426
; %bb.421:                              ;   in Loop: Header=BB2_124 Depth=2
	v_cmp_ne_u16_sdwa vcc, v10, s75 src0_sel:BYTE_0 src1_sel:DWORD
	v_bfrev_b32_e32 v0, 1
	s_and_saveexec_b64 s[56:57], vcc
	s_cbranch_execz .LBB2_425
; %bb.422:                              ;   in Loop: Header=BB2_124 Depth=2
	v_and_b32_e32 v3, 0x7f, v10
	v_cmp_ne_u32_e32 vcc, s74, v3
	v_mov_b32_e32 v0, 0x7f800001
	s_and_saveexec_b64 s[58:59], vcc
	s_cbranch_execz .LBB2_424
; %bb.423:                              ;   in Loop: Header=BB2_124 Depth=2
	v_and_b32_e32 v0, 7, v10
	v_ffbh_u32_e32 v0, v0
	v_min_u32_e32 v0, 32, v0
	v_subrev_u32_e32 v15, 28, v0
	v_cmp_gt_u32_e32 vcc, 8, v3
	v_lshrrev_b32_e32 v14, 3, v3
	v_sub_u32_e32 v0, 29, v0
	v_cndmask_b32_e32 v3, 0, v15, vcc
	v_cndmask_b32_e32 v0, v14, v0, vcc
	v_lshlrev_b64 v[14:15], v3, v[10:11]
	v_lshlrev_b32_e32 v3, 20, v14
	v_lshlrev_b32_e32 v14, 24, v10
	v_and_b32_e32 v3, 0x700000, v3
	v_and_b32_e32 v14, 0x80000000, v14
	v_lshl_add_u32 v0, v0, 23, v20
	v_or3_b32 v0, v14, v0, v3
.LBB2_424:                              ;   in Loop: Header=BB2_124 Depth=2
	s_or_b64 exec, exec, s[58:59]
.LBB2_425:                              ;   in Loop: Header=BB2_124 Depth=2
	s_or_b64 exec, exec, s[56:57]
.LBB2_426:                              ;   in Loop: Header=BB2_124 Depth=2
	s_or_b64 exec, exec, s[22:23]
	v_mul_f32_e32 v3, v7, v0
	v_and_b32_sdwa v0, v3, s75 dst_sel:DWORD dst_unused:UNUSED_PAD src0_sel:BYTE_3 src1_sel:DWORD
	v_and_b32_e32 v14, 0x7f800000, v3
	v_mov_b32_e32 v15, v39
	v_and_b32_e32 v38, 0x7fffff, v3
	v_or_b32_e32 v31, 0x7e, v0
	v_cmp_ne_u64_e32 vcc, s[42:43], v[14:15]
	s_and_saveexec_b64 s[22:23], vcc
	s_xor_b64 s[56:57], exec, s[22:23]
	s_cbranch_execz .LBB2_436
; %bb.427:                              ;   in Loop: Header=BB2_124 Depth=2
	v_and_b32_e32 v14, 0x7fffffff, v3
	v_mov_b32_e32 v15, v39
	v_cmp_gt_u64_e32 vcc, s[44:45], v[14:15]
	s_and_saveexec_b64 s[58:59], vcc
	s_cbranch_execz .LBB2_435
; %bb.428:                              ;   in Loop: Header=BB2_124 Depth=2
	v_cmp_ne_u32_e32 vcc, 0, v3
	v_mov_b32_e32 v31, 0
	s_and_saveexec_b64 s[60:61], vcc
	s_cbranch_execz .LBB2_434
; %bb.429:                              ;   in Loop: Header=BB2_124 Depth=2
	v_bfe_u32 v3, v3, 23, 8
	v_sub_u32_e32 v15, 0x79, v3
	v_cmp_gt_u32_e32 vcc, s76, v3
	v_cndmask_b32_e32 v15, 0, v15, vcc
	v_cmp_eq_u32_e32 vcc, 0, v3
	v_add_u32_e32 v14, 0xffffff81, v3
	v_or_b32_e32 v16, 0x800000, v38
	v_mov_b32_e32 v3, 0xffffff82
	v_cndmask_b32_e32 v17, v15, v18, vcc
	v_cndmask_b32_e32 v3, v14, v3, vcc
	;; [unrolled: 1-line block ×3, first 2 shown]
	v_add_u32_e32 v14, 20, v17
	v_lshlrev_b64 v[14:15], v14, -1
	v_add_u32_e32 v16, 19, v17
	v_lshrrev_b64 v[26:27], v17, v[38:39]
	v_not_b32_e32 v15, v15
	v_not_b32_e32 v14, v14
	v_lshlrev_b64 v[24:25], v16, 1
	v_lshrrev_b32_e32 v16, 23, v26
	v_and_b32_e32 v15, 0, v15
	v_and_b32_e32 v14, v38, v14
	v_add3_u32 v17, v17, v3, v16
	v_bfe_u32 v3, v26, 20, 1
	v_add_u32_e32 v3, -1, v3
	v_cmp_eq_u64_e32 vcc, v[14:15], v[24:25]
	v_cndmask_b32_e32 v3, 0, v3, vcc
	v_add_u32_e32 v3, v3, v26
	v_and_b32_e32 v3, 0xfffff, v3
	v_add_co_u32_e32 v14, vcc, v3, v26
	v_add_u32_e32 v16, 6, v17
	v_addc_co_u32_e32 v15, vcc, 0, v27, vcc
	v_cmp_ne_u32_e32 vcc, 0, v16
                                        ; implicit-def: $vgpr3
	s_and_saveexec_b64 s[22:23], vcc
	s_xor_b64 s[22:23], exec, s[22:23]
; %bb.430:                              ;   in Loop: Header=BB2_124 Depth=2
	v_add_u32_e32 v3, 7, v17
	v_cmp_lt_u64_e32 vcc, s[48:49], v[14:15]
	v_cndmask_b32_e32 v3, v16, v3, vcc
	v_cndmask_b32_e64 v16, 0, 1, vcc
	v_lshrrev_b64 v[14:15], v16, v[14:15]
; %bb.431:                              ;   in Loop: Header=BB2_124 Depth=2
	s_andn2_saveexec_b64 s[22:23], s[22:23]
; %bb.432:                              ;   in Loop: Header=BB2_124 Depth=2
	v_bfe_u32 v3, v14, 23, 1
; %bb.433:                              ;   in Loop: Header=BB2_124 Depth=2
	s_or_b64 exec, exec, s[22:23]
	v_lshrrev_b64 v[14:15], 20, v[14:15]
	v_cmp_gt_i32_e32 vcc, 16, v3
	v_cndmask_b32_e32 v15, 0, v15, vcc
	v_cndmask_b32_e32 v14, 7, v14, vcc
	v_cmp_eq_u32_e32 vcc, 0, v3
	v_min_i32_e32 v3, 15, v3
	v_cmp_eq_u64_e64 s[22:23], 0, v[14:15]
	v_lshlrev_b32_e32 v3, 3, v3
	v_and_or_b32 v3, v14, 7, v3
	s_and_b64 s[22:23], vcc, s[22:23]
	v_cndmask_b32_e64 v3, v3, 0, s[22:23]
	v_or_b32_e32 v31, v3, v0
.LBB2_434:                              ;   in Loop: Header=BB2_124 Depth=2
	s_or_b64 exec, exec, s[60:61]
.LBB2_435:                              ;   in Loop: Header=BB2_124 Depth=2
	s_or_b64 exec, exec, s[58:59]
                                        ; implicit-def: $vgpr3
.LBB2_436:                              ;   in Loop: Header=BB2_124 Depth=2
	s_andn2_saveexec_b64 s[22:23], s[56:57]
; %bb.437:                              ;   in Loop: Header=BB2_124 Depth=2
	v_or_b32_sdwa v0, v3, s74 dst_sel:DWORD dst_unused:UNUSED_PAD src0_sel:BYTE_3 src1_sel:DWORD
	v_cmp_eq_u64_e32 vcc, 0, v[38:39]
	v_cndmask_b32_e32 v31, v0, v31, vcc
; %bb.438:                              ;   in Loop: Header=BB2_124 Depth=2
	s_or_b64 exec, exec, s[22:23]
	v_lshrrev_b16_e32 v14, 8, v10
	v_cmp_ne_u16_e32 vcc, 0, v14
	v_mov_b32_e32 v0, 0
	s_and_saveexec_b64 s[22:23], vcc
	s_cbranch_execz .LBB2_444
; %bb.439:                              ;   in Loop: Header=BB2_124 Depth=2
	v_cmp_ne_u16_e32 vcc, s75, v14
	v_bfrev_b32_e32 v0, 1
	s_and_saveexec_b64 s[56:57], vcc
	s_cbranch_execz .LBB2_443
; %bb.440:                              ;   in Loop: Header=BB2_124 Depth=2
	v_and_b32_e32 v3, 0x7f, v14
	v_cmp_ne_u32_e32 vcc, s74, v3
	v_mov_b32_e32 v0, 0x7f800001
	s_and_saveexec_b64 s[58:59], vcc
	s_cbranch_execz .LBB2_442
; %bb.441:                              ;   in Loop: Header=BB2_124 Depth=2
	v_and_b32_e32 v0, 7, v14
	v_ffbh_u32_e32 v15, v0
	v_min_u32_e32 v17, 32, v15
	v_subrev_u32_e32 v15, 28, v17
	v_lshlrev_b64 v[14:15], v15, v[14:15]
	v_lshrrev_b32_e32 v16, 3, v3
	v_sub_u32_e32 v15, 29, v17
	v_and_b32_e32 v14, 7, v14
	v_cmp_gt_u32_e32 vcc, 8, v3
	v_cndmask_b32_e32 v3, v16, v15, vcc
	v_cndmask_b32_e32 v0, v0, v14, vcc
	v_lshlrev_b32_e32 v14, 16, v10
	v_lshlrev_b32_e32 v0, 20, v0
	v_and_b32_e32 v14, 0x80000000, v14
	v_lshl_add_u32 v3, v3, 23, v20
	v_or3_b32 v0, v14, v3, v0
.LBB2_442:                              ;   in Loop: Header=BB2_124 Depth=2
	s_or_b64 exec, exec, s[58:59]
.LBB2_443:                              ;   in Loop: Header=BB2_124 Depth=2
	s_or_b64 exec, exec, s[56:57]
.LBB2_444:                              ;   in Loop: Header=BB2_124 Depth=2
	s_or_b64 exec, exec, s[22:23]
	v_mul_f32_e32 v3, v7, v0
	v_and_b32_sdwa v0, v3, s75 dst_sel:DWORD dst_unused:UNUSED_PAD src0_sel:BYTE_3 src1_sel:DWORD
	v_and_b32_e32 v14, 0x7f800000, v3
	v_mov_b32_e32 v15, v39
	v_and_b32_e32 v38, 0x7fffff, v3
	v_or_b32_e32 v35, 0x7e, v0
	v_cmp_ne_u64_e32 vcc, s[42:43], v[14:15]
	s_and_saveexec_b64 s[22:23], vcc
	s_xor_b64 s[56:57], exec, s[22:23]
	s_cbranch_execz .LBB2_454
; %bb.445:                              ;   in Loop: Header=BB2_124 Depth=2
	v_and_b32_e32 v14, 0x7fffffff, v3
	v_mov_b32_e32 v15, v39
	v_cmp_gt_u64_e32 vcc, s[44:45], v[14:15]
	s_and_saveexec_b64 s[58:59], vcc
	s_cbranch_execz .LBB2_453
; %bb.446:                              ;   in Loop: Header=BB2_124 Depth=2
	v_cmp_ne_u32_e32 vcc, 0, v3
	v_mov_b32_e32 v35, 0
	s_and_saveexec_b64 s[60:61], vcc
	s_cbranch_execz .LBB2_452
; %bb.447:                              ;   in Loop: Header=BB2_124 Depth=2
	v_bfe_u32 v3, v3, 23, 8
	v_sub_u32_e32 v15, 0x79, v3
	v_cmp_gt_u32_e32 vcc, s76, v3
	v_cndmask_b32_e32 v15, 0, v15, vcc
	v_cmp_eq_u32_e32 vcc, 0, v3
	v_add_u32_e32 v14, 0xffffff81, v3
	v_or_b32_e32 v16, 0x800000, v38
	v_mov_b32_e32 v3, 0xffffff82
	v_cndmask_b32_e32 v17, v15, v18, vcc
	v_cndmask_b32_e32 v3, v14, v3, vcc
	;; [unrolled: 1-line block ×3, first 2 shown]
	v_add_u32_e32 v14, 20, v17
	v_lshlrev_b64 v[14:15], v14, -1
	v_add_u32_e32 v16, 19, v17
	v_lshrrev_b64 v[26:27], v17, v[38:39]
	v_not_b32_e32 v15, v15
	v_not_b32_e32 v14, v14
	v_lshlrev_b64 v[24:25], v16, 1
	v_lshrrev_b32_e32 v16, 23, v26
	v_and_b32_e32 v15, 0, v15
	v_and_b32_e32 v14, v38, v14
	v_add3_u32 v17, v17, v3, v16
	v_bfe_u32 v3, v26, 20, 1
	v_add_u32_e32 v3, -1, v3
	v_cmp_eq_u64_e32 vcc, v[14:15], v[24:25]
	v_cndmask_b32_e32 v3, 0, v3, vcc
	v_add_u32_e32 v3, v3, v26
	v_and_b32_e32 v3, 0xfffff, v3
	v_add_co_u32_e32 v14, vcc, v3, v26
	v_add_u32_e32 v16, 6, v17
	v_addc_co_u32_e32 v15, vcc, 0, v27, vcc
	v_cmp_ne_u32_e32 vcc, 0, v16
                                        ; implicit-def: $vgpr3
	s_and_saveexec_b64 s[22:23], vcc
	s_xor_b64 s[22:23], exec, s[22:23]
; %bb.448:                              ;   in Loop: Header=BB2_124 Depth=2
	v_add_u32_e32 v3, 7, v17
	v_cmp_lt_u64_e32 vcc, s[48:49], v[14:15]
	v_cndmask_b32_e32 v3, v16, v3, vcc
	v_cndmask_b32_e64 v16, 0, 1, vcc
	v_lshrrev_b64 v[14:15], v16, v[14:15]
; %bb.449:                              ;   in Loop: Header=BB2_124 Depth=2
	s_andn2_saveexec_b64 s[22:23], s[22:23]
; %bb.450:                              ;   in Loop: Header=BB2_124 Depth=2
	v_bfe_u32 v3, v14, 23, 1
; %bb.451:                              ;   in Loop: Header=BB2_124 Depth=2
	s_or_b64 exec, exec, s[22:23]
	v_lshrrev_b64 v[14:15], 20, v[14:15]
	v_cmp_gt_i32_e32 vcc, 16, v3
	v_cndmask_b32_e32 v15, 0, v15, vcc
	v_cndmask_b32_e32 v14, 7, v14, vcc
	v_cmp_eq_u32_e32 vcc, 0, v3
	v_min_i32_e32 v3, 15, v3
	v_cmp_eq_u64_e64 s[22:23], 0, v[14:15]
	v_lshlrev_b32_e32 v3, 3, v3
	v_and_or_b32 v3, v14, 7, v3
	s_and_b64 s[22:23], vcc, s[22:23]
	v_cndmask_b32_e64 v3, v3, 0, s[22:23]
	v_or_b32_e32 v35, v3, v0
.LBB2_452:                              ;   in Loop: Header=BB2_124 Depth=2
	s_or_b64 exec, exec, s[60:61]
.LBB2_453:                              ;   in Loop: Header=BB2_124 Depth=2
	s_or_b64 exec, exec, s[58:59]
                                        ; implicit-def: $vgpr3
.LBB2_454:                              ;   in Loop: Header=BB2_124 Depth=2
	s_andn2_saveexec_b64 s[22:23], s[56:57]
; %bb.455:                              ;   in Loop: Header=BB2_124 Depth=2
	v_or_b32_sdwa v0, v3, s74 dst_sel:DWORD dst_unused:UNUSED_PAD src0_sel:BYTE_3 src1_sel:DWORD
	v_cmp_eq_u64_e32 vcc, 0, v[38:39]
	v_cndmask_b32_e32 v35, v0, v35, vcc
; %bb.456:                              ;   in Loop: Header=BB2_124 Depth=2
	s_or_b64 exec, exec, s[22:23]
	v_lshrrev_b32_e32 v14, 16, v10
	v_cmp_ne_u16_sdwa vcc, v14, v39 src0_sel:BYTE_0 src1_sel:DWORD
	v_mov_b32_e32 v0, 0
	s_and_saveexec_b64 s[22:23], vcc
	s_cbranch_execz .LBB2_462
; %bb.457:                              ;   in Loop: Header=BB2_124 Depth=2
	v_cmp_ne_u16_sdwa vcc, v14, s75 src0_sel:BYTE_0 src1_sel:DWORD
	v_bfrev_b32_e32 v0, 1
	s_and_saveexec_b64 s[56:57], vcc
	s_cbranch_execz .LBB2_461
; %bb.458:                              ;   in Loop: Header=BB2_124 Depth=2
	v_bfe_u32 v3, v10, 16, 7
	v_cmp_ne_u32_e32 vcc, s74, v3
	v_mov_b32_e32 v0, 0x7f800001
	s_and_saveexec_b64 s[58:59], vcc
	s_cbranch_execz .LBB2_460
; %bb.459:                              ;   in Loop: Header=BB2_124 Depth=2
	v_and_b32_e32 v0, 7, v14
	v_ffbh_u32_e32 v16, v0
	v_min_u32_e32 v19, 32, v16
	v_lshrrev_b32_e32 v15, 3, v3
	v_subrev_u32_e32 v16, 28, v19
	v_lshlrev_b64 v[16:17], v16, v[14:15]
	v_sub_u32_e32 v17, 29, v19
	v_and_b32_e32 v16, 7, v16
	v_cmp_gt_u32_e32 vcc, 8, v3
	v_cndmask_b32_e32 v3, v15, v17, vcc
	v_cndmask_b32_e32 v0, v0, v16, vcc
	v_lshlrev_b32_e32 v14, 24, v14
	v_lshlrev_b32_e32 v0, 20, v0
	v_and_b32_e32 v14, 0x80000000, v14
	v_lshl_add_u32 v3, v3, 23, v20
	v_or3_b32 v0, v14, v3, v0
.LBB2_460:                              ;   in Loop: Header=BB2_124 Depth=2
	s_or_b64 exec, exec, s[58:59]
.LBB2_461:                              ;   in Loop: Header=BB2_124 Depth=2
	s_or_b64 exec, exec, s[56:57]
.LBB2_462:                              ;   in Loop: Header=BB2_124 Depth=2
	s_or_b64 exec, exec, s[22:23]
	v_mul_f32_e32 v3, v7, v0
	v_and_b32_sdwa v0, v3, s75 dst_sel:DWORD dst_unused:UNUSED_PAD src0_sel:BYTE_3 src1_sel:DWORD
	v_and_b32_e32 v14, 0x7f800000, v3
	v_mov_b32_e32 v15, v39
	v_and_b32_e32 v38, 0x7fffff, v3
	v_or_b32_e32 v60, 0x7e, v0
	v_cmp_ne_u64_e32 vcc, s[42:43], v[14:15]
	s_and_saveexec_b64 s[22:23], vcc
	s_xor_b64 s[56:57], exec, s[22:23]
	s_cbranch_execz .LBB2_472
; %bb.463:                              ;   in Loop: Header=BB2_124 Depth=2
	v_and_b32_e32 v14, 0x7fffffff, v3
	v_mov_b32_e32 v15, v39
	v_cmp_gt_u64_e32 vcc, s[44:45], v[14:15]
	s_and_saveexec_b64 s[58:59], vcc
	s_cbranch_execz .LBB2_471
; %bb.464:                              ;   in Loop: Header=BB2_124 Depth=2
	v_cmp_ne_u32_e32 vcc, 0, v3
	v_mov_b32_e32 v60, 0
	s_and_saveexec_b64 s[60:61], vcc
	s_cbranch_execz .LBB2_470
; %bb.465:                              ;   in Loop: Header=BB2_124 Depth=2
	v_bfe_u32 v3, v3, 23, 8
	v_sub_u32_e32 v15, 0x79, v3
	v_cmp_gt_u32_e32 vcc, s76, v3
	v_cndmask_b32_e32 v15, 0, v15, vcc
	v_cmp_eq_u32_e32 vcc, 0, v3
	v_add_u32_e32 v14, 0xffffff81, v3
	v_or_b32_e32 v16, 0x800000, v38
	v_mov_b32_e32 v3, 0xffffff82
	v_cndmask_b32_e32 v17, v15, v18, vcc
	v_cndmask_b32_e32 v3, v14, v3, vcc
	;; [unrolled: 1-line block ×3, first 2 shown]
	v_add_u32_e32 v14, 20, v17
	v_lshlrev_b64 v[14:15], v14, -1
	v_add_u32_e32 v16, 19, v17
	v_lshrrev_b64 v[26:27], v17, v[38:39]
	v_not_b32_e32 v15, v15
	v_not_b32_e32 v14, v14
	v_lshlrev_b64 v[24:25], v16, 1
	v_lshrrev_b32_e32 v16, 23, v26
	v_and_b32_e32 v15, 0, v15
	v_and_b32_e32 v14, v38, v14
	v_add3_u32 v17, v17, v3, v16
	v_bfe_u32 v3, v26, 20, 1
	v_add_u32_e32 v3, -1, v3
	v_cmp_eq_u64_e32 vcc, v[14:15], v[24:25]
	v_cndmask_b32_e32 v3, 0, v3, vcc
	v_add_u32_e32 v3, v3, v26
	v_and_b32_e32 v3, 0xfffff, v3
	v_add_co_u32_e32 v14, vcc, v3, v26
	v_add_u32_e32 v16, 6, v17
	v_addc_co_u32_e32 v15, vcc, 0, v27, vcc
	v_cmp_ne_u32_e32 vcc, 0, v16
                                        ; implicit-def: $vgpr3
	s_and_saveexec_b64 s[22:23], vcc
	s_xor_b64 s[22:23], exec, s[22:23]
; %bb.466:                              ;   in Loop: Header=BB2_124 Depth=2
	v_add_u32_e32 v3, 7, v17
	v_cmp_lt_u64_e32 vcc, s[48:49], v[14:15]
	v_cndmask_b32_e32 v3, v16, v3, vcc
	v_cndmask_b32_e64 v16, 0, 1, vcc
	v_lshrrev_b64 v[14:15], v16, v[14:15]
; %bb.467:                              ;   in Loop: Header=BB2_124 Depth=2
	s_andn2_saveexec_b64 s[22:23], s[22:23]
; %bb.468:                              ;   in Loop: Header=BB2_124 Depth=2
	v_bfe_u32 v3, v14, 23, 1
; %bb.469:                              ;   in Loop: Header=BB2_124 Depth=2
	s_or_b64 exec, exec, s[22:23]
	v_lshrrev_b64 v[14:15], 20, v[14:15]
	v_cmp_gt_i32_e32 vcc, 16, v3
	v_cndmask_b32_e32 v15, 0, v15, vcc
	v_cndmask_b32_e32 v14, 7, v14, vcc
	v_cmp_eq_u32_e32 vcc, 0, v3
	v_min_i32_e32 v3, 15, v3
	v_cmp_eq_u64_e64 s[22:23], 0, v[14:15]
	v_lshlrev_b32_e32 v3, 3, v3
	v_and_or_b32 v3, v14, 7, v3
	s_and_b64 s[22:23], vcc, s[22:23]
	v_cndmask_b32_e64 v3, v3, 0, s[22:23]
	v_or_b32_e32 v60, v3, v0
.LBB2_470:                              ;   in Loop: Header=BB2_124 Depth=2
	s_or_b64 exec, exec, s[60:61]
.LBB2_471:                              ;   in Loop: Header=BB2_124 Depth=2
	s_or_b64 exec, exec, s[58:59]
                                        ; implicit-def: $vgpr3
.LBB2_472:                              ;   in Loop: Header=BB2_124 Depth=2
	s_andn2_saveexec_b64 s[22:23], s[56:57]
; %bb.473:                              ;   in Loop: Header=BB2_124 Depth=2
	v_or_b32_sdwa v0, v3, s74 dst_sel:DWORD dst_unused:UNUSED_PAD src0_sel:BYTE_3 src1_sel:DWORD
	v_cmp_eq_u64_e32 vcc, 0, v[38:39]
	v_cndmask_b32_e32 v60, v0, v60, vcc
; %bb.474:                              ;   in Loop: Header=BB2_124 Depth=2
	s_or_b64 exec, exec, s[22:23]
	v_cmp_lt_u32_e32 vcc, s47, v10
	v_mov_b32_e32 v0, 0
	s_and_saveexec_b64 s[22:23], vcc
	s_cbranch_execz .LBB2_480
; %bb.475:                              ;   in Loop: Header=BB2_124 Depth=2
	v_lshrrev_b32_e32 v14, 24, v10
	v_cmp_ne_u32_e32 vcc, s75, v14
	v_bfrev_b32_e32 v0, 1
	s_and_saveexec_b64 s[56:57], vcc
	s_cbranch_execz .LBB2_479
; %bb.476:                              ;   in Loop: Header=BB2_124 Depth=2
	v_bfe_u32 v3, v10, 24, 7
	v_cmp_ne_u32_e32 vcc, s74, v3
	v_mov_b32_e32 v0, 0x7f800001
	s_and_saveexec_b64 s[58:59], vcc
	s_cbranch_execz .LBB2_478
; %bb.477:                              ;   in Loop: Header=BB2_124 Depth=2
	v_and_b32_e32 v0, 7, v14
	v_ffbh_u32_e32 v16, v0
	v_min_u32_e32 v19, 32, v16
	v_lshrrev_b32_e32 v15, 3, v3
	v_subrev_u32_e32 v16, 28, v19
	v_lshlrev_b64 v[16:17], v16, v[14:15]
	v_sub_u32_e32 v17, 29, v19
	v_and_b32_e32 v16, 7, v16
	v_cmp_gt_u32_e32 vcc, 8, v3
	v_cndmask_b32_e32 v3, v15, v17, vcc
	v_cndmask_b32_e32 v0, v0, v16, vcc
	v_lshlrev_b32_e32 v14, 24, v14
	v_lshlrev_b32_e32 v0, 20, v0
	v_and_b32_e32 v14, 0x80000000, v14
	v_lshl_add_u32 v3, v3, 23, v20
	v_or3_b32 v0, v14, v3, v0
.LBB2_478:                              ;   in Loop: Header=BB2_124 Depth=2
	s_or_b64 exec, exec, s[58:59]
.LBB2_479:                              ;   in Loop: Header=BB2_124 Depth=2
	s_or_b64 exec, exec, s[56:57]
.LBB2_480:                              ;   in Loop: Header=BB2_124 Depth=2
	s_or_b64 exec, exec, s[22:23]
	v_mul_f32_e32 v3, v7, v0
	v_and_b32_sdwa v0, v3, s75 dst_sel:DWORD dst_unused:UNUSED_PAD src0_sel:BYTE_3 src1_sel:DWORD
	v_and_b32_e32 v14, 0x7f800000, v3
	v_mov_b32_e32 v15, v39
	v_and_b32_e32 v38, 0x7fffff, v3
	v_or_b32_e32 v49, 0x7e, v0
	v_cmp_ne_u64_e32 vcc, s[42:43], v[14:15]
	s_and_saveexec_b64 s[22:23], vcc
	s_xor_b64 s[56:57], exec, s[22:23]
	s_cbranch_execz .LBB2_490
; %bb.481:                              ;   in Loop: Header=BB2_124 Depth=2
	v_and_b32_e32 v14, 0x7fffffff, v3
	v_mov_b32_e32 v15, v39
	v_cmp_gt_u64_e32 vcc, s[44:45], v[14:15]
	s_and_saveexec_b64 s[58:59], vcc
	s_cbranch_execz .LBB2_489
; %bb.482:                              ;   in Loop: Header=BB2_124 Depth=2
	v_cmp_ne_u32_e32 vcc, 0, v3
	v_mov_b32_e32 v49, 0
	s_and_saveexec_b64 s[60:61], vcc
	s_cbranch_execz .LBB2_488
; %bb.483:                              ;   in Loop: Header=BB2_124 Depth=2
	v_bfe_u32 v3, v3, 23, 8
	v_sub_u32_e32 v15, 0x79, v3
	v_cmp_gt_u32_e32 vcc, s76, v3
	v_cndmask_b32_e32 v15, 0, v15, vcc
	v_cmp_eq_u32_e32 vcc, 0, v3
	v_add_u32_e32 v14, 0xffffff81, v3
	v_or_b32_e32 v16, 0x800000, v38
	v_mov_b32_e32 v3, 0xffffff82
	v_cndmask_b32_e32 v17, v15, v18, vcc
	v_cndmask_b32_e32 v3, v14, v3, vcc
	;; [unrolled: 1-line block ×3, first 2 shown]
	v_add_u32_e32 v14, 20, v17
	v_lshlrev_b64 v[14:15], v14, -1
	v_add_u32_e32 v16, 19, v17
	v_lshrrev_b64 v[26:27], v17, v[38:39]
	v_not_b32_e32 v15, v15
	v_not_b32_e32 v14, v14
	v_lshlrev_b64 v[24:25], v16, 1
	v_lshrrev_b32_e32 v16, 23, v26
	v_and_b32_e32 v15, 0, v15
	v_and_b32_e32 v14, v38, v14
	v_add3_u32 v17, v17, v3, v16
	v_bfe_u32 v3, v26, 20, 1
	v_add_u32_e32 v3, -1, v3
	v_cmp_eq_u64_e32 vcc, v[14:15], v[24:25]
	v_cndmask_b32_e32 v3, 0, v3, vcc
	v_add_u32_e32 v3, v3, v26
	v_and_b32_e32 v3, 0xfffff, v3
	v_add_co_u32_e32 v14, vcc, v3, v26
	v_add_u32_e32 v16, 6, v17
	v_addc_co_u32_e32 v15, vcc, 0, v27, vcc
	v_cmp_ne_u32_e32 vcc, 0, v16
                                        ; implicit-def: $vgpr3
	s_and_saveexec_b64 s[22:23], vcc
	s_xor_b64 s[22:23], exec, s[22:23]
; %bb.484:                              ;   in Loop: Header=BB2_124 Depth=2
	v_add_u32_e32 v3, 7, v17
	v_cmp_lt_u64_e32 vcc, s[48:49], v[14:15]
	v_cndmask_b32_e32 v3, v16, v3, vcc
	v_cndmask_b32_e64 v16, 0, 1, vcc
	v_lshrrev_b64 v[14:15], v16, v[14:15]
; %bb.485:                              ;   in Loop: Header=BB2_124 Depth=2
	s_andn2_saveexec_b64 s[22:23], s[22:23]
; %bb.486:                              ;   in Loop: Header=BB2_124 Depth=2
	v_bfe_u32 v3, v14, 23, 1
; %bb.487:                              ;   in Loop: Header=BB2_124 Depth=2
	s_or_b64 exec, exec, s[22:23]
	v_lshrrev_b64 v[14:15], 20, v[14:15]
	v_cmp_gt_i32_e32 vcc, 16, v3
	v_cndmask_b32_e32 v15, 0, v15, vcc
	v_cndmask_b32_e32 v14, 7, v14, vcc
	v_cmp_eq_u32_e32 vcc, 0, v3
	v_min_i32_e32 v3, 15, v3
	v_cmp_eq_u64_e64 s[22:23], 0, v[14:15]
	v_lshlrev_b32_e32 v3, 3, v3
	v_and_or_b32 v3, v14, 7, v3
	s_and_b64 s[22:23], vcc, s[22:23]
	v_cndmask_b32_e64 v3, v3, 0, s[22:23]
	v_or_b32_e32 v49, v3, v0
.LBB2_488:                              ;   in Loop: Header=BB2_124 Depth=2
	s_or_b64 exec, exec, s[60:61]
.LBB2_489:                              ;   in Loop: Header=BB2_124 Depth=2
	s_or_b64 exec, exec, s[58:59]
                                        ; implicit-def: $vgpr3
.LBB2_490:                              ;   in Loop: Header=BB2_124 Depth=2
	s_andn2_saveexec_b64 s[22:23], s[56:57]
; %bb.491:                              ;   in Loop: Header=BB2_124 Depth=2
	v_or_b32_sdwa v0, v3, s74 dst_sel:DWORD dst_unused:UNUSED_PAD src0_sel:BYTE_3 src1_sel:DWORD
	v_cmp_eq_u64_e32 vcc, 0, v[38:39]
	v_cndmask_b32_e32 v49, v0, v49, vcc
; %bb.492:                              ;   in Loop: Header=BB2_124 Depth=2
	s_or_b64 exec, exec, s[22:23]
	v_mov_b32_e32 v38, v11
	v_cmp_ne_u16_sdwa vcc, v11, v39 src0_sel:BYTE_0 src1_sel:DWORD
	v_mov_b32_e32 v0, 0
	s_and_saveexec_b64 s[22:23], vcc
	s_cbranch_execz .LBB2_498
; %bb.493:                              ;   in Loop: Header=BB2_124 Depth=2
	v_cmp_ne_u16_sdwa vcc, v11, s75 src0_sel:BYTE_0 src1_sel:DWORD
	v_bfrev_b32_e32 v0, 1
	s_and_saveexec_b64 s[56:57], vcc
	s_cbranch_execz .LBB2_497
; %bb.494:                              ;   in Loop: Header=BB2_124 Depth=2
	v_and_b32_e32 v3, 0x7f, v11
	v_cmp_ne_u32_e32 vcc, s74, v3
	v_mov_b32_e32 v0, 0x7f800001
	s_and_saveexec_b64 s[58:59], vcc
	s_cbranch_execz .LBB2_496
; %bb.495:                              ;   in Loop: Header=BB2_124 Depth=2
	v_and_b32_e32 v0, 7, v11
	v_ffbh_u32_e32 v0, v0
	v_min_u32_e32 v0, 32, v0
	v_subrev_u32_e32 v15, 28, v0
	v_cmp_gt_u32_e32 vcc, 8, v3
	v_lshrrev_b32_e32 v14, 3, v3
	v_sub_u32_e32 v0, 29, v0
	v_cndmask_b32_e32 v3, 0, v15, vcc
	v_cndmask_b32_e32 v0, v14, v0, vcc
	v_lshlrev_b64 v[14:15], v3, v[38:39]
	v_lshlrev_b32_e32 v3, 20, v14
	v_lshlrev_b32_e32 v14, 24, v38
	v_and_b32_e32 v3, 0x700000, v3
	v_and_b32_e32 v14, 0x80000000, v14
	v_lshl_add_u32 v0, v0, 23, v20
	v_or3_b32 v0, v14, v0, v3
.LBB2_496:                              ;   in Loop: Header=BB2_124 Depth=2
	s_or_b64 exec, exec, s[58:59]
.LBB2_497:                              ;   in Loop: Header=BB2_124 Depth=2
	s_or_b64 exec, exec, s[56:57]
.LBB2_498:                              ;   in Loop: Header=BB2_124 Depth=2
	s_or_b64 exec, exec, s[22:23]
	v_mul_f32_e32 v3, v7, v0
	v_and_b32_sdwa v0, v3, s75 dst_sel:DWORD dst_unused:UNUSED_PAD src0_sel:BYTE_3 src1_sel:DWORD
	v_and_b32_e32 v16, 0x7f800000, v3
	v_mov_b32_e32 v17, v39
	v_and_b32_e32 v14, 0x7fffff, v3
	v_mov_b32_e32 v15, v39
	v_or_b32_e32 v27, 0x7e, v0
	v_cmp_ne_u64_e32 vcc, s[42:43], v[16:17]
	s_and_saveexec_b64 s[22:23], vcc
	s_xor_b64 s[56:57], exec, s[22:23]
	s_cbranch_execz .LBB2_508
; %bb.499:                              ;   in Loop: Header=BB2_124 Depth=2
	v_and_b32_e32 v16, 0x7fffffff, v3
	v_mov_b32_e32 v17, v39
	v_cmp_gt_u64_e32 vcc, s[44:45], v[16:17]
	s_and_saveexec_b64 s[58:59], vcc
	s_cbranch_execz .LBB2_507
; %bb.500:                              ;   in Loop: Header=BB2_124 Depth=2
	v_cmp_ne_u32_e32 vcc, 0, v3
	v_mov_b32_e32 v27, 0
	s_and_saveexec_b64 s[60:61], vcc
	s_cbranch_execz .LBB2_506
; %bb.501:                              ;   in Loop: Header=BB2_124 Depth=2
	v_bfe_u32 v3, v3, 23, 8
	v_sub_u32_e32 v17, 0x79, v3
	v_cmp_gt_u32_e32 vcc, s76, v3
	v_cndmask_b32_e32 v17, 0, v17, vcc
	v_cmp_eq_u32_e32 vcc, 0, v3
	v_add_u32_e32 v16, 0xffffff81, v3
	v_mov_b32_e32 v3, 0xffffff82
	v_cndmask_b32_e32 v22, v17, v18, vcc
	v_cndmask_b32_e32 v3, v16, v3, vcc
	v_add_u32_e32 v16, 20, v22
	v_or_b32_e32 v19, 0x800000, v14
	v_lshlrev_b64 v[16:17], v16, -1
	v_cndmask_b32_e32 v14, v19, v14, vcc
	v_not_b32_e32 v16, v16
	v_and_b32_e32 v24, v14, v16
	v_add_u32_e32 v16, 19, v22
	v_lshrrev_b64 v[14:15], v22, v[14:15]
	v_not_b32_e32 v17, v17
	v_lshlrev_b64 v[26:27], v16, 1
	v_lshrrev_b32_e32 v16, 23, v14
	v_and_b32_e32 v25, 0, v17
	v_add3_u32 v17, v22, v3, v16
	v_bfe_u32 v3, v14, 20, 1
	v_add_u32_e32 v3, -1, v3
	v_cmp_eq_u64_e32 vcc, v[24:25], v[26:27]
	v_cndmask_b32_e32 v3, 0, v3, vcc
	v_add_u32_e32 v3, v3, v14
	v_and_b32_e32 v3, 0xfffff, v3
	v_add_co_u32_e32 v14, vcc, v3, v14
	v_add_u32_e32 v16, 6, v17
	v_addc_co_u32_e32 v15, vcc, 0, v15, vcc
	v_cmp_ne_u32_e32 vcc, 0, v16
                                        ; implicit-def: $vgpr3
	s_and_saveexec_b64 s[22:23], vcc
	s_xor_b64 s[22:23], exec, s[22:23]
; %bb.502:                              ;   in Loop: Header=BB2_124 Depth=2
	v_add_u32_e32 v3, 7, v17
	v_cmp_lt_u64_e32 vcc, s[48:49], v[14:15]
	v_cndmask_b32_e32 v3, v16, v3, vcc
	v_cndmask_b32_e64 v16, 0, 1, vcc
	v_lshrrev_b64 v[14:15], v16, v[14:15]
; %bb.503:                              ;   in Loop: Header=BB2_124 Depth=2
	s_andn2_saveexec_b64 s[22:23], s[22:23]
; %bb.504:                              ;   in Loop: Header=BB2_124 Depth=2
	v_bfe_u32 v3, v14, 23, 1
; %bb.505:                              ;   in Loop: Header=BB2_124 Depth=2
	s_or_b64 exec, exec, s[22:23]
	v_lshrrev_b64 v[14:15], 20, v[14:15]
	v_cmp_gt_i32_e32 vcc, 16, v3
	v_cndmask_b32_e32 v15, 0, v15, vcc
	v_cndmask_b32_e32 v14, 7, v14, vcc
	v_cmp_eq_u32_e32 vcc, 0, v3
	v_min_i32_e32 v3, 15, v3
	v_cmp_eq_u64_e64 s[22:23], 0, v[14:15]
	v_lshlrev_b32_e32 v3, 3, v3
	v_and_or_b32 v3, v14, 7, v3
	s_and_b64 s[22:23], vcc, s[22:23]
	v_cndmask_b32_e64 v3, v3, 0, s[22:23]
	v_or_b32_e32 v27, v3, v0
.LBB2_506:                              ;   in Loop: Header=BB2_124 Depth=2
	s_or_b64 exec, exec, s[60:61]
.LBB2_507:                              ;   in Loop: Header=BB2_124 Depth=2
	s_or_b64 exec, exec, s[58:59]
                                        ; implicit-def: $vgpr3
                                        ; implicit-def: $vgpr14_vgpr15
.LBB2_508:                              ;   in Loop: Header=BB2_124 Depth=2
	s_andn2_saveexec_b64 s[22:23], s[56:57]
; %bb.509:                              ;   in Loop: Header=BB2_124 Depth=2
	v_or_b32_sdwa v0, v3, s74 dst_sel:DWORD dst_unused:UNUSED_PAD src0_sel:BYTE_3 src1_sel:DWORD
	v_cmp_eq_u64_e32 vcc, 0, v[14:15]
	v_cndmask_b32_e32 v27, v0, v27, vcc
; %bb.510:                              ;   in Loop: Header=BB2_124 Depth=2
	s_or_b64 exec, exec, s[22:23]
	v_lshrrev_b16_e32 v14, 8, v38
	v_cmp_ne_u16_e32 vcc, 0, v14
	v_mov_b32_e32 v0, 0
	s_and_saveexec_b64 s[22:23], vcc
	s_cbranch_execz .LBB2_516
; %bb.511:                              ;   in Loop: Header=BB2_124 Depth=2
	v_cmp_ne_u16_e32 vcc, s75, v14
	v_bfrev_b32_e32 v0, 1
	s_and_saveexec_b64 s[56:57], vcc
	s_cbranch_execz .LBB2_515
; %bb.512:                              ;   in Loop: Header=BB2_124 Depth=2
	v_and_b32_e32 v3, 0x7f, v14
	v_cmp_ne_u32_e32 vcc, s74, v3
	v_mov_b32_e32 v0, 0x7f800001
	s_and_saveexec_b64 s[58:59], vcc
	s_cbranch_execz .LBB2_514
; %bb.513:                              ;   in Loop: Header=BB2_124 Depth=2
	v_and_b32_e32 v0, 7, v14
	v_ffbh_u32_e32 v15, v0
	v_min_u32_e32 v17, 32, v15
	v_subrev_u32_e32 v15, 28, v17
	v_lshlrev_b64 v[14:15], v15, v[14:15]
	v_lshrrev_b32_e32 v16, 3, v3
	v_sub_u32_e32 v15, 29, v17
	v_and_b32_e32 v14, 7, v14
	v_cmp_gt_u32_e32 vcc, 8, v3
	v_cndmask_b32_e32 v3, v16, v15, vcc
	v_cndmask_b32_e32 v0, v0, v14, vcc
	v_lshlrev_b32_e32 v14, 16, v38
	v_lshlrev_b32_e32 v0, 20, v0
	v_and_b32_e32 v14, 0x80000000, v14
	v_lshl_add_u32 v3, v3, 23, v20
	v_or3_b32 v0, v14, v3, v0
.LBB2_514:                              ;   in Loop: Header=BB2_124 Depth=2
	s_or_b64 exec, exec, s[58:59]
.LBB2_515:                              ;   in Loop: Header=BB2_124 Depth=2
	s_or_b64 exec, exec, s[56:57]
.LBB2_516:                              ;   in Loop: Header=BB2_124 Depth=2
	s_or_b64 exec, exec, s[22:23]
	v_mul_f32_e32 v3, v7, v0
	v_and_b32_sdwa v0, v3, s75 dst_sel:DWORD dst_unused:UNUSED_PAD src0_sel:BYTE_3 src1_sel:DWORD
	v_and_b32_e32 v14, 0x7f800000, v3
	v_mov_b32_e32 v15, v39
	v_and_b32_e32 v38, 0x7fffff, v3
	v_or_b32_e32 v40, 0x7e, v0
	v_cmp_ne_u64_e32 vcc, s[42:43], v[14:15]
	s_and_saveexec_b64 s[22:23], vcc
	s_xor_b64 s[56:57], exec, s[22:23]
	s_cbranch_execz .LBB2_526
; %bb.517:                              ;   in Loop: Header=BB2_124 Depth=2
	v_and_b32_e32 v14, 0x7fffffff, v3
	v_mov_b32_e32 v15, v39
	v_cmp_gt_u64_e32 vcc, s[44:45], v[14:15]
	s_and_saveexec_b64 s[58:59], vcc
	s_cbranch_execz .LBB2_525
; %bb.518:                              ;   in Loop: Header=BB2_124 Depth=2
	v_cmp_ne_u32_e32 vcc, 0, v3
	v_mov_b32_e32 v40, 0
	s_and_saveexec_b64 s[60:61], vcc
	s_cbranch_execz .LBB2_524
; %bb.519:                              ;   in Loop: Header=BB2_124 Depth=2
	v_bfe_u32 v3, v3, 23, 8
	v_sub_u32_e32 v15, 0x79, v3
	v_cmp_gt_u32_e32 vcc, s76, v3
	v_cndmask_b32_e32 v15, 0, v15, vcc
	v_cmp_eq_u32_e32 vcc, 0, v3
	v_add_u32_e32 v14, 0xffffff81, v3
	v_or_b32_e32 v16, 0x800000, v38
	v_mov_b32_e32 v3, 0xffffff82
	v_cndmask_b32_e32 v17, v15, v18, vcc
	v_cndmask_b32_e32 v3, v14, v3, vcc
	;; [unrolled: 1-line block ×3, first 2 shown]
	v_add_u32_e32 v14, 20, v17
	v_lshlrev_b64 v[14:15], v14, -1
	v_add_u32_e32 v16, 19, v17
	v_lshrrev_b64 v[50:51], v17, v[38:39]
	v_not_b32_e32 v15, v15
	v_not_b32_e32 v14, v14
	v_lshlrev_b64 v[24:25], v16, 1
	v_lshrrev_b32_e32 v16, 23, v50
	v_and_b32_e32 v15, 0, v15
	v_and_b32_e32 v14, v38, v14
	v_add3_u32 v17, v17, v3, v16
	v_bfe_u32 v3, v50, 20, 1
	v_add_u32_e32 v3, -1, v3
	v_cmp_eq_u64_e32 vcc, v[14:15], v[24:25]
	v_cndmask_b32_e32 v3, 0, v3, vcc
	v_add_u32_e32 v3, v3, v50
	v_and_b32_e32 v3, 0xfffff, v3
	v_add_co_u32_e32 v14, vcc, v3, v50
	v_add_u32_e32 v16, 6, v17
	v_addc_co_u32_e32 v15, vcc, 0, v51, vcc
	v_cmp_ne_u32_e32 vcc, 0, v16
                                        ; implicit-def: $vgpr3
	s_and_saveexec_b64 s[22:23], vcc
	s_xor_b64 s[22:23], exec, s[22:23]
; %bb.520:                              ;   in Loop: Header=BB2_124 Depth=2
	v_add_u32_e32 v3, 7, v17
	v_cmp_lt_u64_e32 vcc, s[48:49], v[14:15]
	v_cndmask_b32_e32 v3, v16, v3, vcc
	v_cndmask_b32_e64 v16, 0, 1, vcc
	v_lshrrev_b64 v[14:15], v16, v[14:15]
; %bb.521:                              ;   in Loop: Header=BB2_124 Depth=2
	s_andn2_saveexec_b64 s[22:23], s[22:23]
; %bb.522:                              ;   in Loop: Header=BB2_124 Depth=2
	v_bfe_u32 v3, v14, 23, 1
; %bb.523:                              ;   in Loop: Header=BB2_124 Depth=2
	s_or_b64 exec, exec, s[22:23]
	v_lshrrev_b64 v[14:15], 20, v[14:15]
	v_cmp_gt_i32_e32 vcc, 16, v3
	v_cndmask_b32_e32 v15, 0, v15, vcc
	v_cndmask_b32_e32 v14, 7, v14, vcc
	v_cmp_eq_u32_e32 vcc, 0, v3
	v_min_i32_e32 v3, 15, v3
	v_lshlrev_b32_e32 v3, 3, v3
	v_cmp_eq_u64_e64 s[22:23], 0, v[14:15]
	v_and_b32_e32 v3, 0xf8, v3
	v_and_or_b32 v3, v14, 7, v3
	s_and_b64 s[22:23], vcc, s[22:23]
	v_cndmask_b32_e64 v3, v3, 0, s[22:23]
	v_or_b32_e32 v40, v3, v0
.LBB2_524:                              ;   in Loop: Header=BB2_124 Depth=2
	s_or_b64 exec, exec, s[60:61]
.LBB2_525:                              ;   in Loop: Header=BB2_124 Depth=2
	s_or_b64 exec, exec, s[58:59]
                                        ; implicit-def: $vgpr3
.LBB2_526:                              ;   in Loop: Header=BB2_124 Depth=2
	s_andn2_saveexec_b64 s[22:23], s[56:57]
; %bb.527:                              ;   in Loop: Header=BB2_124 Depth=2
	v_or_b32_sdwa v0, v3, s74 dst_sel:DWORD dst_unused:UNUSED_PAD src0_sel:BYTE_3 src1_sel:DWORD
	v_cmp_eq_u64_e32 vcc, 0, v[38:39]
	v_cndmask_b32_e32 v40, v0, v40, vcc
; %bb.528:                              ;   in Loop: Header=BB2_124 Depth=2
	s_or_b64 exec, exec, s[22:23]
	v_lshrrev_b32_e32 v14, 16, v11
	v_cmp_ne_u16_sdwa vcc, v14, v39 src0_sel:BYTE_0 src1_sel:DWORD
	v_mov_b32_e32 v0, 0
	s_and_saveexec_b64 s[22:23], vcc
	s_cbranch_execz .LBB2_534
; %bb.529:                              ;   in Loop: Header=BB2_124 Depth=2
	v_cmp_ne_u16_sdwa vcc, v14, s75 src0_sel:BYTE_0 src1_sel:DWORD
	v_bfrev_b32_e32 v0, 1
	s_and_saveexec_b64 s[56:57], vcc
	s_cbranch_execz .LBB2_533
; %bb.530:                              ;   in Loop: Header=BB2_124 Depth=2
	v_bfe_u32 v3, v11, 16, 7
	v_cmp_ne_u32_e32 vcc, s74, v3
	v_mov_b32_e32 v0, 0x7f800001
	s_and_saveexec_b64 s[58:59], vcc
	s_cbranch_execz .LBB2_532
; %bb.531:                              ;   in Loop: Header=BB2_124 Depth=2
	v_and_b32_e32 v0, 7, v14
	v_ffbh_u32_e32 v16, v0
	v_min_u32_e32 v19, 32, v16
	v_lshrrev_b32_e32 v15, 3, v3
	v_subrev_u32_e32 v16, 28, v19
	v_lshlrev_b64 v[16:17], v16, v[14:15]
	v_sub_u32_e32 v17, 29, v19
	v_and_b32_e32 v16, 7, v16
	v_cmp_gt_u32_e32 vcc, 8, v3
	v_cndmask_b32_e32 v3, v15, v17, vcc
	v_cndmask_b32_e32 v0, v0, v16, vcc
	v_lshlrev_b32_e32 v14, 24, v14
	v_lshlrev_b32_e32 v0, 20, v0
	v_and_b32_e32 v14, 0x80000000, v14
	v_lshl_add_u32 v3, v3, 23, v20
	v_or3_b32 v0, v14, v3, v0
.LBB2_532:                              ;   in Loop: Header=BB2_124 Depth=2
	s_or_b64 exec, exec, s[58:59]
.LBB2_533:                              ;   in Loop: Header=BB2_124 Depth=2
	s_or_b64 exec, exec, s[56:57]
.LBB2_534:                              ;   in Loop: Header=BB2_124 Depth=2
	s_or_b64 exec, exec, s[22:23]
	v_mul_f32_e32 v3, v7, v0
	v_and_b32_sdwa v0, v3, s75 dst_sel:DWORD dst_unused:UNUSED_PAD src0_sel:BYTE_3 src1_sel:DWORD
	v_and_b32_e32 v14, 0x7f800000, v3
	v_mov_b32_e32 v15, v39
	v_and_b32_e32 v38, 0x7fffff, v3
	v_or_b32_e32 v34, 0x7e, v0
	v_cmp_ne_u64_e32 vcc, s[42:43], v[14:15]
	s_and_saveexec_b64 s[22:23], vcc
	s_xor_b64 s[56:57], exec, s[22:23]
	s_cbranch_execz .LBB2_544
; %bb.535:                              ;   in Loop: Header=BB2_124 Depth=2
	v_and_b32_e32 v14, 0x7fffffff, v3
	v_mov_b32_e32 v15, v39
	v_cmp_gt_u64_e32 vcc, s[44:45], v[14:15]
	s_and_saveexec_b64 s[58:59], vcc
	s_cbranch_execz .LBB2_543
; %bb.536:                              ;   in Loop: Header=BB2_124 Depth=2
	v_cmp_ne_u32_e32 vcc, 0, v3
	v_mov_b32_e32 v34, 0
	s_and_saveexec_b64 s[60:61], vcc
	s_cbranch_execz .LBB2_542
; %bb.537:                              ;   in Loop: Header=BB2_124 Depth=2
	v_bfe_u32 v3, v3, 23, 8
	v_sub_u32_e32 v15, 0x79, v3
	v_cmp_gt_u32_e32 vcc, s76, v3
	v_cndmask_b32_e32 v15, 0, v15, vcc
	v_cmp_eq_u32_e32 vcc, 0, v3
	v_add_u32_e32 v14, 0xffffff81, v3
	v_or_b32_e32 v16, 0x800000, v38
	v_mov_b32_e32 v3, 0xffffff82
	v_cndmask_b32_e32 v17, v15, v18, vcc
	v_cndmask_b32_e32 v3, v14, v3, vcc
	;; [unrolled: 1-line block ×3, first 2 shown]
	v_add_u32_e32 v14, 20, v17
	v_lshlrev_b64 v[14:15], v14, -1
	v_add_u32_e32 v16, 19, v17
	v_lshrrev_b64 v[50:51], v17, v[38:39]
	v_not_b32_e32 v15, v15
	v_not_b32_e32 v14, v14
	v_lshlrev_b64 v[24:25], v16, 1
	v_lshrrev_b32_e32 v16, 23, v50
	v_and_b32_e32 v15, 0, v15
	v_and_b32_e32 v14, v38, v14
	v_add3_u32 v17, v17, v3, v16
	v_bfe_u32 v3, v50, 20, 1
	v_add_u32_e32 v3, -1, v3
	v_cmp_eq_u64_e32 vcc, v[14:15], v[24:25]
	v_cndmask_b32_e32 v3, 0, v3, vcc
	v_add_u32_e32 v3, v3, v50
	v_and_b32_e32 v3, 0xfffff, v3
	v_add_co_u32_e32 v14, vcc, v3, v50
	v_add_u32_e32 v16, 6, v17
	v_addc_co_u32_e32 v15, vcc, 0, v51, vcc
	v_cmp_ne_u32_e32 vcc, 0, v16
                                        ; implicit-def: $vgpr3
	s_and_saveexec_b64 s[22:23], vcc
	s_xor_b64 s[22:23], exec, s[22:23]
; %bb.538:                              ;   in Loop: Header=BB2_124 Depth=2
	v_add_u32_e32 v3, 7, v17
	v_cmp_lt_u64_e32 vcc, s[48:49], v[14:15]
	v_cndmask_b32_e32 v3, v16, v3, vcc
	v_cndmask_b32_e64 v16, 0, 1, vcc
	v_lshrrev_b64 v[14:15], v16, v[14:15]
; %bb.539:                              ;   in Loop: Header=BB2_124 Depth=2
	s_andn2_saveexec_b64 s[22:23], s[22:23]
; %bb.540:                              ;   in Loop: Header=BB2_124 Depth=2
	v_bfe_u32 v3, v14, 23, 1
; %bb.541:                              ;   in Loop: Header=BB2_124 Depth=2
	s_or_b64 exec, exec, s[22:23]
	v_lshrrev_b64 v[14:15], 20, v[14:15]
	v_cmp_gt_i32_e32 vcc, 16, v3
	v_cndmask_b32_e32 v15, 0, v15, vcc
	v_cndmask_b32_e32 v14, 7, v14, vcc
	v_cmp_eq_u32_e32 vcc, 0, v3
	v_min_i32_e32 v3, 15, v3
	v_lshlrev_b32_e32 v3, 3, v3
	v_cmp_eq_u64_e64 s[22:23], 0, v[14:15]
	v_and_b32_e32 v3, 0xf8, v3
	v_and_or_b32 v3, v14, 7, v3
	s_and_b64 s[22:23], vcc, s[22:23]
	v_cndmask_b32_e64 v3, v3, 0, s[22:23]
	v_or_b32_e32 v34, v3, v0
.LBB2_542:                              ;   in Loop: Header=BB2_124 Depth=2
	s_or_b64 exec, exec, s[60:61]
.LBB2_543:                              ;   in Loop: Header=BB2_124 Depth=2
	s_or_b64 exec, exec, s[58:59]
                                        ; implicit-def: $vgpr3
.LBB2_544:                              ;   in Loop: Header=BB2_124 Depth=2
	s_andn2_saveexec_b64 s[22:23], s[56:57]
; %bb.545:                              ;   in Loop: Header=BB2_124 Depth=2
	v_or_b32_sdwa v0, v3, s74 dst_sel:DWORD dst_unused:UNUSED_PAD src0_sel:BYTE_3 src1_sel:DWORD
	v_cmp_eq_u64_e32 vcc, 0, v[38:39]
	v_cndmask_b32_e32 v34, v0, v34, vcc
; %bb.546:                              ;   in Loop: Header=BB2_124 Depth=2
	s_or_b64 exec, exec, s[22:23]
	v_cmp_lt_u64_e32 vcc, s[46:47], v[10:11]
	v_mov_b32_e32 v0, 0
	s_and_saveexec_b64 s[22:23], vcc
	s_cbranch_execz .LBB2_552
; %bb.547:                              ;   in Loop: Header=BB2_124 Depth=2
	v_lshrrev_b32_e32 v10, 24, v11
	v_cmp_ne_u32_e32 vcc, s75, v10
	v_bfrev_b32_e32 v0, 1
	s_and_saveexec_b64 s[56:57], vcc
	s_cbranch_execz .LBB2_551
; %bb.548:                              ;   in Loop: Header=BB2_124 Depth=2
	v_bfe_u32 v3, v11, 24, 7
	v_cmp_ne_u32_e32 vcc, s74, v3
	v_mov_b32_e32 v0, 0x7f800001
	s_and_saveexec_b64 s[58:59], vcc
	s_cbranch_execz .LBB2_550
; %bb.549:                              ;   in Loop: Header=BB2_124 Depth=2
	v_and_b32_e32 v0, 7, v10
	v_ffbh_u32_e32 v14, v0
	v_min_u32_e32 v16, 32, v14
	v_lshrrev_b32_e32 v11, 3, v3
	v_subrev_u32_e32 v14, 28, v16
	v_lshlrev_b64 v[14:15], v14, v[10:11]
	v_sub_u32_e32 v15, 29, v16
	v_and_b32_e32 v14, 7, v14
	v_cmp_gt_u32_e32 vcc, 8, v3
	v_cndmask_b32_e32 v3, v11, v15, vcc
	v_cndmask_b32_e32 v0, v0, v14, vcc
	v_lshlrev_b32_e32 v10, 24, v10
	v_lshlrev_b32_e32 v0, 20, v0
	v_and_b32_e32 v10, 0x80000000, v10
	v_lshl_add_u32 v3, v3, 23, v20
	v_or3_b32 v0, v10, v3, v0
.LBB2_550:                              ;   in Loop: Header=BB2_124 Depth=2
	s_or_b64 exec, exec, s[58:59]
.LBB2_551:                              ;   in Loop: Header=BB2_124 Depth=2
	s_or_b64 exec, exec, s[56:57]
.LBB2_552:                              ;   in Loop: Header=BB2_124 Depth=2
	s_or_b64 exec, exec, s[22:23]
	v_mul_f32_e32 v3, v7, v0
	v_and_b32_sdwa v0, v3, s75 dst_sel:DWORD dst_unused:UNUSED_PAD src0_sel:BYTE_3 src1_sel:DWORD
	v_and_b32_e32 v10, 0x7f800000, v3
	v_mov_b32_e32 v11, v39
	v_and_b32_e32 v38, 0x7fffff, v3
	v_or_b32_e32 v32, 0x7e, v0
	v_cmp_ne_u64_e32 vcc, s[42:43], v[10:11]
	s_and_saveexec_b64 s[22:23], vcc
	s_xor_b64 s[56:57], exec, s[22:23]
	s_cbranch_execz .LBB2_562
; %bb.553:                              ;   in Loop: Header=BB2_124 Depth=2
	v_and_b32_e32 v10, 0x7fffffff, v3
	v_mov_b32_e32 v11, v39
	v_cmp_gt_u64_e32 vcc, s[44:45], v[10:11]
	s_and_saveexec_b64 s[58:59], vcc
	s_cbranch_execz .LBB2_561
; %bb.554:                              ;   in Loop: Header=BB2_124 Depth=2
	v_cmp_ne_u32_e32 vcc, 0, v3
	v_mov_b32_e32 v32, 0
	s_and_saveexec_b64 s[60:61], vcc
	s_cbranch_execz .LBB2_560
; %bb.555:                              ;   in Loop: Header=BB2_124 Depth=2
	v_bfe_u32 v3, v3, 23, 8
	v_sub_u32_e32 v11, 0x79, v3
	v_cmp_gt_u32_e32 vcc, s76, v3
	v_cndmask_b32_e32 v11, 0, v11, vcc
	v_cmp_eq_u32_e32 vcc, 0, v3
	v_add_u32_e32 v10, 0xffffff81, v3
	v_or_b32_e32 v14, 0x800000, v38
	v_mov_b32_e32 v3, 0xffffff82
	v_cndmask_b32_e32 v15, v11, v18, vcc
	v_cndmask_b32_e32 v3, v10, v3, vcc
	;; [unrolled: 1-line block ×3, first 2 shown]
	v_add_u32_e32 v10, 20, v15
	v_lshlrev_b64 v[10:11], v10, -1
	v_add_u32_e32 v14, 19, v15
	v_lshrrev_b64 v[24:25], v15, v[38:39]
	v_not_b32_e32 v11, v11
	v_not_b32_e32 v10, v10
	v_lshlrev_b64 v[16:17], v14, 1
	v_lshrrev_b32_e32 v14, 23, v24
	v_and_b32_e32 v11, 0, v11
	v_and_b32_e32 v10, v38, v10
	v_add3_u32 v15, v15, v3, v14
	v_bfe_u32 v3, v24, 20, 1
	v_add_u32_e32 v3, -1, v3
	v_cmp_eq_u64_e32 vcc, v[10:11], v[16:17]
	v_cndmask_b32_e32 v3, 0, v3, vcc
	v_add_u32_e32 v3, v3, v24
	v_and_b32_e32 v3, 0xfffff, v3
	v_add_co_u32_e32 v10, vcc, v3, v24
	v_add_u32_e32 v14, 6, v15
	v_addc_co_u32_e32 v11, vcc, 0, v25, vcc
	v_cmp_ne_u32_e32 vcc, 0, v14
                                        ; implicit-def: $vgpr3
	s_and_saveexec_b64 s[22:23], vcc
	s_xor_b64 s[22:23], exec, s[22:23]
; %bb.556:                              ;   in Loop: Header=BB2_124 Depth=2
	v_add_u32_e32 v3, 7, v15
	v_cmp_lt_u64_e32 vcc, s[48:49], v[10:11]
	v_cndmask_b32_e32 v3, v14, v3, vcc
	v_cndmask_b32_e64 v14, 0, 1, vcc
	v_lshrrev_b64 v[10:11], v14, v[10:11]
; %bb.557:                              ;   in Loop: Header=BB2_124 Depth=2
	s_andn2_saveexec_b64 s[22:23], s[22:23]
; %bb.558:                              ;   in Loop: Header=BB2_124 Depth=2
	v_bfe_u32 v3, v10, 23, 1
; %bb.559:                              ;   in Loop: Header=BB2_124 Depth=2
	s_or_b64 exec, exec, s[22:23]
	v_lshrrev_b64 v[10:11], 20, v[10:11]
	v_cmp_gt_i32_e32 vcc, 16, v3
	v_cndmask_b32_e32 v11, 0, v11, vcc
	v_cndmask_b32_e32 v10, 7, v10, vcc
	v_cmp_eq_u32_e32 vcc, 0, v3
	v_min_i32_e32 v3, 15, v3
	v_lshlrev_b32_e32 v3, 3, v3
	v_cmp_eq_u64_e64 s[22:23], 0, v[10:11]
	v_and_b32_e32 v3, 0xf8, v3
	v_and_or_b32 v3, v10, 7, v3
	s_and_b64 s[22:23], vcc, s[22:23]
	v_cndmask_b32_e64 v3, v3, 0, s[22:23]
	v_or_b32_e32 v32, v3, v0
.LBB2_560:                              ;   in Loop: Header=BB2_124 Depth=2
	s_or_b64 exec, exec, s[60:61]
.LBB2_561:                              ;   in Loop: Header=BB2_124 Depth=2
	s_or_b64 exec, exec, s[58:59]
                                        ; implicit-def: $vgpr3
.LBB2_562:                              ;   in Loop: Header=BB2_124 Depth=2
	s_andn2_saveexec_b64 s[22:23], s[56:57]
; %bb.563:                              ;   in Loop: Header=BB2_124 Depth=2
	v_or_b32_sdwa v0, v3, s74 dst_sel:DWORD dst_unused:UNUSED_PAD src0_sel:BYTE_3 src1_sel:DWORD
	v_cmp_eq_u64_e32 vcc, 0, v[38:39]
	v_cndmask_b32_e32 v32, v0, v32, vcc
; %bb.564:                              ;   in Loop: Header=BB2_124 Depth=2
	s_or_b64 exec, exec, s[22:23]
	v_cmp_ne_u16_sdwa vcc, v12, v39 src0_sel:BYTE_0 src1_sel:DWORD
	v_mov_b32_e32 v0, 0
	s_and_saveexec_b64 s[22:23], vcc
	s_cbranch_execz .LBB2_570
; %bb.565:                              ;   in Loop: Header=BB2_124 Depth=2
	v_cmp_ne_u16_sdwa vcc, v12, s75 src0_sel:BYTE_0 src1_sel:DWORD
	v_bfrev_b32_e32 v0, 1
	s_and_saveexec_b64 s[56:57], vcc
	s_cbranch_execz .LBB2_569
; %bb.566:                              ;   in Loop: Header=BB2_124 Depth=2
	v_and_b32_e32 v3, 0x7f, v12
	v_cmp_ne_u32_e32 vcc, s74, v3
	v_mov_b32_e32 v0, 0x7f800001
	s_and_saveexec_b64 s[58:59], vcc
	s_cbranch_execz .LBB2_568
; %bb.567:                              ;   in Loop: Header=BB2_124 Depth=2
	v_and_b32_e32 v0, 7, v12
	v_ffbh_u32_e32 v0, v0
	v_min_u32_e32 v0, 32, v0
	v_subrev_u32_e32 v11, 28, v0
	v_cmp_gt_u32_e32 vcc, 8, v3
	v_lshrrev_b32_e32 v10, 3, v3
	v_sub_u32_e32 v0, 29, v0
	v_cndmask_b32_e32 v3, 0, v11, vcc
	v_cndmask_b32_e32 v0, v10, v0, vcc
	v_lshlrev_b64 v[10:11], v3, v[12:13]
	v_lshlrev_b32_e32 v3, 20, v10
	v_lshlrev_b32_e32 v10, 24, v12
	v_and_b32_e32 v3, 0x700000, v3
	v_and_b32_e32 v10, 0x80000000, v10
	v_lshl_add_u32 v0, v0, 23, v20
	v_or3_b32 v0, v10, v0, v3
.LBB2_568:                              ;   in Loop: Header=BB2_124 Depth=2
	s_or_b64 exec, exec, s[58:59]
.LBB2_569:                              ;   in Loop: Header=BB2_124 Depth=2
	s_or_b64 exec, exec, s[56:57]
.LBB2_570:                              ;   in Loop: Header=BB2_124 Depth=2
	s_or_b64 exec, exec, s[22:23]
	v_mul_f32_e32 v3, v7, v0
	v_and_b32_sdwa v0, v3, s75 dst_sel:DWORD dst_unused:UNUSED_PAD src0_sel:BYTE_3 src1_sel:DWORD
	v_and_b32_e32 v10, 0x7f800000, v3
	v_mov_b32_e32 v11, v39
	v_and_b32_e32 v38, 0x7fffff, v3
	v_or_b32_e32 v43, 0x7e, v0
	v_cmp_ne_u64_e32 vcc, s[42:43], v[10:11]
	s_and_saveexec_b64 s[22:23], vcc
	s_xor_b64 s[56:57], exec, s[22:23]
	s_cbranch_execz .LBB2_580
; %bb.571:                              ;   in Loop: Header=BB2_124 Depth=2
	v_and_b32_e32 v10, 0x7fffffff, v3
	v_mov_b32_e32 v11, v39
	v_cmp_gt_u64_e32 vcc, s[44:45], v[10:11]
	s_and_saveexec_b64 s[58:59], vcc
	s_cbranch_execz .LBB2_579
; %bb.572:                              ;   in Loop: Header=BB2_124 Depth=2
	v_cmp_ne_u32_e32 vcc, 0, v3
	v_mov_b32_e32 v43, 0
	s_and_saveexec_b64 s[60:61], vcc
	s_cbranch_execz .LBB2_578
; %bb.573:                              ;   in Loop: Header=BB2_124 Depth=2
	v_bfe_u32 v3, v3, 23, 8
	v_sub_u32_e32 v11, 0x79, v3
	v_cmp_gt_u32_e32 vcc, s76, v3
	v_cndmask_b32_e32 v11, 0, v11, vcc
	v_cmp_eq_u32_e32 vcc, 0, v3
	v_add_u32_e32 v10, 0xffffff81, v3
	v_or_b32_e32 v14, 0x800000, v38
	v_mov_b32_e32 v3, 0xffffff82
	v_cndmask_b32_e32 v15, v11, v18, vcc
	v_cndmask_b32_e32 v3, v10, v3, vcc
	;; [unrolled: 1-line block ×3, first 2 shown]
	v_add_u32_e32 v10, 20, v15
	v_lshlrev_b64 v[10:11], v10, -1
	v_add_u32_e32 v14, 19, v15
	v_lshrrev_b64 v[24:25], v15, v[38:39]
	v_not_b32_e32 v11, v11
	v_not_b32_e32 v10, v10
	v_lshlrev_b64 v[16:17], v14, 1
	v_lshrrev_b32_e32 v14, 23, v24
	v_and_b32_e32 v11, 0, v11
	v_and_b32_e32 v10, v38, v10
	v_add3_u32 v15, v15, v3, v14
	v_bfe_u32 v3, v24, 20, 1
	v_add_u32_e32 v3, -1, v3
	v_cmp_eq_u64_e32 vcc, v[10:11], v[16:17]
	v_cndmask_b32_e32 v3, 0, v3, vcc
	v_add_u32_e32 v3, v3, v24
	v_and_b32_e32 v3, 0xfffff, v3
	v_add_co_u32_e32 v10, vcc, v3, v24
	v_add_u32_e32 v14, 6, v15
	v_addc_co_u32_e32 v11, vcc, 0, v25, vcc
	v_cmp_ne_u32_e32 vcc, 0, v14
                                        ; implicit-def: $vgpr3
	s_and_saveexec_b64 s[22:23], vcc
	s_xor_b64 s[22:23], exec, s[22:23]
; %bb.574:                              ;   in Loop: Header=BB2_124 Depth=2
	v_add_u32_e32 v3, 7, v15
	v_cmp_lt_u64_e32 vcc, s[48:49], v[10:11]
	v_cndmask_b32_e32 v3, v14, v3, vcc
	v_cndmask_b32_e64 v14, 0, 1, vcc
	v_lshrrev_b64 v[10:11], v14, v[10:11]
; %bb.575:                              ;   in Loop: Header=BB2_124 Depth=2
	s_andn2_saveexec_b64 s[22:23], s[22:23]
; %bb.576:                              ;   in Loop: Header=BB2_124 Depth=2
	v_bfe_u32 v3, v10, 23, 1
; %bb.577:                              ;   in Loop: Header=BB2_124 Depth=2
	s_or_b64 exec, exec, s[22:23]
	v_lshrrev_b64 v[10:11], 20, v[10:11]
	v_cmp_gt_i32_e32 vcc, 16, v3
	v_cndmask_b32_e32 v11, 0, v11, vcc
	v_cndmask_b32_e32 v10, 7, v10, vcc
	v_cmp_eq_u32_e32 vcc, 0, v3
	v_min_i32_e32 v3, 15, v3
	v_cmp_eq_u64_e64 s[22:23], 0, v[10:11]
	v_lshlrev_b32_e32 v3, 3, v3
	v_and_or_b32 v3, v10, 7, v3
	s_and_b64 s[22:23], vcc, s[22:23]
	v_cndmask_b32_e64 v3, v3, 0, s[22:23]
	v_or_b32_e32 v43, v3, v0
.LBB2_578:                              ;   in Loop: Header=BB2_124 Depth=2
	s_or_b64 exec, exec, s[60:61]
.LBB2_579:                              ;   in Loop: Header=BB2_124 Depth=2
	s_or_b64 exec, exec, s[58:59]
                                        ; implicit-def: $vgpr3
.LBB2_580:                              ;   in Loop: Header=BB2_124 Depth=2
	s_andn2_saveexec_b64 s[22:23], s[56:57]
; %bb.581:                              ;   in Loop: Header=BB2_124 Depth=2
	v_or_b32_sdwa v0, v3, s74 dst_sel:DWORD dst_unused:UNUSED_PAD src0_sel:BYTE_3 src1_sel:DWORD
	v_cmp_eq_u64_e32 vcc, 0, v[38:39]
	v_cndmask_b32_e32 v43, v0, v43, vcc
; %bb.582:                              ;   in Loop: Header=BB2_124 Depth=2
	s_or_b64 exec, exec, s[22:23]
	v_lshrrev_b16_e32 v10, 8, v12
	v_cmp_ne_u16_e32 vcc, 0, v10
	v_mov_b32_e32 v0, 0
	s_and_saveexec_b64 s[22:23], vcc
	s_cbranch_execz .LBB2_588
; %bb.583:                              ;   in Loop: Header=BB2_124 Depth=2
	v_cmp_ne_u16_e32 vcc, s75, v10
	v_bfrev_b32_e32 v0, 1
	s_and_saveexec_b64 s[56:57], vcc
	s_cbranch_execz .LBB2_587
; %bb.584:                              ;   in Loop: Header=BB2_124 Depth=2
	v_and_b32_e32 v3, 0x7f, v10
	v_cmp_ne_u32_e32 vcc, s74, v3
	v_mov_b32_e32 v0, 0x7f800001
	s_and_saveexec_b64 s[58:59], vcc
	s_cbranch_execz .LBB2_586
; %bb.585:                              ;   in Loop: Header=BB2_124 Depth=2
	v_and_b32_e32 v0, 7, v10
	v_ffbh_u32_e32 v11, v0
	v_min_u32_e32 v15, 32, v11
	v_subrev_u32_e32 v11, 28, v15
	v_lshlrev_b64 v[10:11], v11, v[10:11]
	v_lshrrev_b32_e32 v14, 3, v3
	v_sub_u32_e32 v11, 29, v15
	v_and_b32_e32 v10, 7, v10
	v_cmp_gt_u32_e32 vcc, 8, v3
	v_cndmask_b32_e32 v3, v14, v11, vcc
	v_cndmask_b32_e32 v0, v0, v10, vcc
	v_lshlrev_b32_e32 v10, 16, v12
	v_lshlrev_b32_e32 v0, 20, v0
	v_and_b32_e32 v10, 0x80000000, v10
	v_lshl_add_u32 v3, v3, 23, v20
	v_or3_b32 v0, v10, v3, v0
.LBB2_586:                              ;   in Loop: Header=BB2_124 Depth=2
	s_or_b64 exec, exec, s[58:59]
.LBB2_587:                              ;   in Loop: Header=BB2_124 Depth=2
	s_or_b64 exec, exec, s[56:57]
.LBB2_588:                              ;   in Loop: Header=BB2_124 Depth=2
	s_or_b64 exec, exec, s[22:23]
	v_mul_f32_e32 v3, v7, v0
	v_and_b32_sdwa v0, v3, s75 dst_sel:DWORD dst_unused:UNUSED_PAD src0_sel:BYTE_3 src1_sel:DWORD
	v_and_b32_e32 v10, 0x7f800000, v3
	v_mov_b32_e32 v11, v39
	v_and_b32_e32 v38, 0x7fffff, v3
	v_or_b32_e32 v50, 0x7e, v0
	v_cmp_ne_u64_e32 vcc, s[42:43], v[10:11]
	s_and_saveexec_b64 s[22:23], vcc
	s_xor_b64 s[56:57], exec, s[22:23]
	s_cbranch_execz .LBB2_598
; %bb.589:                              ;   in Loop: Header=BB2_124 Depth=2
	v_and_b32_e32 v10, 0x7fffffff, v3
	v_mov_b32_e32 v11, v39
	v_cmp_gt_u64_e32 vcc, s[44:45], v[10:11]
	s_and_saveexec_b64 s[58:59], vcc
	s_cbranch_execz .LBB2_597
; %bb.590:                              ;   in Loop: Header=BB2_124 Depth=2
	v_cmp_ne_u32_e32 vcc, 0, v3
	v_mov_b32_e32 v50, 0
	s_and_saveexec_b64 s[60:61], vcc
	s_cbranch_execz .LBB2_596
; %bb.591:                              ;   in Loop: Header=BB2_124 Depth=2
	v_bfe_u32 v3, v3, 23, 8
	v_sub_u32_e32 v11, 0x79, v3
	v_cmp_gt_u32_e32 vcc, s76, v3
	v_cndmask_b32_e32 v11, 0, v11, vcc
	v_cmp_eq_u32_e32 vcc, 0, v3
	v_add_u32_e32 v10, 0xffffff81, v3
	v_or_b32_e32 v14, 0x800000, v38
	v_mov_b32_e32 v3, 0xffffff82
	v_cndmask_b32_e32 v15, v11, v18, vcc
	v_cndmask_b32_e32 v3, v10, v3, vcc
	;; [unrolled: 1-line block ×3, first 2 shown]
	v_add_u32_e32 v10, 20, v15
	v_lshlrev_b64 v[10:11], v10, -1
	v_add_u32_e32 v14, 19, v15
	v_lshrrev_b64 v[24:25], v15, v[38:39]
	v_not_b32_e32 v11, v11
	v_not_b32_e32 v10, v10
	v_lshlrev_b64 v[16:17], v14, 1
	v_lshrrev_b32_e32 v14, 23, v24
	v_and_b32_e32 v11, 0, v11
	v_and_b32_e32 v10, v38, v10
	v_add3_u32 v15, v15, v3, v14
	v_bfe_u32 v3, v24, 20, 1
	v_add_u32_e32 v3, -1, v3
	v_cmp_eq_u64_e32 vcc, v[10:11], v[16:17]
	v_cndmask_b32_e32 v3, 0, v3, vcc
	v_add_u32_e32 v3, v3, v24
	v_and_b32_e32 v3, 0xfffff, v3
	v_add_co_u32_e32 v10, vcc, v3, v24
	v_add_u32_e32 v14, 6, v15
	v_addc_co_u32_e32 v11, vcc, 0, v25, vcc
	v_cmp_ne_u32_e32 vcc, 0, v14
                                        ; implicit-def: $vgpr3
	s_and_saveexec_b64 s[22:23], vcc
	s_xor_b64 s[22:23], exec, s[22:23]
; %bb.592:                              ;   in Loop: Header=BB2_124 Depth=2
	v_add_u32_e32 v3, 7, v15
	v_cmp_lt_u64_e32 vcc, s[48:49], v[10:11]
	v_cndmask_b32_e32 v3, v14, v3, vcc
	v_cndmask_b32_e64 v14, 0, 1, vcc
	v_lshrrev_b64 v[10:11], v14, v[10:11]
; %bb.593:                              ;   in Loop: Header=BB2_124 Depth=2
	s_andn2_saveexec_b64 s[22:23], s[22:23]
; %bb.594:                              ;   in Loop: Header=BB2_124 Depth=2
	v_bfe_u32 v3, v10, 23, 1
; %bb.595:                              ;   in Loop: Header=BB2_124 Depth=2
	s_or_b64 exec, exec, s[22:23]
	v_lshrrev_b64 v[10:11], 20, v[10:11]
	v_cmp_gt_i32_e32 vcc, 16, v3
	v_cndmask_b32_e32 v11, 0, v11, vcc
	v_cndmask_b32_e32 v10, 7, v10, vcc
	v_cmp_eq_u32_e32 vcc, 0, v3
	v_min_i32_e32 v3, 15, v3
	v_cmp_eq_u64_e64 s[22:23], 0, v[10:11]
	v_lshlrev_b32_e32 v3, 3, v3
	v_and_or_b32 v3, v10, 7, v3
	s_and_b64 s[22:23], vcc, s[22:23]
	v_cndmask_b32_e64 v3, v3, 0, s[22:23]
	v_or_b32_e32 v50, v3, v0
.LBB2_596:                              ;   in Loop: Header=BB2_124 Depth=2
	s_or_b64 exec, exec, s[60:61]
.LBB2_597:                              ;   in Loop: Header=BB2_124 Depth=2
	s_or_b64 exec, exec, s[58:59]
                                        ; implicit-def: $vgpr3
.LBB2_598:                              ;   in Loop: Header=BB2_124 Depth=2
	s_andn2_saveexec_b64 s[22:23], s[56:57]
; %bb.599:                              ;   in Loop: Header=BB2_124 Depth=2
	v_or_b32_sdwa v0, v3, s74 dst_sel:DWORD dst_unused:UNUSED_PAD src0_sel:BYTE_3 src1_sel:DWORD
	v_cmp_eq_u64_e32 vcc, 0, v[38:39]
	v_cndmask_b32_e32 v50, v0, v50, vcc
; %bb.600:                              ;   in Loop: Header=BB2_124 Depth=2
	s_or_b64 exec, exec, s[22:23]
	v_lshrrev_b32_e32 v10, 16, v12
	v_cmp_ne_u16_sdwa vcc, v10, v39 src0_sel:BYTE_0 src1_sel:DWORD
	v_mov_b32_e32 v0, 0
	s_and_saveexec_b64 s[22:23], vcc
	s_cbranch_execz .LBB2_606
; %bb.601:                              ;   in Loop: Header=BB2_124 Depth=2
	v_cmp_ne_u16_sdwa vcc, v10, s75 src0_sel:BYTE_0 src1_sel:DWORD
	v_bfrev_b32_e32 v0, 1
	s_and_saveexec_b64 s[56:57], vcc
	s_cbranch_execz .LBB2_605
; %bb.602:                              ;   in Loop: Header=BB2_124 Depth=2
	v_bfe_u32 v3, v12, 16, 7
	v_cmp_ne_u32_e32 vcc, s74, v3
	v_mov_b32_e32 v0, 0x7f800001
	s_and_saveexec_b64 s[58:59], vcc
	s_cbranch_execz .LBB2_604
; %bb.603:                              ;   in Loop: Header=BB2_124 Depth=2
	v_and_b32_e32 v0, 7, v10
	v_ffbh_u32_e32 v14, v0
	v_min_u32_e32 v16, 32, v14
	v_lshrrev_b32_e32 v11, 3, v3
	v_subrev_u32_e32 v14, 28, v16
	v_lshlrev_b64 v[14:15], v14, v[10:11]
	v_sub_u32_e32 v15, 29, v16
	v_and_b32_e32 v14, 7, v14
	v_cmp_gt_u32_e32 vcc, 8, v3
	v_cndmask_b32_e32 v3, v11, v15, vcc
	v_cndmask_b32_e32 v0, v0, v14, vcc
	v_lshlrev_b32_e32 v10, 24, v10
	v_lshlrev_b32_e32 v0, 20, v0
	v_and_b32_e32 v10, 0x80000000, v10
	v_lshl_add_u32 v3, v3, 23, v20
	v_or3_b32 v0, v10, v3, v0
.LBB2_604:                              ;   in Loop: Header=BB2_124 Depth=2
	s_or_b64 exec, exec, s[58:59]
.LBB2_605:                              ;   in Loop: Header=BB2_124 Depth=2
	s_or_b64 exec, exec, s[56:57]
.LBB2_606:                              ;   in Loop: Header=BB2_124 Depth=2
	s_or_b64 exec, exec, s[22:23]
	v_mul_f32_e32 v3, v7, v0
	v_and_b32_sdwa v0, v3, s75 dst_sel:DWORD dst_unused:UNUSED_PAD src0_sel:BYTE_3 src1_sel:DWORD
	v_and_b32_e32 v10, 0x7f800000, v3
	v_mov_b32_e32 v11, v39
	v_and_b32_e32 v38, 0x7fffff, v3
	v_or_b32_e32 v58, 0x7e, v0
	v_cmp_ne_u64_e32 vcc, s[42:43], v[10:11]
	s_and_saveexec_b64 s[22:23], vcc
	s_xor_b64 s[56:57], exec, s[22:23]
	s_cbranch_execz .LBB2_616
; %bb.607:                              ;   in Loop: Header=BB2_124 Depth=2
	v_and_b32_e32 v10, 0x7fffffff, v3
	v_mov_b32_e32 v11, v39
	v_cmp_gt_u64_e32 vcc, s[44:45], v[10:11]
	s_and_saveexec_b64 s[58:59], vcc
	s_cbranch_execz .LBB2_615
; %bb.608:                              ;   in Loop: Header=BB2_124 Depth=2
	v_cmp_ne_u32_e32 vcc, 0, v3
	v_mov_b32_e32 v58, 0
	s_and_saveexec_b64 s[60:61], vcc
	s_cbranch_execz .LBB2_614
; %bb.609:                              ;   in Loop: Header=BB2_124 Depth=2
	v_bfe_u32 v3, v3, 23, 8
	v_sub_u32_e32 v11, 0x79, v3
	v_cmp_gt_u32_e32 vcc, s76, v3
	v_cndmask_b32_e32 v11, 0, v11, vcc
	v_cmp_eq_u32_e32 vcc, 0, v3
	v_add_u32_e32 v10, 0xffffff81, v3
	v_or_b32_e32 v14, 0x800000, v38
	v_mov_b32_e32 v3, 0xffffff82
	v_cndmask_b32_e32 v15, v11, v18, vcc
	v_cndmask_b32_e32 v3, v10, v3, vcc
	;; [unrolled: 1-line block ×3, first 2 shown]
	v_add_u32_e32 v10, 20, v15
	v_lshlrev_b64 v[10:11], v10, -1
	v_add_u32_e32 v14, 19, v15
	v_lshrrev_b64 v[24:25], v15, v[38:39]
	v_not_b32_e32 v11, v11
	v_not_b32_e32 v10, v10
	v_lshlrev_b64 v[16:17], v14, 1
	v_lshrrev_b32_e32 v14, 23, v24
	v_and_b32_e32 v11, 0, v11
	v_and_b32_e32 v10, v38, v10
	v_add3_u32 v15, v15, v3, v14
	v_bfe_u32 v3, v24, 20, 1
	v_add_u32_e32 v3, -1, v3
	v_cmp_eq_u64_e32 vcc, v[10:11], v[16:17]
	v_cndmask_b32_e32 v3, 0, v3, vcc
	v_add_u32_e32 v3, v3, v24
	v_and_b32_e32 v3, 0xfffff, v3
	v_add_co_u32_e32 v10, vcc, v3, v24
	v_add_u32_e32 v14, 6, v15
	v_addc_co_u32_e32 v11, vcc, 0, v25, vcc
	v_cmp_ne_u32_e32 vcc, 0, v14
                                        ; implicit-def: $vgpr3
	s_and_saveexec_b64 s[22:23], vcc
	s_xor_b64 s[22:23], exec, s[22:23]
; %bb.610:                              ;   in Loop: Header=BB2_124 Depth=2
	v_add_u32_e32 v3, 7, v15
	v_cmp_lt_u64_e32 vcc, s[48:49], v[10:11]
	v_cndmask_b32_e32 v3, v14, v3, vcc
	v_cndmask_b32_e64 v14, 0, 1, vcc
	v_lshrrev_b64 v[10:11], v14, v[10:11]
; %bb.611:                              ;   in Loop: Header=BB2_124 Depth=2
	s_andn2_saveexec_b64 s[22:23], s[22:23]
; %bb.612:                              ;   in Loop: Header=BB2_124 Depth=2
	v_bfe_u32 v3, v10, 23, 1
; %bb.613:                              ;   in Loop: Header=BB2_124 Depth=2
	s_or_b64 exec, exec, s[22:23]
	v_lshrrev_b64 v[10:11], 20, v[10:11]
	v_cmp_gt_i32_e32 vcc, 16, v3
	v_cndmask_b32_e32 v11, 0, v11, vcc
	v_cndmask_b32_e32 v10, 7, v10, vcc
	v_cmp_eq_u32_e32 vcc, 0, v3
	v_min_i32_e32 v3, 15, v3
	v_cmp_eq_u64_e64 s[22:23], 0, v[10:11]
	v_lshlrev_b32_e32 v3, 3, v3
	v_and_or_b32 v3, v10, 7, v3
	s_and_b64 s[22:23], vcc, s[22:23]
	v_cndmask_b32_e64 v3, v3, 0, s[22:23]
	v_or_b32_e32 v58, v3, v0
.LBB2_614:                              ;   in Loop: Header=BB2_124 Depth=2
	s_or_b64 exec, exec, s[60:61]
.LBB2_615:                              ;   in Loop: Header=BB2_124 Depth=2
	s_or_b64 exec, exec, s[58:59]
                                        ; implicit-def: $vgpr3
.LBB2_616:                              ;   in Loop: Header=BB2_124 Depth=2
	s_andn2_saveexec_b64 s[22:23], s[56:57]
; %bb.617:                              ;   in Loop: Header=BB2_124 Depth=2
	v_or_b32_sdwa v0, v3, s74 dst_sel:DWORD dst_unused:UNUSED_PAD src0_sel:BYTE_3 src1_sel:DWORD
	v_cmp_eq_u64_e32 vcc, 0, v[38:39]
	v_cndmask_b32_e32 v58, v0, v58, vcc
; %bb.618:                              ;   in Loop: Header=BB2_124 Depth=2
	s_or_b64 exec, exec, s[22:23]
	v_cmp_lt_u32_e32 vcc, s47, v12
	v_mov_b32_e32 v0, 0
	s_and_saveexec_b64 s[22:23], vcc
	s_cbranch_execz .LBB2_624
; %bb.619:                              ;   in Loop: Header=BB2_124 Depth=2
	v_lshrrev_b32_e32 v10, 24, v12
	v_cmp_ne_u32_e32 vcc, s75, v10
	v_bfrev_b32_e32 v0, 1
	s_and_saveexec_b64 s[56:57], vcc
	s_cbranch_execz .LBB2_623
; %bb.620:                              ;   in Loop: Header=BB2_124 Depth=2
	v_bfe_u32 v3, v12, 24, 7
	v_cmp_ne_u32_e32 vcc, s74, v3
	v_mov_b32_e32 v0, 0x7f800001
	s_and_saveexec_b64 s[58:59], vcc
	s_cbranch_execz .LBB2_622
; %bb.621:                              ;   in Loop: Header=BB2_124 Depth=2
	v_and_b32_e32 v0, 7, v10
	v_ffbh_u32_e32 v14, v0
	v_min_u32_e32 v16, 32, v14
	v_lshrrev_b32_e32 v11, 3, v3
	v_subrev_u32_e32 v14, 28, v16
	v_lshlrev_b64 v[14:15], v14, v[10:11]
	v_sub_u32_e32 v15, 29, v16
	v_and_b32_e32 v14, 7, v14
	v_cmp_gt_u32_e32 vcc, 8, v3
	v_cndmask_b32_e32 v3, v11, v15, vcc
	v_cndmask_b32_e32 v0, v0, v14, vcc
	v_lshlrev_b32_e32 v10, 24, v10
	v_lshlrev_b32_e32 v0, 20, v0
	v_and_b32_e32 v10, 0x80000000, v10
	v_lshl_add_u32 v3, v3, 23, v20
	v_or3_b32 v0, v10, v3, v0
.LBB2_622:                              ;   in Loop: Header=BB2_124 Depth=2
	s_or_b64 exec, exec, s[58:59]
.LBB2_623:                              ;   in Loop: Header=BB2_124 Depth=2
	s_or_b64 exec, exec, s[56:57]
.LBB2_624:                              ;   in Loop: Header=BB2_124 Depth=2
	s_or_b64 exec, exec, s[22:23]
	v_mul_f32_e32 v10, v7, v0
	v_and_b32_sdwa v3, v10, s75 dst_sel:DWORD dst_unused:UNUSED_PAD src0_sel:BYTE_3 src1_sel:DWORD
	v_and_b32_e32 v14, 0x7f800000, v10
	v_mov_b32_e32 v15, v39
	v_and_b32_e32 v38, 0x7fffff, v10
	v_or_b32_e32 v0, 0x7e, v3
	v_cmp_ne_u64_e32 vcc, s[42:43], v[14:15]
	s_and_saveexec_b64 s[22:23], vcc
	s_xor_b64 s[56:57], exec, s[22:23]
	s_cbranch_execz .LBB2_634
; %bb.625:                              ;   in Loop: Header=BB2_124 Depth=2
	v_and_b32_e32 v14, 0x7fffffff, v10
	v_mov_b32_e32 v15, v39
	v_cmp_gt_u64_e32 vcc, s[44:45], v[14:15]
	s_and_saveexec_b64 s[58:59], vcc
	s_cbranch_execz .LBB2_633
; %bb.626:                              ;   in Loop: Header=BB2_124 Depth=2
	v_cmp_ne_u32_e32 vcc, 0, v10
	v_mov_b32_e32 v0, 0
	s_and_saveexec_b64 s[60:61], vcc
	s_cbranch_execz .LBB2_632
; %bb.627:                              ;   in Loop: Header=BB2_124 Depth=2
	v_bfe_u32 v0, v10, 23, 8
	v_sub_u32_e32 v11, 0x79, v0
	v_cmp_gt_u32_e32 vcc, s76, v0
	v_cndmask_b32_e32 v11, 0, v11, vcc
	v_cmp_eq_u32_e32 vcc, 0, v0
	v_add_u32_e32 v10, 0xffffff81, v0
	v_or_b32_e32 v14, 0x800000, v38
	v_mov_b32_e32 v0, 0xffffff82
	v_cndmask_b32_e32 v15, v11, v18, vcc
	v_cndmask_b32_e32 v0, v10, v0, vcc
	;; [unrolled: 1-line block ×3, first 2 shown]
	v_add_u32_e32 v10, 20, v15
	v_lshlrev_b64 v[10:11], v10, -1
	v_add_u32_e32 v14, 19, v15
	v_lshrrev_b64 v[24:25], v15, v[38:39]
	v_not_b32_e32 v11, v11
	v_not_b32_e32 v10, v10
	v_lshlrev_b64 v[16:17], v14, 1
	v_lshrrev_b32_e32 v14, 23, v24
	v_and_b32_e32 v11, 0, v11
	v_and_b32_e32 v10, v38, v10
	v_add3_u32 v15, v15, v0, v14
	v_bfe_u32 v0, v24, 20, 1
	v_add_u32_e32 v0, -1, v0
	v_cmp_eq_u64_e32 vcc, v[10:11], v[16:17]
	v_cndmask_b32_e32 v0, 0, v0, vcc
	v_add_u32_e32 v0, v0, v24
	v_and_b32_e32 v0, 0xfffff, v0
	v_add_co_u32_e32 v10, vcc, v0, v24
	v_add_u32_e32 v14, 6, v15
	v_addc_co_u32_e32 v11, vcc, 0, v25, vcc
	v_cmp_ne_u32_e32 vcc, 0, v14
                                        ; implicit-def: $vgpr0
	s_and_saveexec_b64 s[22:23], vcc
	s_xor_b64 s[22:23], exec, s[22:23]
; %bb.628:                              ;   in Loop: Header=BB2_124 Depth=2
	v_add_u32_e32 v0, 7, v15
	v_cmp_lt_u64_e32 vcc, s[48:49], v[10:11]
	v_cndmask_b32_e32 v0, v14, v0, vcc
	v_cndmask_b32_e64 v14, 0, 1, vcc
	v_lshrrev_b64 v[10:11], v14, v[10:11]
; %bb.629:                              ;   in Loop: Header=BB2_124 Depth=2
	s_andn2_saveexec_b64 s[22:23], s[22:23]
; %bb.630:                              ;   in Loop: Header=BB2_124 Depth=2
	v_bfe_u32 v0, v10, 23, 1
; %bb.631:                              ;   in Loop: Header=BB2_124 Depth=2
	s_or_b64 exec, exec, s[22:23]
	v_lshrrev_b64 v[10:11], 20, v[10:11]
	v_cmp_gt_i32_e32 vcc, 16, v0
	v_cndmask_b32_e32 v11, 0, v11, vcc
	v_cndmask_b32_e32 v10, 7, v10, vcc
	v_cmp_eq_u32_e32 vcc, 0, v0
	v_min_i32_e32 v0, 15, v0
	v_cmp_eq_u64_e64 s[22:23], 0, v[10:11]
	v_lshlrev_b32_e32 v0, 3, v0
	v_and_or_b32 v0, v10, 7, v0
	s_and_b64 s[22:23], vcc, s[22:23]
	v_cndmask_b32_e64 v0, v0, 0, s[22:23]
	v_or_b32_e32 v0, v0, v3
.LBB2_632:                              ;   in Loop: Header=BB2_124 Depth=2
	s_or_b64 exec, exec, s[60:61]
.LBB2_633:                              ;   in Loop: Header=BB2_124 Depth=2
	s_or_b64 exec, exec, s[58:59]
                                        ; implicit-def: $vgpr10
.LBB2_634:                              ;   in Loop: Header=BB2_124 Depth=2
	s_andn2_saveexec_b64 s[22:23], s[56:57]
; %bb.635:                              ;   in Loop: Header=BB2_124 Depth=2
	v_or_b32_sdwa v3, v10, s74 dst_sel:DWORD dst_unused:UNUSED_PAD src0_sel:BYTE_3 src1_sel:DWORD
	v_cmp_eq_u64_e32 vcc, 0, v[38:39]
	v_cndmask_b32_e32 v0, v3, v0, vcc
; %bb.636:                              ;   in Loop: Header=BB2_124 Depth=2
	s_or_b64 exec, exec, s[22:23]
	v_mov_b32_e32 v38, v13
	v_cmp_ne_u16_sdwa vcc, v13, v39 src0_sel:BYTE_0 src1_sel:DWORD
	v_mov_b32_e32 v3, 0
	s_and_saveexec_b64 s[22:23], vcc
	s_cbranch_execz .LBB2_642
; %bb.637:                              ;   in Loop: Header=BB2_124 Depth=2
	v_cmp_ne_u16_sdwa vcc, v13, s75 src0_sel:BYTE_0 src1_sel:DWORD
	v_bfrev_b32_e32 v3, 1
	s_and_saveexec_b64 s[56:57], vcc
	s_cbranch_execz .LBB2_641
; %bb.638:                              ;   in Loop: Header=BB2_124 Depth=2
	v_and_b32_e32 v10, 0x7f, v13
	v_cmp_ne_u32_e32 vcc, s74, v10
	v_mov_b32_e32 v3, 0x7f800001
	s_and_saveexec_b64 s[58:59], vcc
	s_cbranch_execz .LBB2_640
; %bb.639:                              ;   in Loop: Header=BB2_124 Depth=2
	v_and_b32_e32 v3, 7, v13
	v_ffbh_u32_e32 v3, v3
	v_min_u32_e32 v3, 32, v3
	v_subrev_u32_e32 v14, 28, v3
	v_cmp_gt_u32_e32 vcc, 8, v10
	v_lshrrev_b32_e32 v11, 3, v10
	v_sub_u32_e32 v3, 29, v3
	v_cndmask_b32_e32 v10, 0, v14, vcc
	v_cndmask_b32_e32 v3, v11, v3, vcc
	v_lshlrev_b64 v[10:11], v10, v[38:39]
	v_lshlrev_b32_e32 v10, 20, v10
	v_lshlrev_b32_e32 v11, 24, v38
	v_and_b32_e32 v10, 0x700000, v10
	v_and_b32_e32 v11, 0x80000000, v11
	v_lshl_add_u32 v3, v3, 23, v20
	v_or3_b32 v3, v11, v3, v10
.LBB2_640:                              ;   in Loop: Header=BB2_124 Depth=2
	s_or_b64 exec, exec, s[58:59]
.LBB2_641:                              ;   in Loop: Header=BB2_124 Depth=2
	s_or_b64 exec, exec, s[56:57]
.LBB2_642:                              ;   in Loop: Header=BB2_124 Depth=2
	s_or_b64 exec, exec, s[22:23]
	v_mul_f32_e32 v14, v7, v3
	v_and_b32_sdwa v3, v14, s75 dst_sel:DWORD dst_unused:UNUSED_PAD src0_sel:BYTE_3 src1_sel:DWORD
	v_and_b32_e32 v16, 0x7f800000, v14
	v_mov_b32_e32 v17, v39
	v_and_b32_e32 v10, 0x7fffff, v14
	v_mov_b32_e32 v11, v39
	v_or_b32_e32 v19, 0x7e, v3
	v_cmp_ne_u64_e32 vcc, s[42:43], v[16:17]
	s_and_saveexec_b64 s[22:23], vcc
	s_xor_b64 s[56:57], exec, s[22:23]
	s_cbranch_execz .LBB2_652
; %bb.643:                              ;   in Loop: Header=BB2_124 Depth=2
	v_and_b32_e32 v16, 0x7fffffff, v14
	v_mov_b32_e32 v17, v39
	v_cmp_gt_u64_e32 vcc, s[44:45], v[16:17]
	s_and_saveexec_b64 s[58:59], vcc
	s_cbranch_execz .LBB2_651
; %bb.644:                              ;   in Loop: Header=BB2_124 Depth=2
	v_cmp_ne_u32_e32 vcc, 0, v14
	v_mov_b32_e32 v19, 0
	s_and_saveexec_b64 s[60:61], vcc
	s_cbranch_execz .LBB2_650
; %bb.645:                              ;   in Loop: Header=BB2_124 Depth=2
	v_bfe_u32 v14, v14, 23, 8
	v_sub_u32_e32 v16, 0x79, v14
	v_cmp_gt_u32_e32 vcc, s76, v14
	v_cndmask_b32_e32 v16, 0, v16, vcc
	v_cmp_eq_u32_e32 vcc, 0, v14
	v_add_u32_e32 v15, 0xffffff81, v14
	v_mov_b32_e32 v14, 0xffffff82
	v_cndmask_b32_e32 v16, v16, v18, vcc
	v_cndmask_b32_e32 v19, v15, v14, vcc
	v_add_u32_e32 v14, 20, v16
	v_or_b32_e32 v17, 0x800000, v10
	v_lshlrev_b64 v[14:15], v14, -1
	v_cndmask_b32_e32 v10, v17, v10, vcc
	v_not_b32_e32 v14, v14
	v_and_b32_e32 v24, v10, v14
	v_add_u32_e32 v14, 19, v16
	v_lshrrev_b64 v[10:11], v16, v[10:11]
	v_not_b32_e32 v15, v15
	v_lshlrev_b64 v[52:53], v14, 1
	v_lshrrev_b32_e32 v14, 23, v10
	v_and_b32_e32 v25, 0, v15
	v_add3_u32 v16, v16, v19, v14
	v_bfe_u32 v14, v10, 20, 1
	v_add_u32_e32 v14, -1, v14
	v_cmp_eq_u64_e32 vcc, v[24:25], v[52:53]
	v_cndmask_b32_e32 v14, 0, v14, vcc
	v_add_u32_e32 v14, v14, v10
	v_and_b32_e32 v14, 0xfffff, v14
	v_add_co_u32_e32 v10, vcc, v14, v10
	v_add_u32_e32 v15, 6, v16
	v_addc_co_u32_e32 v11, vcc, 0, v11, vcc
	v_cmp_ne_u32_e32 vcc, 0, v15
                                        ; implicit-def: $vgpr14
	s_and_saveexec_b64 s[22:23], vcc
	s_xor_b64 s[22:23], exec, s[22:23]
; %bb.646:                              ;   in Loop: Header=BB2_124 Depth=2
	v_add_u32_e32 v14, 7, v16
	v_cmp_lt_u64_e32 vcc, s[48:49], v[10:11]
	v_cndmask_b32_e32 v14, v15, v14, vcc
	v_cndmask_b32_e64 v15, 0, 1, vcc
	v_lshrrev_b64 v[10:11], v15, v[10:11]
; %bb.647:                              ;   in Loop: Header=BB2_124 Depth=2
	s_andn2_saveexec_b64 s[22:23], s[22:23]
; %bb.648:                              ;   in Loop: Header=BB2_124 Depth=2
	v_bfe_u32 v14, v10, 23, 1
; %bb.649:                              ;   in Loop: Header=BB2_124 Depth=2
	s_or_b64 exec, exec, s[22:23]
	v_lshrrev_b64 v[10:11], 20, v[10:11]
	v_cmp_gt_i32_e32 vcc, 16, v14
	v_cndmask_b32_e32 v11, 0, v11, vcc
	v_cndmask_b32_e32 v10, 7, v10, vcc
	v_cmp_eq_u64_e64 s[22:23], 0, v[10:11]
	v_min_i32_e32 v11, 15, v14
	v_cmp_eq_u32_e32 vcc, 0, v14
	v_lshlrev_b32_e32 v11, 3, v11
	v_and_or_b32 v10, v10, 7, v11
	s_and_b64 s[22:23], vcc, s[22:23]
	v_cndmask_b32_e64 v10, v10, 0, s[22:23]
	v_or_b32_e32 v19, v10, v3
.LBB2_650:                              ;   in Loop: Header=BB2_124 Depth=2
	s_or_b64 exec, exec, s[60:61]
.LBB2_651:                              ;   in Loop: Header=BB2_124 Depth=2
	s_or_b64 exec, exec, s[58:59]
                                        ; implicit-def: $vgpr14
                                        ; implicit-def: $vgpr10_vgpr11
.LBB2_652:                              ;   in Loop: Header=BB2_124 Depth=2
	s_andn2_saveexec_b64 s[22:23], s[56:57]
; %bb.653:                              ;   in Loop: Header=BB2_124 Depth=2
	v_or_b32_sdwa v3, v14, s74 dst_sel:DWORD dst_unused:UNUSED_PAD src0_sel:BYTE_3 src1_sel:DWORD
	v_cmp_eq_u64_e32 vcc, 0, v[10:11]
	v_cndmask_b32_e32 v19, v3, v19, vcc
; %bb.654:                              ;   in Loop: Header=BB2_124 Depth=2
	s_or_b64 exec, exec, s[22:23]
	v_lshrrev_b16_e32 v10, 8, v38
	v_cmp_ne_u16_e32 vcc, 0, v10
	v_mov_b32_e32 v3, 0
	s_and_saveexec_b64 s[22:23], vcc
	s_cbranch_execz .LBB2_660
; %bb.655:                              ;   in Loop: Header=BB2_124 Depth=2
	v_cmp_ne_u16_e32 vcc, s75, v10
	v_bfrev_b32_e32 v3, 1
	s_and_saveexec_b64 s[56:57], vcc
	s_cbranch_execz .LBB2_659
; %bb.656:                              ;   in Loop: Header=BB2_124 Depth=2
	v_and_b32_e32 v11, 0x7f, v10
	v_cmp_ne_u32_e32 vcc, s74, v11
	v_mov_b32_e32 v3, 0x7f800001
	s_and_saveexec_b64 s[58:59], vcc
	s_cbranch_execz .LBB2_658
; %bb.657:                              ;   in Loop: Header=BB2_124 Depth=2
	v_and_b32_e32 v3, 7, v10
	v_ffbh_u32_e32 v14, v3
	v_min_u32_e32 v17, 32, v14
	v_subrev_u32_e32 v14, 28, v17
	v_lshlrev_b64 v[14:15], v14, v[10:11]
	v_lshrrev_b32_e32 v16, 3, v11
	v_sub_u32_e32 v10, 29, v17
	v_and_b32_e32 v14, 7, v14
	v_cmp_gt_u32_e32 vcc, 8, v11
	v_cndmask_b32_e32 v10, v16, v10, vcc
	v_cndmask_b32_e32 v3, v3, v14, vcc
	v_lshlrev_b32_e32 v11, 16, v38
	v_lshlrev_b32_e32 v3, 20, v3
	v_and_b32_e32 v11, 0x80000000, v11
	v_lshl_add_u32 v10, v10, 23, v20
	v_or3_b32 v3, v11, v10, v3
.LBB2_658:                              ;   in Loop: Header=BB2_124 Depth=2
	s_or_b64 exec, exec, s[58:59]
.LBB2_659:                              ;   in Loop: Header=BB2_124 Depth=2
	s_or_b64 exec, exec, s[56:57]
.LBB2_660:                              ;   in Loop: Header=BB2_124 Depth=2
	s_or_b64 exec, exec, s[22:23]
	v_mul_f32_e32 v10, v7, v3
	v_and_b32_sdwa v3, v10, s75 dst_sel:DWORD dst_unused:UNUSED_PAD src0_sel:BYTE_3 src1_sel:DWORD
	v_and_b32_e32 v14, 0x7f800000, v10
	v_mov_b32_e32 v15, v39
	v_and_b32_e32 v38, 0x7fffff, v10
	v_or_b32_e32 v26, 0x7e, v3
	v_cmp_ne_u64_e32 vcc, s[42:43], v[14:15]
	s_and_saveexec_b64 s[22:23], vcc
	s_xor_b64 s[56:57], exec, s[22:23]
	s_cbranch_execz .LBB2_670
; %bb.661:                              ;   in Loop: Header=BB2_124 Depth=2
	v_and_b32_e32 v14, 0x7fffffff, v10
	v_mov_b32_e32 v15, v39
	v_cmp_gt_u64_e32 vcc, s[44:45], v[14:15]
	s_and_saveexec_b64 s[58:59], vcc
	s_cbranch_execz .LBB2_669
; %bb.662:                              ;   in Loop: Header=BB2_124 Depth=2
	v_cmp_ne_u32_e32 vcc, 0, v10
	v_mov_b32_e32 v26, 0
	s_and_saveexec_b64 s[60:61], vcc
	s_cbranch_execz .LBB2_668
; %bb.663:                              ;   in Loop: Header=BB2_124 Depth=2
	v_bfe_u32 v10, v10, 23, 8
	v_sub_u32_e32 v14, 0x79, v10
	v_cmp_gt_u32_e32 vcc, s76, v10
	v_cndmask_b32_e32 v14, 0, v14, vcc
	v_cmp_eq_u32_e32 vcc, 0, v10
	v_add_u32_e32 v11, 0xffffff81, v10
	v_or_b32_e32 v15, 0x800000, v38
	v_mov_b32_e32 v10, 0xffffff82
	v_cndmask_b32_e32 v14, v14, v18, vcc
	v_cndmask_b32_e32 v16, v11, v10, vcc
	;; [unrolled: 1-line block ×3, first 2 shown]
	v_add_u32_e32 v10, 20, v14
	v_lshlrev_b64 v[10:11], v10, -1
	v_add_u32_e32 v15, 19, v14
	v_lshrrev_b64 v[52:53], v14, v[38:39]
	v_not_b32_e32 v11, v11
	v_not_b32_e32 v10, v10
	v_lshlrev_b64 v[24:25], v15, 1
	v_lshrrev_b32_e32 v15, 23, v52
	v_and_b32_e32 v11, 0, v11
	v_and_b32_e32 v10, v38, v10
	v_add3_u32 v16, v14, v16, v15
	v_bfe_u32 v14, v52, 20, 1
	v_add_u32_e32 v14, -1, v14
	v_cmp_eq_u64_e32 vcc, v[10:11], v[24:25]
	v_cndmask_b32_e32 v10, 0, v14, vcc
	v_add_u32_e32 v10, v10, v52
	v_and_b32_e32 v10, 0xfffff, v10
	v_add_co_u32_e32 v10, vcc, v10, v52
	v_add_u32_e32 v15, 6, v16
	v_addc_co_u32_e32 v11, vcc, 0, v53, vcc
	v_cmp_ne_u32_e32 vcc, 0, v15
                                        ; implicit-def: $vgpr14
	s_and_saveexec_b64 s[22:23], vcc
	s_xor_b64 s[22:23], exec, s[22:23]
; %bb.664:                              ;   in Loop: Header=BB2_124 Depth=2
	v_add_u32_e32 v14, 7, v16
	v_cmp_lt_u64_e32 vcc, s[48:49], v[10:11]
	v_cndmask_b32_e32 v14, v15, v14, vcc
	v_cndmask_b32_e64 v15, 0, 1, vcc
	v_lshrrev_b64 v[10:11], v15, v[10:11]
; %bb.665:                              ;   in Loop: Header=BB2_124 Depth=2
	s_andn2_saveexec_b64 s[22:23], s[22:23]
; %bb.666:                              ;   in Loop: Header=BB2_124 Depth=2
	v_bfe_u32 v14, v10, 23, 1
; %bb.667:                              ;   in Loop: Header=BB2_124 Depth=2
	s_or_b64 exec, exec, s[22:23]
	v_lshrrev_b64 v[10:11], 20, v[10:11]
	v_cmp_gt_i32_e32 vcc, 16, v14
	v_cndmask_b32_e32 v11, 0, v11, vcc
	v_cndmask_b32_e32 v10, 7, v10, vcc
	v_cmp_eq_u64_e64 s[22:23], 0, v[10:11]
	v_min_i32_e32 v11, 15, v14
	v_lshlrev_b32_e32 v11, 3, v11
	v_cmp_eq_u32_e32 vcc, 0, v14
	v_and_b32_e32 v11, 0xf8, v11
	v_and_or_b32 v10, v10, 7, v11
	s_and_b64 s[22:23], vcc, s[22:23]
	v_cndmask_b32_e64 v10, v10, 0, s[22:23]
	v_or_b32_e32 v26, v10, v3
.LBB2_668:                              ;   in Loop: Header=BB2_124 Depth=2
	s_or_b64 exec, exec, s[60:61]
.LBB2_669:                              ;   in Loop: Header=BB2_124 Depth=2
	s_or_b64 exec, exec, s[58:59]
                                        ; implicit-def: $vgpr10
.LBB2_670:                              ;   in Loop: Header=BB2_124 Depth=2
	s_andn2_saveexec_b64 s[22:23], s[56:57]
; %bb.671:                              ;   in Loop: Header=BB2_124 Depth=2
	v_or_b32_sdwa v3, v10, s74 dst_sel:DWORD dst_unused:UNUSED_PAD src0_sel:BYTE_3 src1_sel:DWORD
	v_cmp_eq_u64_e32 vcc, 0, v[38:39]
	v_cndmask_b32_e32 v26, v3, v26, vcc
; %bb.672:                              ;   in Loop: Header=BB2_124 Depth=2
	s_or_b64 exec, exec, s[22:23]
	v_lshrrev_b32_e32 v10, 16, v13
	v_cmp_ne_u16_sdwa vcc, v10, v39 src0_sel:BYTE_0 src1_sel:DWORD
	v_mov_b32_e32 v3, 0
	s_and_saveexec_b64 s[22:23], vcc
	s_cbranch_execz .LBB2_678
; %bb.673:                              ;   in Loop: Header=BB2_124 Depth=2
	v_cmp_ne_u16_sdwa vcc, v10, s75 src0_sel:BYTE_0 src1_sel:DWORD
	v_bfrev_b32_e32 v3, 1
	s_and_saveexec_b64 s[56:57], vcc
	s_cbranch_execz .LBB2_677
; %bb.674:                              ;   in Loop: Header=BB2_124 Depth=2
	v_bfe_u32 v11, v13, 16, 7
	v_cmp_ne_u32_e32 vcc, s74, v11
	v_mov_b32_e32 v3, 0x7f800001
	s_and_saveexec_b64 s[58:59], vcc
	s_cbranch_execz .LBB2_676
; %bb.675:                              ;   in Loop: Header=BB2_124 Depth=2
	v_and_b32_e32 v3, 7, v10
	v_ffbh_u32_e32 v14, v3
	v_min_u32_e32 v17, 32, v14
	v_subrev_u32_e32 v14, 28, v17
	v_lshlrev_b64 v[14:15], v14, v[10:11]
	v_lshrrev_b32_e32 v16, 3, v11
	v_sub_u32_e32 v15, 29, v17
	v_and_b32_e32 v14, 7, v14
	v_cmp_gt_u32_e32 vcc, 8, v11
	v_cndmask_b32_e32 v11, v16, v15, vcc
	v_cndmask_b32_e32 v3, v3, v14, vcc
	v_lshlrev_b32_e32 v10, 24, v10
	v_lshlrev_b32_e32 v3, 20, v3
	v_and_b32_e32 v10, 0x80000000, v10
	v_lshl_add_u32 v11, v11, 23, v20
	v_or3_b32 v3, v10, v11, v3
.LBB2_676:                              ;   in Loop: Header=BB2_124 Depth=2
	s_or_b64 exec, exec, s[58:59]
.LBB2_677:                              ;   in Loop: Header=BB2_124 Depth=2
	s_or_b64 exec, exec, s[56:57]
.LBB2_678:                              ;   in Loop: Header=BB2_124 Depth=2
	s_or_b64 exec, exec, s[22:23]
	v_mul_f32_e32 v10, v7, v3
	v_and_b32_sdwa v3, v10, s75 dst_sel:DWORD dst_unused:UNUSED_PAD src0_sel:BYTE_3 src1_sel:DWORD
	v_and_b32_e32 v14, 0x7f800000, v10
	v_mov_b32_e32 v15, v39
	v_and_b32_e32 v38, 0x7fffff, v10
	v_or_b32_e32 v51, 0x7e, v3
	v_cmp_ne_u64_e32 vcc, s[42:43], v[14:15]
	s_and_saveexec_b64 s[22:23], vcc
	s_xor_b64 s[56:57], exec, s[22:23]
	s_cbranch_execz .LBB2_688
; %bb.679:                              ;   in Loop: Header=BB2_124 Depth=2
	v_and_b32_e32 v14, 0x7fffffff, v10
	v_mov_b32_e32 v15, v39
	v_cmp_gt_u64_e32 vcc, s[44:45], v[14:15]
	s_and_saveexec_b64 s[58:59], vcc
	s_cbranch_execz .LBB2_687
; %bb.680:                              ;   in Loop: Header=BB2_124 Depth=2
	v_cmp_ne_u32_e32 vcc, 0, v10
	v_mov_b32_e32 v51, 0
	s_and_saveexec_b64 s[60:61], vcc
	s_cbranch_execz .LBB2_686
; %bb.681:                              ;   in Loop: Header=BB2_124 Depth=2
	v_bfe_u32 v10, v10, 23, 8
	v_sub_u32_e32 v14, 0x79, v10
	v_cmp_gt_u32_e32 vcc, s76, v10
	v_cndmask_b32_e32 v14, 0, v14, vcc
	v_cmp_eq_u32_e32 vcc, 0, v10
	v_add_u32_e32 v11, 0xffffff81, v10
	v_or_b32_e32 v15, 0x800000, v38
	v_mov_b32_e32 v10, 0xffffff82
	v_cndmask_b32_e32 v14, v14, v18, vcc
	v_cndmask_b32_e32 v16, v11, v10, vcc
	;; [unrolled: 1-line block ×3, first 2 shown]
	v_add_u32_e32 v10, 20, v14
	v_lshlrev_b64 v[10:11], v10, -1
	v_add_u32_e32 v15, 19, v14
	v_lshrrev_b64 v[52:53], v14, v[38:39]
	v_not_b32_e32 v11, v11
	v_not_b32_e32 v10, v10
	v_lshlrev_b64 v[24:25], v15, 1
	v_lshrrev_b32_e32 v15, 23, v52
	v_and_b32_e32 v11, 0, v11
	v_and_b32_e32 v10, v38, v10
	v_add3_u32 v16, v14, v16, v15
	v_bfe_u32 v14, v52, 20, 1
	v_add_u32_e32 v14, -1, v14
	v_cmp_eq_u64_e32 vcc, v[10:11], v[24:25]
	v_cndmask_b32_e32 v10, 0, v14, vcc
	v_add_u32_e32 v10, v10, v52
	v_and_b32_e32 v10, 0xfffff, v10
	v_add_co_u32_e32 v10, vcc, v10, v52
	v_add_u32_e32 v15, 6, v16
	v_addc_co_u32_e32 v11, vcc, 0, v53, vcc
	v_cmp_ne_u32_e32 vcc, 0, v15
                                        ; implicit-def: $vgpr14
	s_and_saveexec_b64 s[22:23], vcc
	s_xor_b64 s[22:23], exec, s[22:23]
; %bb.682:                              ;   in Loop: Header=BB2_124 Depth=2
	v_add_u32_e32 v14, 7, v16
	v_cmp_lt_u64_e32 vcc, s[48:49], v[10:11]
	v_cndmask_b32_e32 v14, v15, v14, vcc
	v_cndmask_b32_e64 v15, 0, 1, vcc
	v_lshrrev_b64 v[10:11], v15, v[10:11]
; %bb.683:                              ;   in Loop: Header=BB2_124 Depth=2
	s_andn2_saveexec_b64 s[22:23], s[22:23]
; %bb.684:                              ;   in Loop: Header=BB2_124 Depth=2
	v_bfe_u32 v14, v10, 23, 1
; %bb.685:                              ;   in Loop: Header=BB2_124 Depth=2
	s_or_b64 exec, exec, s[22:23]
	v_lshrrev_b64 v[10:11], 20, v[10:11]
	v_cmp_gt_i32_e32 vcc, 16, v14
	v_cndmask_b32_e32 v11, 0, v11, vcc
	v_cndmask_b32_e32 v10, 7, v10, vcc
	v_cmp_eq_u64_e64 s[22:23], 0, v[10:11]
	v_min_i32_e32 v11, 15, v14
	v_lshlrev_b32_e32 v11, 3, v11
	v_cmp_eq_u32_e32 vcc, 0, v14
	v_and_b32_e32 v11, 0xf8, v11
	v_and_or_b32 v10, v10, 7, v11
	s_and_b64 s[22:23], vcc, s[22:23]
	v_cndmask_b32_e64 v10, v10, 0, s[22:23]
	v_or_b32_e32 v51, v10, v3
.LBB2_686:                              ;   in Loop: Header=BB2_124 Depth=2
	s_or_b64 exec, exec, s[60:61]
.LBB2_687:                              ;   in Loop: Header=BB2_124 Depth=2
	s_or_b64 exec, exec, s[58:59]
                                        ; implicit-def: $vgpr10
.LBB2_688:                              ;   in Loop: Header=BB2_124 Depth=2
	s_andn2_saveexec_b64 s[22:23], s[56:57]
; %bb.689:                              ;   in Loop: Header=BB2_124 Depth=2
	v_or_b32_sdwa v3, v10, s74 dst_sel:DWORD dst_unused:UNUSED_PAD src0_sel:BYTE_3 src1_sel:DWORD
	v_cmp_eq_u64_e32 vcc, 0, v[38:39]
	v_cndmask_b32_e32 v51, v3, v51, vcc
; %bb.690:                              ;   in Loop: Header=BB2_124 Depth=2
	s_or_b64 exec, exec, s[22:23]
	v_cmp_lt_u64_e32 vcc, s[46:47], v[12:13]
	v_mov_b32_e32 v3, 0
	s_and_saveexec_b64 s[22:23], vcc
	s_cbranch_execz .LBB2_696
; %bb.691:                              ;   in Loop: Header=BB2_124 Depth=2
	v_lshrrev_b32_e32 v10, 24, v13
	v_cmp_ne_u32_e32 vcc, s75, v10
	v_bfrev_b32_e32 v3, 1
	s_and_saveexec_b64 s[56:57], vcc
	s_cbranch_execz .LBB2_695
; %bb.692:                              ;   in Loop: Header=BB2_124 Depth=2
	v_bfe_u32 v11, v13, 24, 7
	v_cmp_ne_u32_e32 vcc, s74, v11
	v_mov_b32_e32 v3, 0x7f800001
	s_and_saveexec_b64 s[58:59], vcc
	s_cbranch_execz .LBB2_694
; %bb.693:                              ;   in Loop: Header=BB2_124 Depth=2
	v_and_b32_e32 v3, 7, v10
	v_ffbh_u32_e32 v12, v3
	v_min_u32_e32 v15, 32, v12
	v_subrev_u32_e32 v12, 28, v15
	v_lshlrev_b64 v[12:13], v12, v[10:11]
	v_lshrrev_b32_e32 v14, 3, v11
	v_sub_u32_e32 v13, 29, v15
	v_and_b32_e32 v12, 7, v12
	v_cmp_gt_u32_e32 vcc, 8, v11
	v_cndmask_b32_e32 v11, v14, v13, vcc
	v_cndmask_b32_e32 v3, v3, v12, vcc
	v_lshlrev_b32_e32 v10, 24, v10
	v_lshlrev_b32_e32 v3, 20, v3
	v_and_b32_e32 v10, 0x80000000, v10
	v_lshl_add_u32 v11, v11, 23, v20
	v_or3_b32 v3, v10, v11, v3
.LBB2_694:                              ;   in Loop: Header=BB2_124 Depth=2
	s_or_b64 exec, exec, s[58:59]
.LBB2_695:                              ;   in Loop: Header=BB2_124 Depth=2
	s_or_b64 exec, exec, s[56:57]
.LBB2_696:                              ;   in Loop: Header=BB2_124 Depth=2
	s_or_b64 exec, exec, s[22:23]
	v_mul_f32_e32 v7, v7, v3
	v_and_b32_sdwa v3, v7, s75 dst_sel:DWORD dst_unused:UNUSED_PAD src0_sel:BYTE_3 src1_sel:DWORD
	v_and_b32_e32 v10, 0x7f800000, v7
	v_mov_b32_e32 v11, v39
	v_and_b32_e32 v38, 0x7fffff, v7
	v_or_b32_e32 v54, 0x7e, v3
	v_cmp_ne_u64_e32 vcc, s[42:43], v[10:11]
	s_and_saveexec_b64 s[22:23], vcc
	s_xor_b64 s[56:57], exec, s[22:23]
	s_cbranch_execz .LBB2_706
; %bb.697:                              ;   in Loop: Header=BB2_124 Depth=2
	v_and_b32_e32 v10, 0x7fffffff, v7
	v_mov_b32_e32 v11, v39
	v_cmp_gt_u64_e32 vcc, s[44:45], v[10:11]
	s_and_saveexec_b64 s[58:59], vcc
	s_cbranch_execz .LBB2_705
; %bb.698:                              ;   in Loop: Header=BB2_124 Depth=2
	v_cmp_ne_u32_e32 vcc, 0, v7
	v_mov_b32_e32 v54, 0
	s_and_saveexec_b64 s[60:61], vcc
	s_cbranch_execz .LBB2_704
; %bb.699:                              ;   in Loop: Header=BB2_124 Depth=2
	v_bfe_u32 v7, v7, 23, 8
	v_sub_u32_e32 v11, 0x79, v7
	v_cmp_gt_u32_e32 vcc, s76, v7
	v_cndmask_b32_e32 v11, 0, v11, vcc
	v_cmp_eq_u32_e32 vcc, 0, v7
	v_add_u32_e32 v10, 0xffffff81, v7
	v_or_b32_e32 v12, 0x800000, v38
	v_mov_b32_e32 v7, 0xffffff82
	v_cndmask_b32_e32 v13, v11, v18, vcc
	v_cndmask_b32_e32 v7, v10, v7, vcc
	;; [unrolled: 1-line block ×3, first 2 shown]
	v_add_u32_e32 v10, 20, v13
	v_lshlrev_b64 v[10:11], v10, -1
	v_add_u32_e32 v12, 19, v13
	v_lshrrev_b64 v[16:17], v13, v[38:39]
	v_not_b32_e32 v11, v11
	v_not_b32_e32 v10, v10
	v_lshlrev_b64 v[14:15], v12, 1
	v_lshrrev_b32_e32 v12, 23, v16
	v_and_b32_e32 v11, 0, v11
	v_and_b32_e32 v10, v38, v10
	v_add3_u32 v13, v13, v7, v12
	v_bfe_u32 v7, v16, 20, 1
	v_add_u32_e32 v7, -1, v7
	v_cmp_eq_u64_e32 vcc, v[10:11], v[14:15]
	v_cndmask_b32_e32 v7, 0, v7, vcc
	v_add_u32_e32 v7, v7, v16
	v_and_b32_e32 v7, 0xfffff, v7
	v_add_co_u32_e32 v10, vcc, v7, v16
	v_add_u32_e32 v12, 6, v13
	v_addc_co_u32_e32 v11, vcc, 0, v17, vcc
	v_cmp_ne_u32_e32 vcc, 0, v12
                                        ; implicit-def: $vgpr7
	s_and_saveexec_b64 s[22:23], vcc
	s_xor_b64 s[22:23], exec, s[22:23]
; %bb.700:                              ;   in Loop: Header=BB2_124 Depth=2
	v_add_u32_e32 v7, 7, v13
	v_cmp_lt_u64_e32 vcc, s[48:49], v[10:11]
	v_cndmask_b32_e32 v7, v12, v7, vcc
	v_cndmask_b32_e64 v12, 0, 1, vcc
	v_lshrrev_b64 v[10:11], v12, v[10:11]
; %bb.701:                              ;   in Loop: Header=BB2_124 Depth=2
	s_andn2_saveexec_b64 s[22:23], s[22:23]
; %bb.702:                              ;   in Loop: Header=BB2_124 Depth=2
	v_bfe_u32 v7, v10, 23, 1
; %bb.703:                              ;   in Loop: Header=BB2_124 Depth=2
	s_or_b64 exec, exec, s[22:23]
	v_lshrrev_b64 v[10:11], 20, v[10:11]
	v_cmp_gt_i32_e32 vcc, 16, v7
	v_cndmask_b32_e32 v11, 0, v11, vcc
	v_cndmask_b32_e32 v10, 7, v10, vcc
	v_cmp_eq_u32_e32 vcc, 0, v7
	v_min_i32_e32 v7, 15, v7
	v_lshlrev_b32_e32 v7, 3, v7
	v_cmp_eq_u64_e64 s[22:23], 0, v[10:11]
	v_and_b32_e32 v7, 0xf8, v7
	v_and_or_b32 v7, v10, 7, v7
	s_and_b64 s[22:23], vcc, s[22:23]
	v_cndmask_b32_e64 v7, v7, 0, s[22:23]
	v_or_b32_e32 v54, v7, v3
.LBB2_704:                              ;   in Loop: Header=BB2_124 Depth=2
	s_or_b64 exec, exec, s[60:61]
.LBB2_705:                              ;   in Loop: Header=BB2_124 Depth=2
	s_or_b64 exec, exec, s[58:59]
                                        ; implicit-def: $vgpr7
.LBB2_706:                              ;   in Loop: Header=BB2_124 Depth=2
	s_andn2_saveexec_b64 s[22:23], s[56:57]
; %bb.707:                              ;   in Loop: Header=BB2_124 Depth=2
	v_or_b32_sdwa v3, v7, s74 dst_sel:DWORD dst_unused:UNUSED_PAD src0_sel:BYTE_3 src1_sel:DWORD
	v_cmp_eq_u64_e32 vcc, 0, v[38:39]
	v_cndmask_b32_e32 v54, v3, v54, vcc
; %bb.708:                              ;   in Loop: Header=BB2_124 Depth=2
	s_or_b64 exec, exec, s[22:23]
	global_load_dwordx4 v[14:17], v[46:47], off glc slc
	global_load_dwordx4 v[10:13], v[46:47], off offset:1024 glc slc
	v_lshlrev_b32_e32 v3, 8, v9
	v_cmp_ne_u16_sdwa vcc, v1, v39 src0_sel:BYTE_0 src1_sel:DWORD
	v_mov_b32_e32 v7, 0
	v_mov_b32_e32 v9, 0
	s_and_saveexec_b64 s[22:23], vcc
	s_cbranch_execz .LBB2_714
; %bb.709:                              ;   in Loop: Header=BB2_124 Depth=2
	v_cmp_ne_u16_sdwa vcc, v1, s75 src0_sel:BYTE_0 src1_sel:DWORD
	v_bfrev_b32_e32 v9, 1
	s_and_saveexec_b64 s[56:57], vcc
	s_cbranch_execz .LBB2_713
; %bb.710:                              ;   in Loop: Header=BB2_124 Depth=2
	v_and_b32_e32 v24, 0x7f, v1
	v_cmp_ne_u32_e32 vcc, s74, v24
	v_mov_b32_e32 v9, 0x7f800001
	s_and_saveexec_b64 s[58:59], vcc
	s_cbranch_execz .LBB2_712
; %bb.711:                              ;   in Loop: Header=BB2_124 Depth=2
	v_and_b32_e32 v9, 7, v1
	v_ffbh_u32_e32 v9, v9
	v_min_u32_e32 v9, 32, v9
	v_lshrrev_b32_e32 v22, 3, v24
	v_subrev_u32_e32 v23, 28, v9
	v_sub_u32_e32 v9, 29, v9
	v_cmp_gt_u32_e32 vcc, 8, v24
	v_perm_b32 v38, v3, v1, s77
	v_cndmask_b32_e32 v9, v22, v9, vcc
	v_cndmask_b32_e32 v22, 0, v23, vcc
	v_lshlrev_b64 v[24:25], v22, v[38:39]
	v_lshlrev_b32_e32 v22, 20, v24
	v_lshlrev_b32_e32 v1, 24, v1
	v_and_b32_e32 v22, 0x700000, v22
	v_and_b32_e32 v1, 0x80000000, v1
	v_lshl_add_u32 v9, v9, 23, v20
	v_or3_b32 v9, v1, v9, v22
.LBB2_712:                              ;   in Loop: Header=BB2_124 Depth=2
	s_or_b64 exec, exec, s[58:59]
.LBB2_713:                              ;   in Loop: Header=BB2_124 Depth=2
	s_or_b64 exec, exec, s[56:57]
.LBB2_714:                              ;   in Loop: Header=BB2_124 Depth=2
	s_or_b64 exec, exec, s[22:23]
	s_waitcnt vmcnt(1)
	v_cmp_ne_u16_sdwa vcc, v14, v39 src0_sel:BYTE_0 src1_sel:DWORD
	s_and_saveexec_b64 s[22:23], vcc
	s_cbranch_execz .LBB2_720
; %bb.715:                              ;   in Loop: Header=BB2_124 Depth=2
	v_cmp_ne_u16_sdwa vcc, v14, s75 src0_sel:BYTE_0 src1_sel:DWORD
	v_bfrev_b32_e32 v7, 1
	s_and_saveexec_b64 s[56:57], vcc
	s_cbranch_execz .LBB2_719
; %bb.716:                              ;   in Loop: Header=BB2_124 Depth=2
	v_and_b32_e32 v1, 0x7f, v14
	v_cmp_ne_u32_e32 vcc, s74, v1
	v_mov_b32_e32 v7, 0x7f800001
	s_and_saveexec_b64 s[58:59], vcc
	s_cbranch_execz .LBB2_718
; %bb.717:                              ;   in Loop: Header=BB2_124 Depth=2
	v_and_b32_e32 v7, 7, v14
	v_ffbh_u32_e32 v7, v7
	v_min_u32_e32 v7, 32, v7
	v_lshrrev_b32_e32 v22, 3, v1
	v_subrev_u32_e32 v23, 28, v7
	v_sub_u32_e32 v7, 29, v7
	v_cmp_gt_u32_e32 vcc, 8, v1
	v_cndmask_b32_e32 v1, v22, v7, vcc
	v_cndmask_b32_e32 v7, 0, v23, vcc
	v_lshlrev_b64 v[24:25], v7, v[14:15]
	v_lshlrev_b32_e32 v7, 20, v24
	v_lshlrev_b32_e32 v22, 24, v14
	v_and_b32_e32 v7, 0x700000, v7
	v_and_b32_e32 v22, 0x80000000, v22
	v_lshl_add_u32 v1, v1, 23, v20
	v_or3_b32 v7, v22, v1, v7
.LBB2_718:                              ;   in Loop: Header=BB2_124 Depth=2
	s_or_b64 exec, exec, s[58:59]
.LBB2_719:                              ;   in Loop: Header=BB2_124 Depth=2
	s_or_b64 exec, exec, s[56:57]
.LBB2_720:                              ;   in Loop: Header=BB2_124 Depth=2
	s_or_b64 exec, exec, s[22:23]
	v_add_f32_e32 v7, v9, v7
	v_and_b32_sdwa v1, v7, s75 dst_sel:DWORD dst_unused:UNUSED_PAD src0_sel:BYTE_3 src1_sel:DWORD
	v_and_b32_e32 v24, 0x7f800000, v7
	v_mov_b32_e32 v25, v39
	v_and_b32_e32 v38, 0x7fffff, v7
	v_or_b32_e32 v55, 0x7e, v1
	v_cmp_ne_u64_e32 vcc, s[42:43], v[24:25]
	s_and_saveexec_b64 s[22:23], vcc
	s_xor_b64 s[56:57], exec, s[22:23]
	s_cbranch_execz .LBB2_730
; %bb.721:                              ;   in Loop: Header=BB2_124 Depth=2
	v_and_b32_e32 v24, 0x7fffffff, v7
	v_mov_b32_e32 v25, v39
	v_cmp_gt_u64_e32 vcc, s[44:45], v[24:25]
	s_and_saveexec_b64 s[58:59], vcc
	s_cbranch_execz .LBB2_729
; %bb.722:                              ;   in Loop: Header=BB2_124 Depth=2
	v_cmp_ne_u32_e32 vcc, 0, v7
	v_mov_b32_e32 v55, 0
	s_and_saveexec_b64 s[60:61], vcc
	s_cbranch_execz .LBB2_728
; %bb.723:                              ;   in Loop: Header=BB2_124 Depth=2
	v_bfe_u32 v7, v7, 23, 8
	v_sub_u32_e32 v22, 0x79, v7
	v_cmp_gt_u32_e32 vcc, s76, v7
	v_add_u32_e32 v9, 0xffffff81, v7
	v_cndmask_b32_e32 v22, 0, v22, vcc
	v_cmp_eq_u32_e32 vcc, 0, v7
	v_mov_b32_e32 v7, 0xffffff82
	v_cndmask_b32_e32 v7, v9, v7, vcc
	v_cndmask_b32_e32 v9, v22, v18, vcc
	v_add_u32_e32 v22, 20, v9
	v_lshlrev_b64 v[24:25], v22, -1
	v_or_b32_e32 v23, 0x800000, v38
	v_not_b32_e32 v22, v25
	v_cndmask_b32_e32 v38, v23, v38, vcc
	v_not_b32_e32 v23, v24
	v_and_b32_e32 v25, 0, v22
	v_add_u32_e32 v22, 19, v9
	v_and_b32_e32 v24, v38, v23
	v_lshlrev_b64 v[52:53], v22, 1
	v_lshrrev_b64 v[22:23], v9, v[38:39]
	v_lshrrev_b32_e32 v38, 23, v22
	v_add3_u32 v38, v9, v7, v38
	v_bfe_u32 v7, v22, 20, 1
	v_add_u32_e32 v7, -1, v7
	v_cmp_eq_u64_e32 vcc, v[24:25], v[52:53]
	v_cndmask_b32_e32 v7, 0, v7, vcc
	v_add_u32_e32 v7, v7, v22
	v_and_b32_e32 v7, 0xfffff, v7
	v_add_co_u32_e32 v24, vcc, v7, v22
	v_add_u32_e32 v9, 6, v38
	v_addc_co_u32_e32 v25, vcc, 0, v23, vcc
	v_cmp_ne_u32_e32 vcc, 0, v9
                                        ; implicit-def: $vgpr7
	s_and_saveexec_b64 s[22:23], vcc
	s_xor_b64 s[22:23], exec, s[22:23]
; %bb.724:                              ;   in Loop: Header=BB2_124 Depth=2
	v_add_u32_e32 v7, 7, v38
	v_cmp_lt_u64_e32 vcc, s[48:49], v[24:25]
	v_cndmask_b32_e32 v7, v9, v7, vcc
	v_cndmask_b32_e64 v9, 0, 1, vcc
	v_lshrrev_b64 v[24:25], v9, v[24:25]
; %bb.725:                              ;   in Loop: Header=BB2_124 Depth=2
	s_andn2_saveexec_b64 s[22:23], s[22:23]
; %bb.726:                              ;   in Loop: Header=BB2_124 Depth=2
	v_bfe_u32 v7, v24, 23, 1
; %bb.727:                              ;   in Loop: Header=BB2_124 Depth=2
	s_or_b64 exec, exec, s[22:23]
	v_lshrrev_b64 v[22:23], 20, v[24:25]
	v_cmp_gt_i32_e32 vcc, 16, v7
	v_cndmask_b32_e32 v23, 0, v23, vcc
	v_cndmask_b32_e32 v22, 7, v22, vcc
	v_cmp_eq_u32_e32 vcc, 0, v7
	v_min_i32_e32 v7, 15, v7
	v_cmp_eq_u64_e64 s[22:23], 0, v[22:23]
	v_lshlrev_b32_e32 v7, 3, v7
	v_and_or_b32 v7, v22, 7, v7
	s_and_b64 s[22:23], vcc, s[22:23]
	v_cndmask_b32_e64 v7, v7, 0, s[22:23]
	v_or_b32_e32 v55, v7, v1
.LBB2_728:                              ;   in Loop: Header=BB2_124 Depth=2
	s_or_b64 exec, exec, s[60:61]
.LBB2_729:                              ;   in Loop: Header=BB2_124 Depth=2
	s_or_b64 exec, exec, s[58:59]
                                        ; implicit-def: $vgpr7
.LBB2_730:                              ;   in Loop: Header=BB2_124 Depth=2
	s_andn2_saveexec_b64 s[22:23], s[56:57]
; %bb.731:                              ;   in Loop: Header=BB2_124 Depth=2
	v_or_b32_sdwa v1, v7, s74 dst_sel:DWORD dst_unused:UNUSED_PAD src0_sel:BYTE_3 src1_sel:DWORD
	v_cmp_eq_u64_e32 vcc, 0, v[38:39]
	v_cndmask_b32_e32 v55, v1, v55, vcc
; %bb.732:                              ;   in Loop: Header=BB2_124 Depth=2
	s_or_b64 exec, exec, s[22:23]
	v_lshrrev_b16_e32 v24, 8, v3
	v_cmp_ne_u16_e32 vcc, 0, v24
	v_mov_b32_e32 v1, 0
	v_mov_b32_e32 v7, 0
	s_and_saveexec_b64 s[22:23], vcc
	s_cbranch_execz .LBB2_738
; %bb.733:                              ;   in Loop: Header=BB2_124 Depth=2
	v_cmp_ne_u16_e32 vcc, s75, v24
	v_bfrev_b32_e32 v7, 1
	s_and_saveexec_b64 s[56:57], vcc
	s_cbranch_execz .LBB2_737
; %bb.734:                              ;   in Loop: Header=BB2_124 Depth=2
	v_and_b32_e32 v9, 0x7f, v24
	v_cmp_ne_u32_e32 vcc, s74, v9
	v_mov_b32_e32 v7, 0x7f800001
	s_and_saveexec_b64 s[58:59], vcc
	s_cbranch_execz .LBB2_736
; %bb.735:                              ;   in Loop: Header=BB2_124 Depth=2
	v_and_b32_e32 v7, 7, v24
	v_ffbh_u32_e32 v22, v7
	v_min_u32_e32 v38, 32, v22
	v_lshrrev_b32_e32 v25, 3, v9
	v_subrev_u32_e32 v22, 28, v38
	v_lshlrev_b64 v[22:23], v22, v[24:25]
	v_sub_u32_e32 v23, 29, v38
	v_and_b32_e32 v22, 7, v22
	v_cmp_gt_u32_e32 vcc, 8, v9
	v_cndmask_b32_e32 v9, v25, v23, vcc
	v_cndmask_b32_e32 v7, v7, v22, vcc
	v_lshlrev_b32_e32 v3, 16, v3
	v_lshlrev_b32_e32 v7, 20, v7
	v_and_b32_e32 v3, 0x80000000, v3
	v_lshl_add_u32 v9, v9, 23, v20
	v_or3_b32 v7, v3, v9, v7
.LBB2_736:                              ;   in Loop: Header=BB2_124 Depth=2
	s_or_b64 exec, exec, s[58:59]
.LBB2_737:                              ;   in Loop: Header=BB2_124 Depth=2
	s_or_b64 exec, exec, s[56:57]
.LBB2_738:                              ;   in Loop: Header=BB2_124 Depth=2
	s_or_b64 exec, exec, s[22:23]
	v_lshrrev_b16_e32 v24, 8, v14
	v_cmp_ne_u16_e32 vcc, 0, v24
	s_and_saveexec_b64 s[22:23], vcc
	s_cbranch_execz .LBB2_744
; %bb.739:                              ;   in Loop: Header=BB2_124 Depth=2
	v_cmp_ne_u16_e32 vcc, s75, v24
	v_bfrev_b32_e32 v1, 1
	s_and_saveexec_b64 s[56:57], vcc
	s_cbranch_execz .LBB2_743
; %bb.740:                              ;   in Loop: Header=BB2_124 Depth=2
	v_and_b32_e32 v3, 0x7f, v24
	v_cmp_ne_u32_e32 vcc, s74, v3
	v_mov_b32_e32 v1, 0x7f800001
	s_and_saveexec_b64 s[58:59], vcc
	s_cbranch_execz .LBB2_742
; %bb.741:                              ;   in Loop: Header=BB2_124 Depth=2
	v_and_b32_e32 v1, 7, v24
	v_ffbh_u32_e32 v22, v1
	v_min_u32_e32 v25, 32, v22
	v_subrev_u32_e32 v22, 28, v25
	v_lshlrev_b64 v[22:23], v22, v[24:25]
	v_lshrrev_b32_e32 v9, 3, v3
	v_sub_u32_e32 v23, 29, v25
	v_and_b32_e32 v22, 7, v22
	v_cmp_gt_u32_e32 vcc, 8, v3
	v_cndmask_b32_e32 v3, v9, v23, vcc
	v_cndmask_b32_e32 v1, v1, v22, vcc
	v_lshlrev_b32_e32 v9, 16, v14
	v_lshlrev_b32_e32 v1, 20, v1
	v_and_b32_e32 v9, 0x80000000, v9
	v_lshl_add_u32 v3, v3, 23, v20
	v_or3_b32 v1, v9, v3, v1
.LBB2_742:                              ;   in Loop: Header=BB2_124 Depth=2
	s_or_b64 exec, exec, s[58:59]
.LBB2_743:                              ;   in Loop: Header=BB2_124 Depth=2
	s_or_b64 exec, exec, s[56:57]
.LBB2_744:                              ;   in Loop: Header=BB2_124 Depth=2
	s_or_b64 exec, exec, s[22:23]
	v_add_f32_e32 v7, v7, v1
	v_and_b32_sdwa v3, v7, s75 dst_sel:DWORD dst_unused:UNUSED_PAD src0_sel:BYTE_3 src1_sel:DWORD
	v_and_b32_e32 v22, 0x7f800000, v7
	v_mov_b32_e32 v23, v39
	v_and_b32_e32 v38, 0x7fffff, v7
	v_or_b32_e32 v1, 0x7e, v3
	v_cmp_ne_u64_e32 vcc, s[42:43], v[22:23]
	s_and_saveexec_b64 s[22:23], vcc
	s_xor_b64 s[56:57], exec, s[22:23]
	s_cbranch_execz .LBB2_754
; %bb.745:                              ;   in Loop: Header=BB2_124 Depth=2
	v_and_b32_e32 v22, 0x7fffffff, v7
	v_mov_b32_e32 v23, v39
	v_cmp_gt_u64_e32 vcc, s[44:45], v[22:23]
	s_and_saveexec_b64 s[58:59], vcc
	s_cbranch_execz .LBB2_753
; %bb.746:                              ;   in Loop: Header=BB2_124 Depth=2
	v_cmp_ne_u32_e32 vcc, 0, v7
	v_mov_b32_e32 v1, 0
	s_and_saveexec_b64 s[60:61], vcc
	s_cbranch_execz .LBB2_752
; %bb.747:                              ;   in Loop: Header=BB2_124 Depth=2
	v_bfe_u32 v1, v7, 23, 8
	v_sub_u32_e32 v9, 0x79, v1
	v_cmp_gt_u32_e32 vcc, s76, v1
	v_add_u32_e32 v7, 0xffffff81, v1
	v_cndmask_b32_e32 v9, 0, v9, vcc
	v_cmp_eq_u32_e32 vcc, 0, v1
	v_mov_b32_e32 v1, 0xffffff82
	v_cndmask_b32_e32 v1, v7, v1, vcc
	v_cndmask_b32_e32 v7, v9, v18, vcc
	v_or_b32_e32 v22, 0x800000, v38
	v_add_u32_e32 v9, 20, v7
	v_cndmask_b32_e32 v38, v22, v38, vcc
	v_lshlrev_b64 v[22:23], v9, -1
	v_not_b32_e32 v9, v23
	v_and_b32_e32 v23, 0, v9
	v_add_u32_e32 v9, 19, v7
	v_lshrrev_b64 v[52:53], v7, v[38:39]
	v_not_b32_e32 v22, v22
	v_lshlrev_b64 v[24:25], v9, 1
	v_lshrrev_b32_e32 v9, 23, v52
	v_and_b32_e32 v22, v38, v22
	v_add3_u32 v9, v7, v1, v9
	v_bfe_u32 v1, v52, 20, 1
	v_add_u32_e32 v1, -1, v1
	v_cmp_eq_u64_e32 vcc, v[22:23], v[24:25]
	v_cndmask_b32_e32 v1, 0, v1, vcc
	v_add_u32_e32 v1, v1, v52
	v_and_b32_e32 v1, 0xfffff, v1
	v_add_co_u32_e32 v24, vcc, v1, v52
	v_add_u32_e32 v7, 6, v9
	v_addc_co_u32_e32 v25, vcc, 0, v53, vcc
	v_cmp_ne_u32_e32 vcc, 0, v7
                                        ; implicit-def: $vgpr1
	s_and_saveexec_b64 s[22:23], vcc
	s_xor_b64 s[22:23], exec, s[22:23]
; %bb.748:                              ;   in Loop: Header=BB2_124 Depth=2
	v_add_u32_e32 v1, 7, v9
	v_cmp_lt_u64_e32 vcc, s[48:49], v[24:25]
	v_cndmask_b32_e32 v1, v7, v1, vcc
	v_cndmask_b32_e64 v7, 0, 1, vcc
	v_lshrrev_b64 v[24:25], v7, v[24:25]
; %bb.749:                              ;   in Loop: Header=BB2_124 Depth=2
	s_andn2_saveexec_b64 s[22:23], s[22:23]
; %bb.750:                              ;   in Loop: Header=BB2_124 Depth=2
	v_bfe_u32 v1, v24, 23, 1
; %bb.751:                              ;   in Loop: Header=BB2_124 Depth=2
	s_or_b64 exec, exec, s[22:23]
	v_lshrrev_b64 v[22:23], 20, v[24:25]
	v_cmp_gt_i32_e32 vcc, 16, v1
	v_cndmask_b32_e32 v23, 0, v23, vcc
	v_cndmask_b32_e32 v22, 7, v22, vcc
	v_cmp_eq_u32_e32 vcc, 0, v1
	v_min_i32_e32 v1, 15, v1
	v_cmp_eq_u64_e64 s[22:23], 0, v[22:23]
	v_lshlrev_b32_e32 v1, 3, v1
	v_and_or_b32 v1, v22, 7, v1
	s_and_b64 s[22:23], vcc, s[22:23]
	v_cndmask_b32_e64 v1, v1, 0, s[22:23]
	v_or_b32_e32 v1, v1, v3
.LBB2_752:                              ;   in Loop: Header=BB2_124 Depth=2
	s_or_b64 exec, exec, s[60:61]
.LBB2_753:                              ;   in Loop: Header=BB2_124 Depth=2
	s_or_b64 exec, exec, s[58:59]
                                        ; implicit-def: $vgpr7
.LBB2_754:                              ;   in Loop: Header=BB2_124 Depth=2
	s_andn2_saveexec_b64 s[22:23], s[56:57]
; %bb.755:                              ;   in Loop: Header=BB2_124 Depth=2
	v_or_b32_sdwa v3, v7, s74 dst_sel:DWORD dst_unused:UNUSED_PAD src0_sel:BYTE_3 src1_sel:DWORD
	v_cmp_eq_u64_e32 vcc, 0, v[38:39]
	v_cndmask_b32_e32 v1, v3, v1, vcc
; %bb.756:                              ;   in Loop: Header=BB2_124 Depth=2
	s_or_b64 exec, exec, s[22:23]
	v_cmp_ne_u16_sdwa vcc, v2, v39 src0_sel:BYTE_0 src1_sel:DWORD
	v_mov_b32_e32 v3, 0
	v_mov_b32_e32 v7, 0
	s_and_saveexec_b64 s[22:23], vcc
	s_cbranch_execz .LBB2_762
; %bb.757:                              ;   in Loop: Header=BB2_124 Depth=2
	v_cmp_ne_u16_sdwa vcc, v2, s75 src0_sel:BYTE_0 src1_sel:DWORD
	v_bfrev_b32_e32 v7, 1
	s_and_saveexec_b64 s[56:57], vcc
	s_cbranch_execz .LBB2_761
; %bb.758:                              ;   in Loop: Header=BB2_124 Depth=2
	v_and_b32_e32 v9, 0x7f, v2
	v_cmp_ne_u32_e32 vcc, s74, v9
	v_mov_b32_e32 v7, 0x7f800001
	s_and_saveexec_b64 s[58:59], vcc
	s_cbranch_execz .LBB2_760
; %bb.759:                              ;   in Loop: Header=BB2_124 Depth=2
	v_and_b32_e32 v7, 7, v2
	v_ffbh_u32_e32 v22, v7
	v_min_u32_e32 v25, 32, v22
	v_subrev_u32_e32 v22, 28, v25
	v_lshlrev_b64 v[22:23], v22, v[2:3]
	v_lshrrev_b32_e32 v24, 3, v9
	v_sub_u32_e32 v23, 29, v25
	v_and_b32_e32 v22, 7, v22
	v_cmp_gt_u32_e32 vcc, 8, v9
	v_cndmask_b32_e32 v9, v24, v23, vcc
	v_cndmask_b32_e32 v7, v7, v22, vcc
	v_lshlrev_b32_e32 v2, 24, v2
	v_lshlrev_b32_e32 v7, 20, v7
	v_and_b32_e32 v2, 0x80000000, v2
	v_lshl_add_u32 v9, v9, 23, v20
	v_or3_b32 v7, v2, v9, v7
.LBB2_760:                              ;   in Loop: Header=BB2_124 Depth=2
	s_or_b64 exec, exec, s[58:59]
.LBB2_761:                              ;   in Loop: Header=BB2_124 Depth=2
	s_or_b64 exec, exec, s[56:57]
.LBB2_762:                              ;   in Loop: Header=BB2_124 Depth=2
	s_or_b64 exec, exec, s[22:23]
	v_lshrrev_b32_e32 v2, 16, v14
	v_cmp_ne_u16_sdwa vcc, v2, v39 src0_sel:BYTE_0 src1_sel:DWORD
	s_and_saveexec_b64 s[22:23], vcc
	s_cbranch_execz .LBB2_768
; %bb.763:                              ;   in Loop: Header=BB2_124 Depth=2
	v_cmp_ne_u16_sdwa vcc, v2, s75 src0_sel:BYTE_0 src1_sel:DWORD
	v_bfrev_b32_e32 v3, 1
	s_and_saveexec_b64 s[56:57], vcc
	s_cbranch_execz .LBB2_767
; %bb.764:                              ;   in Loop: Header=BB2_124 Depth=2
	v_bfe_u32 v9, v14, 16, 7
	v_cmp_ne_u32_e32 vcc, s74, v9
	v_mov_b32_e32 v3, 0x7f800001
	s_and_saveexec_b64 s[58:59], vcc
	s_cbranch_execz .LBB2_766
; %bb.765:                              ;   in Loop: Header=BB2_124 Depth=2
	v_and_b32_e32 v22, 7, v2
	v_ffbh_u32_e32 v3, v22
	v_min_u32_e32 v24, 32, v3
	v_subrev_u32_e32 v3, 28, v24
	v_lshlrev_b64 v[2:3], v3, v[2:3]
	v_lshrrev_b32_e32 v23, 3, v9
	v_sub_u32_e32 v3, 29, v24
	v_and_b32_e32 v2, 7, v2
	v_cmp_gt_u32_e32 vcc, 8, v9
	v_cndmask_b32_e32 v3, v23, v3, vcc
	v_cndmask_b32_e32 v2, v22, v2, vcc
	v_lshlrev_b32_e32 v9, 8, v14
	v_lshlrev_b32_e32 v2, 20, v2
	v_and_b32_e32 v9, 0x80000000, v9
	v_lshl_add_u32 v3, v3, 23, v20
	v_or3_b32 v3, v9, v3, v2
.LBB2_766:                              ;   in Loop: Header=BB2_124 Depth=2
	s_or_b64 exec, exec, s[58:59]
.LBB2_767:                              ;   in Loop: Header=BB2_124 Depth=2
	s_or_b64 exec, exec, s[56:57]
.LBB2_768:                              ;   in Loop: Header=BB2_124 Depth=2
	s_or_b64 exec, exec, s[22:23]
	v_add_f32_e32 v2, v7, v3
	v_and_b32_sdwa v7, v2, s75 dst_sel:DWORD dst_unused:UNUSED_PAD src0_sel:BYTE_3 src1_sel:DWORD
	v_and_b32_e32 v22, 0x7f800000, v2
	v_mov_b32_e32 v23, v39
	v_and_b32_e32 v38, 0x7fffff, v2
	v_or_b32_e32 v25, 0x7e, v7
	v_cmp_ne_u64_e32 vcc, s[42:43], v[22:23]
	s_and_saveexec_b64 s[22:23], vcc
	s_xor_b64 s[56:57], exec, s[22:23]
	s_cbranch_execz .LBB2_778
; %bb.769:                              ;   in Loop: Header=BB2_124 Depth=2
	v_and_b32_e32 v22, 0x7fffffff, v2
	v_mov_b32_e32 v23, v39
	v_cmp_gt_u64_e32 vcc, s[44:45], v[22:23]
	s_and_saveexec_b64 s[58:59], vcc
	s_cbranch_execz .LBB2_777
; %bb.770:                              ;   in Loop: Header=BB2_124 Depth=2
	v_cmp_ne_u32_e32 vcc, 0, v2
	v_mov_b32_e32 v25, 0
	s_and_saveexec_b64 s[60:61], vcc
	s_cbranch_execz .LBB2_776
; %bb.771:                              ;   in Loop: Header=BB2_124 Depth=2
	v_bfe_u32 v2, v2, 23, 8
	v_sub_u32_e32 v9, 0x79, v2
	v_cmp_gt_u32_e32 vcc, s76, v2
	v_cndmask_b32_e32 v9, 0, v9, vcc
	v_cmp_eq_u32_e32 vcc, 0, v2
	v_add_u32_e32 v3, 0xffffff81, v2
	v_or_b32_e32 v22, 0x800000, v38
	v_mov_b32_e32 v2, 0xffffff82
	v_cndmask_b32_e32 v9, v9, v18, vcc
	v_cndmask_b32_e32 v24, v3, v2, vcc
	;; [unrolled: 1-line block ×3, first 2 shown]
	v_add_u32_e32 v2, 20, v9
	v_lshlrev_b64 v[2:3], v2, -1
	v_lshrrev_b64 v[52:53], v9, v[38:39]
	v_not_b32_e32 v3, v3
	v_not_b32_e32 v2, v2
	v_add_u32_e32 v22, 19, v9
	v_lshrrev_b32_e32 v25, 23, v52
	v_and_b32_e32 v3, 0, v3
	v_and_b32_e32 v2, v38, v2
	v_lshlrev_b64 v[22:23], v22, 1
	v_add3_u32 v25, v9, v24, v25
	v_bfe_u32 v9, v52, 20, 1
	v_add_u32_e32 v9, -1, v9
	v_cmp_eq_u64_e32 vcc, v[2:3], v[22:23]
	v_cndmask_b32_e32 v2, 0, v9, vcc
	v_add_u32_e32 v2, v2, v52
	v_and_b32_e32 v2, 0xfffff, v2
	v_add_co_u32_e32 v2, vcc, v2, v52
	v_add_u32_e32 v24, 6, v25
	v_addc_co_u32_e32 v3, vcc, 0, v53, vcc
	v_cmp_ne_u32_e32 vcc, 0, v24
                                        ; implicit-def: $vgpr9
	s_and_saveexec_b64 s[22:23], vcc
	s_xor_b64 s[22:23], exec, s[22:23]
; %bb.772:                              ;   in Loop: Header=BB2_124 Depth=2
	v_cmp_lt_u64_e32 vcc, s[48:49], v[2:3]
	v_add_u32_e32 v9, 7, v25
	v_cndmask_b32_e64 v22, 0, 1, vcc
	v_cndmask_b32_e32 v9, v24, v9, vcc
	v_lshrrev_b64 v[2:3], v22, v[2:3]
; %bb.773:                              ;   in Loop: Header=BB2_124 Depth=2
	s_andn2_saveexec_b64 s[22:23], s[22:23]
; %bb.774:                              ;   in Loop: Header=BB2_124 Depth=2
	v_bfe_u32 v9, v2, 23, 1
; %bb.775:                              ;   in Loop: Header=BB2_124 Depth=2
	s_or_b64 exec, exec, s[22:23]
	v_lshrrev_b64 v[2:3], 20, v[2:3]
	v_cmp_gt_i32_e32 vcc, 16, v9
	v_cndmask_b32_e32 v3, 0, v3, vcc
	v_cndmask_b32_e32 v2, 7, v2, vcc
	v_cmp_eq_u64_e64 s[22:23], 0, v[2:3]
	v_min_i32_e32 v3, 15, v9
	v_cmp_eq_u32_e32 vcc, 0, v9
	v_lshlrev_b32_e32 v3, 3, v3
	v_and_or_b32 v2, v2, 7, v3
	s_and_b64 s[22:23], vcc, s[22:23]
	v_cndmask_b32_e64 v2, v2, 0, s[22:23]
	v_or_b32_e32 v25, v2, v7
.LBB2_776:                              ;   in Loop: Header=BB2_124 Depth=2
	s_or_b64 exec, exec, s[60:61]
.LBB2_777:                              ;   in Loop: Header=BB2_124 Depth=2
	s_or_b64 exec, exec, s[58:59]
                                        ; implicit-def: $vgpr2
.LBB2_778:                              ;   in Loop: Header=BB2_124 Depth=2
	s_andn2_saveexec_b64 s[22:23], s[56:57]
; %bb.779:                              ;   in Loop: Header=BB2_124 Depth=2
	v_or_b32_sdwa v2, v2, s74 dst_sel:DWORD dst_unused:UNUSED_PAD src0_sel:BYTE_3 src1_sel:DWORD
	v_cmp_eq_u64_e32 vcc, 0, v[38:39]
	v_cndmask_b32_e32 v25, v2, v25, vcc
; %bb.780:                              ;   in Loop: Header=BB2_124 Depth=2
	s_or_b64 exec, exec, s[22:23]
	v_lshlrev_b32_e32 v2, 8, v30
	v_and_b32_e32 v2, 0xff00, v2
	v_cmp_ne_u32_e32 vcc, 0, v2
	v_mov_b32_e32 v3, 0
	v_mov_b32_e32 v7, 0
	s_and_saveexec_b64 s[22:23], vcc
	s_cbranch_execz .LBB2_786
; %bb.781:                              ;   in Loop: Header=BB2_124 Depth=2
	v_cmp_ne_u32_e32 vcc, s78, v2
	v_bfrev_b32_e32 v7, 1
	s_and_saveexec_b64 s[56:57], vcc
	s_cbranch_execz .LBB2_785
; %bb.782:                              ;   in Loop: Header=BB2_124 Depth=2
	v_bfe_u32 v9, v2, 8, 7
	v_cmp_ne_u32_e32 vcc, s74, v9
	v_mov_b32_e32 v7, 0x7f800001
	s_and_saveexec_b64 s[58:59], vcc
	s_cbranch_execz .LBB2_784
; %bb.783:                              ;   in Loop: Header=BB2_124 Depth=2
	v_lshrrev_b32_e32 v22, 8, v2
	v_and_b32_e32 v7, 7, v22
	v_ffbh_u32_e32 v23, v7
	v_min_u32_e32 v30, 32, v23
	v_subrev_u32_e32 v23, 28, v30
	v_lshlrev_b64 v[22:23], v23, v[22:23]
	v_lshrrev_b32_e32 v24, 3, v9
	v_sub_u32_e32 v23, 29, v30
	v_and_b32_e32 v22, 7, v22
	v_cmp_gt_u32_e32 vcc, 8, v9
	v_cndmask_b32_e32 v9, v24, v23, vcc
	v_cndmask_b32_e32 v7, v7, v22, vcc
	v_lshlrev_b32_e32 v2, 16, v2
	v_lshlrev_b32_e32 v7, 20, v7
	v_and_b32_e32 v2, 0x80000000, v2
	v_lshl_add_u32 v9, v9, 23, v20
	v_or3_b32 v7, v2, v9, v7
.LBB2_784:                              ;   in Loop: Header=BB2_124 Depth=2
	s_or_b64 exec, exec, s[58:59]
.LBB2_785:                              ;   in Loop: Header=BB2_124 Depth=2
	s_or_b64 exec, exec, s[56:57]
.LBB2_786:                              ;   in Loop: Header=BB2_124 Depth=2
	s_or_b64 exec, exec, s[22:23]
	v_cmp_lt_u32_e32 vcc, s47, v14
	s_and_saveexec_b64 s[22:23], vcc
	s_cbranch_execz .LBB2_792
; %bb.787:                              ;   in Loop: Header=BB2_124 Depth=2
	v_lshrrev_b32_e32 v2, 24, v14
	v_cmp_ne_u32_e32 vcc, s75, v2
	v_bfrev_b32_e32 v3, 1
	s_and_saveexec_b64 s[56:57], vcc
	s_cbranch_execz .LBB2_791
; %bb.788:                              ;   in Loop: Header=BB2_124 Depth=2
	v_bfe_u32 v9, v14, 24, 7
	v_cmp_ne_u32_e32 vcc, s74, v9
	v_mov_b32_e32 v3, 0x7f800001
	s_and_saveexec_b64 s[58:59], vcc
	s_cbranch_execz .LBB2_790
; %bb.789:                              ;   in Loop: Header=BB2_124 Depth=2
	v_and_b32_e32 v3, 7, v2
	v_ffbh_u32_e32 v22, v3
	v_min_u32_e32 v30, 32, v22
	v_subrev_u32_e32 v22, 28, v30
	v_lshlrev_b64 v[22:23], v22, v[2:3]
	v_lshrrev_b32_e32 v24, 3, v9
	v_sub_u32_e32 v23, 29, v30
	v_and_b32_e32 v22, 7, v22
	v_cmp_gt_u32_e32 vcc, 8, v9
	v_cndmask_b32_e32 v9, v24, v23, vcc
	v_cndmask_b32_e32 v3, v3, v22, vcc
	v_lshlrev_b32_e32 v2, 24, v2
	v_lshlrev_b32_e32 v3, 20, v3
	v_and_b32_e32 v2, 0x80000000, v2
	v_lshl_add_u32 v9, v9, 23, v20
	v_or3_b32 v3, v2, v9, v3
.LBB2_790:                              ;   in Loop: Header=BB2_124 Depth=2
	s_or_b64 exec, exec, s[58:59]
.LBB2_791:                              ;   in Loop: Header=BB2_124 Depth=2
	s_or_b64 exec, exec, s[56:57]
.LBB2_792:                              ;   in Loop: Header=BB2_124 Depth=2
	s_or_b64 exec, exec, s[22:23]
	v_add_f32_e32 v2, v7, v3
	v_and_b32_sdwa v7, v2, s75 dst_sel:DWORD dst_unused:UNUSED_PAD src0_sel:BYTE_3 src1_sel:DWORD
	v_and_b32_e32 v22, 0x7f800000, v2
	v_mov_b32_e32 v23, v39
	v_and_b32_e32 v38, 0x7fffff, v2
	v_or_b32_e32 v30, 0x7e, v7
	v_cmp_ne_u64_e32 vcc, s[42:43], v[22:23]
	s_and_saveexec_b64 s[22:23], vcc
	s_xor_b64 s[56:57], exec, s[22:23]
	s_cbranch_execz .LBB2_802
; %bb.793:                              ;   in Loop: Header=BB2_124 Depth=2
	v_and_b32_e32 v22, 0x7fffffff, v2
	v_mov_b32_e32 v23, v39
	v_cmp_gt_u64_e32 vcc, s[44:45], v[22:23]
	s_and_saveexec_b64 s[58:59], vcc
	s_cbranch_execz .LBB2_801
; %bb.794:                              ;   in Loop: Header=BB2_124 Depth=2
	v_cmp_ne_u32_e32 vcc, 0, v2
	v_mov_b32_e32 v30, 0
	s_and_saveexec_b64 s[60:61], vcc
	s_cbranch_execz .LBB2_800
; %bb.795:                              ;   in Loop: Header=BB2_124 Depth=2
	v_bfe_u32 v2, v2, 23, 8
	v_sub_u32_e32 v9, 0x79, v2
	v_cmp_gt_u32_e32 vcc, s76, v2
	v_cndmask_b32_e32 v9, 0, v9, vcc
	v_cmp_eq_u32_e32 vcc, 0, v2
	v_add_u32_e32 v3, 0xffffff81, v2
	v_or_b32_e32 v22, 0x800000, v38
	v_mov_b32_e32 v2, 0xffffff82
	v_cndmask_b32_e32 v9, v9, v18, vcc
	v_cndmask_b32_e32 v24, v3, v2, vcc
	;; [unrolled: 1-line block ×3, first 2 shown]
	v_add_u32_e32 v2, 20, v9
	v_lshlrev_b64 v[2:3], v2, -1
	v_lshrrev_b64 v[52:53], v9, v[38:39]
	v_not_b32_e32 v3, v3
	v_not_b32_e32 v2, v2
	v_add_u32_e32 v22, 19, v9
	v_lshrrev_b32_e32 v30, 23, v52
	v_and_b32_e32 v3, 0, v3
	v_and_b32_e32 v2, v38, v2
	v_lshlrev_b64 v[22:23], v22, 1
	v_add3_u32 v30, v9, v24, v30
	v_bfe_u32 v9, v52, 20, 1
	v_add_u32_e32 v9, -1, v9
	v_cmp_eq_u64_e32 vcc, v[2:3], v[22:23]
	v_cndmask_b32_e32 v2, 0, v9, vcc
	v_add_u32_e32 v2, v2, v52
	v_and_b32_e32 v2, 0xfffff, v2
	v_add_co_u32_e32 v2, vcc, v2, v52
	v_add_u32_e32 v24, 6, v30
	v_addc_co_u32_e32 v3, vcc, 0, v53, vcc
	v_cmp_ne_u32_e32 vcc, 0, v24
                                        ; implicit-def: $vgpr9
	s_and_saveexec_b64 s[22:23], vcc
	s_xor_b64 s[22:23], exec, s[22:23]
; %bb.796:                              ;   in Loop: Header=BB2_124 Depth=2
	v_cmp_lt_u64_e32 vcc, s[48:49], v[2:3]
	v_add_u32_e32 v9, 7, v30
	v_cndmask_b32_e64 v22, 0, 1, vcc
	v_cndmask_b32_e32 v9, v24, v9, vcc
	v_lshrrev_b64 v[2:3], v22, v[2:3]
; %bb.797:                              ;   in Loop: Header=BB2_124 Depth=2
	s_andn2_saveexec_b64 s[22:23], s[22:23]
; %bb.798:                              ;   in Loop: Header=BB2_124 Depth=2
	v_bfe_u32 v9, v2, 23, 1
; %bb.799:                              ;   in Loop: Header=BB2_124 Depth=2
	s_or_b64 exec, exec, s[22:23]
	v_lshrrev_b64 v[2:3], 20, v[2:3]
	v_cmp_gt_i32_e32 vcc, 16, v9
	v_cndmask_b32_e32 v3, 0, v3, vcc
	v_cndmask_b32_e32 v2, 7, v2, vcc
	v_cmp_eq_u64_e64 s[22:23], 0, v[2:3]
	v_min_i32_e32 v3, 15, v9
	v_cmp_eq_u32_e32 vcc, 0, v9
	v_lshlrev_b32_e32 v3, 3, v3
	v_and_or_b32 v2, v2, 7, v3
	s_and_b64 s[22:23], vcc, s[22:23]
	v_cndmask_b32_e64 v2, v2, 0, s[22:23]
	v_or_b32_e32 v30, v2, v7
.LBB2_800:                              ;   in Loop: Header=BB2_124 Depth=2
	s_or_b64 exec, exec, s[60:61]
.LBB2_801:                              ;   in Loop: Header=BB2_124 Depth=2
	s_or_b64 exec, exec, s[58:59]
                                        ; implicit-def: $vgpr2
.LBB2_802:                              ;   in Loop: Header=BB2_124 Depth=2
	s_andn2_saveexec_b64 s[22:23], s[56:57]
; %bb.803:                              ;   in Loop: Header=BB2_124 Depth=2
	v_or_b32_sdwa v2, v2, s74 dst_sel:DWORD dst_unused:UNUSED_PAD src0_sel:BYTE_3 src1_sel:DWORD
	v_cmp_eq_u64_e32 vcc, 0, v[38:39]
	v_cndmask_b32_e32 v30, v2, v30, vcc
; %bb.804:                              ;   in Loop: Header=BB2_124 Depth=2
	s_or_b64 exec, exec, s[22:23]
	v_lshlrev_b32_e32 v6, 8, v6
	v_lshlrev_b32_e32 v2, 24, v37
	v_perm_b32 v3, v8, v62, s79
	v_or3_b32 v38, v3, v2, v6
	v_cmp_ne_u16_sdwa vcc, v62, v39 src0_sel:BYTE_0 src1_sel:DWORD
	v_mov_b32_e32 v3, 0
	v_mov_b32_e32 v2, 0
	s_and_saveexec_b64 s[22:23], vcc
	s_cbranch_execz .LBB2_810
; %bb.805:                              ;   in Loop: Header=BB2_124 Depth=2
	v_cmp_ne_u16_sdwa vcc, v62, s75 src0_sel:BYTE_0 src1_sel:DWORD
	v_bfrev_b32_e32 v2, 1
	s_and_saveexec_b64 s[56:57], vcc
	s_cbranch_execz .LBB2_809
; %bb.806:                              ;   in Loop: Header=BB2_124 Depth=2
	v_and_b32_e32 v7, 0x7f, v62
	v_cmp_ne_u32_e32 vcc, s74, v7
	v_mov_b32_e32 v2, 0x7f800001
	s_and_saveexec_b64 s[58:59], vcc
	s_cbranch_execz .LBB2_808
; %bb.807:                              ;   in Loop: Header=BB2_124 Depth=2
	v_and_b32_e32 v2, 7, v62
	v_ffbh_u32_e32 v2, v2
	v_min_u32_e32 v2, 32, v2
	v_subrev_u32_e32 v9, 28, v2
	v_cmp_gt_u32_e32 vcc, 8, v7
	v_lshrrev_b32_e32 v8, 3, v7
	v_sub_u32_e32 v2, 29, v2
	v_cndmask_b32_e32 v7, 0, v9, vcc
	v_cndmask_b32_e32 v2, v8, v2, vcc
	v_lshlrev_b64 v[8:9], v7, v[38:39]
	v_lshlrev_b32_e32 v7, 20, v8
	v_lshlrev_b32_e32 v8, 24, v38
	v_and_b32_e32 v7, 0x700000, v7
	v_and_b32_e32 v8, 0x80000000, v8
	v_lshl_add_u32 v2, v2, 23, v20
	v_or3_b32 v2, v8, v2, v7
.LBB2_808:                              ;   in Loop: Header=BB2_124 Depth=2
	s_or_b64 exec, exec, s[58:59]
.LBB2_809:                              ;   in Loop: Header=BB2_124 Depth=2
	s_or_b64 exec, exec, s[56:57]
.LBB2_810:                              ;   in Loop: Header=BB2_124 Depth=2
	s_or_b64 exec, exec, s[22:23]
	v_cmp_ne_u16_sdwa vcc, v15, v39 src0_sel:BYTE_0 src1_sel:DWORD
	s_and_saveexec_b64 s[22:23], vcc
	s_cbranch_execz .LBB2_816
; %bb.811:                              ;   in Loop: Header=BB2_124 Depth=2
	v_cmp_ne_u16_sdwa vcc, v15, s75 src0_sel:BYTE_0 src1_sel:DWORD
	v_bfrev_b32_e32 v3, 1
	s_and_saveexec_b64 s[56:57], vcc
	s_cbranch_execz .LBB2_815
; %bb.812:                              ;   in Loop: Header=BB2_124 Depth=2
	v_and_b32_e32 v7, 0x7f, v15
	v_cmp_ne_u32_e32 vcc, s74, v7
	v_mov_b32_e32 v3, 0x7f800001
	s_and_saveexec_b64 s[58:59], vcc
	s_cbranch_execz .LBB2_814
; %bb.813:                              ;   in Loop: Header=BB2_124 Depth=2
	v_and_b32_e32 v3, 7, v15
	v_ffbh_u32_e32 v3, v3
	v_min_u32_e32 v3, 32, v3
	v_subrev_u32_e32 v23, 28, v3
	v_cmp_gt_u32_e32 vcc, 8, v7
	v_mov_b32_e32 v8, v15
	v_mov_b32_e32 v9, v39
	v_lshrrev_b32_e32 v22, 3, v7
	v_sub_u32_e32 v3, 29, v3
	v_cndmask_b32_e32 v7, 0, v23, vcc
	v_cndmask_b32_e32 v3, v22, v3, vcc
	v_lshlrev_b64 v[22:23], v7, v[8:9]
	v_lshlrev_b32_e32 v7, 20, v22
	v_lshlrev_b32_e32 v8, 24, v8
	v_and_b32_e32 v7, 0x700000, v7
	v_and_b32_e32 v8, 0x80000000, v8
	v_lshl_add_u32 v3, v3, 23, v20
	v_or3_b32 v3, v8, v3, v7
.LBB2_814:                              ;   in Loop: Header=BB2_124 Depth=2
	s_or_b64 exec, exec, s[58:59]
.LBB2_815:                              ;   in Loop: Header=BB2_124 Depth=2
	s_or_b64 exec, exec, s[56:57]
.LBB2_816:                              ;   in Loop: Header=BB2_124 Depth=2
	s_or_b64 exec, exec, s[22:23]
	v_add_f32_e32 v8, v2, v3
	v_and_b32_sdwa v7, v8, s75 dst_sel:DWORD dst_unused:UNUSED_PAD src0_sel:BYTE_3 src1_sel:DWORD
	v_and_b32_e32 v22, 0x7f800000, v8
	v_mov_b32_e32 v23, v39
	v_and_b32_e32 v2, 0x7fffff, v8
	v_mov_b32_e32 v3, v39
	v_or_b32_e32 v62, 0x7e, v7
	v_cmp_ne_u64_e32 vcc, s[42:43], v[22:23]
	s_and_saveexec_b64 s[22:23], vcc
	s_xor_b64 s[56:57], exec, s[22:23]
	s_cbranch_execz .LBB2_826
; %bb.817:                              ;   in Loop: Header=BB2_124 Depth=2
	v_and_b32_e32 v22, 0x7fffffff, v8
	v_mov_b32_e32 v23, v39
	v_cmp_gt_u64_e32 vcc, s[44:45], v[22:23]
	s_and_saveexec_b64 s[58:59], vcc
	s_cbranch_execz .LBB2_825
; %bb.818:                              ;   in Loop: Header=BB2_124 Depth=2
	v_cmp_ne_u32_e32 vcc, 0, v8
	v_mov_b32_e32 v62, 0
	s_and_saveexec_b64 s[60:61], vcc
	s_cbranch_execz .LBB2_824
; %bb.819:                              ;   in Loop: Header=BB2_124 Depth=2
	v_bfe_u32 v8, v8, 23, 8
	v_sub_u32_e32 v22, 0x79, v8
	v_cmp_gt_u32_e32 vcc, s76, v8
	v_cndmask_b32_e32 v22, 0, v22, vcc
	v_cmp_eq_u32_e32 vcc, 0, v8
	v_add_u32_e32 v9, 0xffffff81, v8
	v_mov_b32_e32 v8, 0xffffff82
	v_cndmask_b32_e32 v37, v22, v18, vcc
	v_cndmask_b32_e32 v24, v9, v8, vcc
	v_add_u32_e32 v8, 20, v37
	v_or_b32_e32 v23, 0x800000, v2
	v_lshlrev_b64 v[8:9], v8, -1
	v_cndmask_b32_e32 v2, v23, v2, vcc
	v_not_b32_e32 v8, v8
	v_and_b32_e32 v22, v2, v8
	v_add_u32_e32 v8, 19, v37
	v_lshrrev_b64 v[2:3], v37, v[2:3]
	v_not_b32_e32 v9, v9
	v_lshlrev_b64 v[52:53], v8, 1
	v_lshrrev_b32_e32 v8, 23, v2
	v_and_b32_e32 v23, 0, v9
	v_add3_u32 v24, v37, v24, v8
	v_bfe_u32 v8, v2, 20, 1
	v_add_u32_e32 v8, -1, v8
	v_cmp_eq_u64_e32 vcc, v[22:23], v[52:53]
	v_cndmask_b32_e32 v8, 0, v8, vcc
	v_add_u32_e32 v8, v8, v2
	v_and_b32_e32 v8, 0xfffff, v8
	v_add_co_u32_e32 v2, vcc, v8, v2
	v_add_u32_e32 v9, 6, v24
	v_addc_co_u32_e32 v3, vcc, 0, v3, vcc
	v_cmp_ne_u32_e32 vcc, 0, v9
                                        ; implicit-def: $vgpr8
	s_and_saveexec_b64 s[22:23], vcc
	s_xor_b64 s[22:23], exec, s[22:23]
; %bb.820:                              ;   in Loop: Header=BB2_124 Depth=2
	v_add_u32_e32 v8, 7, v24
	v_cmp_lt_u64_e32 vcc, s[48:49], v[2:3]
	v_cndmask_b32_e32 v8, v9, v8, vcc
	v_cndmask_b32_e64 v9, 0, 1, vcc
	v_lshrrev_b64 v[2:3], v9, v[2:3]
; %bb.821:                              ;   in Loop: Header=BB2_124 Depth=2
	s_andn2_saveexec_b64 s[22:23], s[22:23]
; %bb.822:                              ;   in Loop: Header=BB2_124 Depth=2
	v_bfe_u32 v8, v2, 23, 1
; %bb.823:                              ;   in Loop: Header=BB2_124 Depth=2
	s_or_b64 exec, exec, s[22:23]
	v_lshrrev_b64 v[2:3], 20, v[2:3]
	v_cmp_gt_i32_e32 vcc, 16, v8
	v_cndmask_b32_e32 v3, 0, v3, vcc
	v_cndmask_b32_e32 v2, 7, v2, vcc
	v_cmp_eq_u64_e64 s[22:23], 0, v[2:3]
	v_min_i32_e32 v3, 15, v8
	v_cmp_eq_u32_e32 vcc, 0, v8
	v_lshlrev_b32_e32 v3, 3, v3
	v_and_or_b32 v2, v2, 7, v3
	s_and_b64 s[22:23], vcc, s[22:23]
	v_cndmask_b32_e64 v2, v2, 0, s[22:23]
	v_or_b32_e32 v62, v2, v7
.LBB2_824:                              ;   in Loop: Header=BB2_124 Depth=2
	s_or_b64 exec, exec, s[60:61]
.LBB2_825:                              ;   in Loop: Header=BB2_124 Depth=2
	s_or_b64 exec, exec, s[58:59]
                                        ; implicit-def: $vgpr8
                                        ; implicit-def: $vgpr2_vgpr3
.LBB2_826:                              ;   in Loop: Header=BB2_124 Depth=2
	s_andn2_saveexec_b64 s[22:23], s[56:57]
; %bb.827:                              ;   in Loop: Header=BB2_124 Depth=2
	v_or_b32_sdwa v7, v8, s74 dst_sel:DWORD dst_unused:UNUSED_PAD src0_sel:BYTE_3 src1_sel:DWORD
	v_cmp_eq_u64_e32 vcc, 0, v[2:3]
	v_cndmask_b32_e32 v62, v7, v62, vcc
; %bb.828:                              ;   in Loop: Header=BB2_124 Depth=2
	s_or_b64 exec, exec, s[22:23]
	v_lshrrev_b16_e32 v2, 8, v6
	v_cmp_ne_u16_e32 vcc, 0, v2
	v_mov_b32_e32 v3, 0
	v_mov_b32_e32 v7, 0
	s_and_saveexec_b64 s[22:23], vcc
	s_cbranch_execz .LBB2_834
; %bb.829:                              ;   in Loop: Header=BB2_124 Depth=2
	v_cmp_ne_u16_e32 vcc, s75, v2
	v_bfrev_b32_e32 v7, 1
	s_and_saveexec_b64 s[56:57], vcc
	s_cbranch_execz .LBB2_833
; %bb.830:                              ;   in Loop: Header=BB2_124 Depth=2
	v_and_b32_e32 v8, 0x7f, v2
	v_cmp_ne_u32_e32 vcc, s74, v8
	v_mov_b32_e32 v7, 0x7f800001
	s_and_saveexec_b64 s[58:59], vcc
	s_cbranch_execz .LBB2_832
; %bb.831:                              ;   in Loop: Header=BB2_124 Depth=2
	v_and_b32_e32 v7, 7, v2
	v_ffbh_u32_e32 v22, v7
	v_min_u32_e32 v24, 32, v22
	v_subrev_u32_e32 v22, 28, v24
	v_lshlrev_b64 v[22:23], v22, v[2:3]
	v_lshrrev_b32_e32 v9, 3, v8
	v_sub_u32_e32 v2, 29, v24
	v_and_b32_e32 v22, 7, v22
	v_cmp_gt_u32_e32 vcc, 8, v8
	v_cndmask_b32_e32 v2, v9, v2, vcc
	v_cndmask_b32_e32 v7, v7, v22, vcc
	v_lshlrev_b32_e32 v6, 16, v6
	v_lshlrev_b32_e32 v7, 20, v7
	v_and_b32_e32 v6, 0x80000000, v6
	v_lshl_add_u32 v2, v2, 23, v20
	v_or3_b32 v7, v6, v2, v7
.LBB2_832:                              ;   in Loop: Header=BB2_124 Depth=2
	s_or_b64 exec, exec, s[58:59]
.LBB2_833:                              ;   in Loop: Header=BB2_124 Depth=2
	s_or_b64 exec, exec, s[56:57]
.LBB2_834:                              ;   in Loop: Header=BB2_124 Depth=2
	s_or_b64 exec, exec, s[22:23]
	v_mov_b32_e32 v2, v15
	v_lshrrev_b16_e32 v24, 8, v2
	v_cmp_ne_u16_e32 vcc, 0, v24
	s_and_saveexec_b64 s[22:23], vcc
	s_cbranch_execz .LBB2_840
; %bb.835:                              ;   in Loop: Header=BB2_124 Depth=2
	v_cmp_ne_u16_e32 vcc, s75, v24
	v_bfrev_b32_e32 v3, 1
	s_and_saveexec_b64 s[56:57], vcc
	s_cbranch_execz .LBB2_839
; %bb.836:                              ;   in Loop: Header=BB2_124 Depth=2
	v_and_b32_e32 v6, 0x7f, v24
	v_cmp_ne_u32_e32 vcc, s74, v6
	v_mov_b32_e32 v3, 0x7f800001
	s_and_saveexec_b64 s[58:59], vcc
	s_cbranch_execz .LBB2_838
; %bb.837:                              ;   in Loop: Header=BB2_124 Depth=2
	v_and_b32_e32 v3, 7, v24
	v_ffbh_u32_e32 v8, v3
	v_min_u32_e32 v23, 32, v8
	v_subrev_u32_e32 v8, 28, v23
	v_lshlrev_b64 v[8:9], v8, v[24:25]
	v_lshrrev_b32_e32 v22, 3, v6
	v_sub_u32_e32 v9, 29, v23
	v_and_b32_e32 v8, 7, v8
	v_cmp_gt_u32_e32 vcc, 8, v6
	v_cndmask_b32_e32 v6, v22, v9, vcc
	v_cndmask_b32_e32 v3, v3, v8, vcc
	v_lshlrev_b32_e32 v2, 16, v2
	v_lshlrev_b32_e32 v3, 20, v3
	v_and_b32_e32 v2, 0x80000000, v2
	v_lshl_add_u32 v6, v6, 23, v20
	v_or3_b32 v3, v2, v6, v3
.LBB2_838:                              ;   in Loop: Header=BB2_124 Depth=2
	s_or_b64 exec, exec, s[58:59]
.LBB2_839:                              ;   in Loop: Header=BB2_124 Depth=2
	s_or_b64 exec, exec, s[56:57]
.LBB2_840:                              ;   in Loop: Header=BB2_124 Depth=2
	s_or_b64 exec, exec, s[22:23]
	v_add_f32_e32 v7, v7, v3
	v_and_b32_sdwa v6, v7, s75 dst_sel:DWORD dst_unused:UNUSED_PAD src0_sel:BYTE_3 src1_sel:DWORD
	v_and_b32_e32 v8, 0x7f800000, v7
	v_mov_b32_e32 v9, v39
	v_and_b32_e32 v2, 0x7fffff, v7
	v_mov_b32_e32 v3, v39
	v_or_b32_e32 v24, 0x7e, v6
	v_cmp_ne_u64_e32 vcc, s[42:43], v[8:9]
	s_and_saveexec_b64 s[22:23], vcc
	s_xor_b64 s[56:57], exec, s[22:23]
	s_cbranch_execz .LBB2_850
; %bb.841:                              ;   in Loop: Header=BB2_124 Depth=2
	v_and_b32_e32 v8, 0x7fffffff, v7
	v_mov_b32_e32 v9, v39
	v_cmp_gt_u64_e32 vcc, s[44:45], v[8:9]
	s_and_saveexec_b64 s[58:59], vcc
	s_cbranch_execz .LBB2_849
; %bb.842:                              ;   in Loop: Header=BB2_124 Depth=2
	v_cmp_ne_u32_e32 vcc, 0, v7
	v_mov_b32_e32 v24, 0
	s_and_saveexec_b64 s[60:61], vcc
	s_cbranch_execz .LBB2_848
; %bb.843:                              ;   in Loop: Header=BB2_124 Depth=2
	v_bfe_u32 v7, v7, 23, 8
	v_sub_u32_e32 v9, 0x79, v7
	v_cmp_gt_u32_e32 vcc, s76, v7
	v_cndmask_b32_e32 v9, 0, v9, vcc
	v_cmp_eq_u32_e32 vcc, 0, v7
	v_add_u32_e32 v8, 0xffffff81, v7
	v_mov_b32_e32 v7, 0xffffff82
	v_cndmask_b32_e32 v24, v9, v18, vcc
	v_cndmask_b32_e32 v7, v8, v7, vcc
	v_add_u32_e32 v8, 20, v24
	v_or_b32_e32 v22, 0x800000, v2
	v_lshlrev_b64 v[8:9], v8, -1
	v_cndmask_b32_e32 v2, v22, v2, vcc
	v_not_b32_e32 v8, v8
	v_and_b32_e32 v22, v2, v8
	v_add_u32_e32 v8, 19, v24
	v_lshrrev_b64 v[2:3], v24, v[2:3]
	v_not_b32_e32 v9, v9
	v_lshlrev_b64 v[52:53], v8, 1
	v_lshrrev_b32_e32 v8, 23, v2
	v_and_b32_e32 v23, 0, v9
	v_add3_u32 v9, v24, v7, v8
	v_bfe_u32 v7, v2, 20, 1
	v_add_u32_e32 v7, -1, v7
	v_cmp_eq_u64_e32 vcc, v[22:23], v[52:53]
	v_cndmask_b32_e32 v7, 0, v7, vcc
	v_add_u32_e32 v7, v7, v2
	v_and_b32_e32 v7, 0xfffff, v7
	v_add_co_u32_e32 v2, vcc, v7, v2
	v_add_u32_e32 v8, 6, v9
	v_addc_co_u32_e32 v3, vcc, 0, v3, vcc
	v_cmp_ne_u32_e32 vcc, 0, v8
                                        ; implicit-def: $vgpr7
	s_and_saveexec_b64 s[22:23], vcc
	s_xor_b64 s[22:23], exec, s[22:23]
; %bb.844:                              ;   in Loop: Header=BB2_124 Depth=2
	v_add_u32_e32 v7, 7, v9
	v_cmp_lt_u64_e32 vcc, s[48:49], v[2:3]
	v_cndmask_b32_e32 v7, v8, v7, vcc
	v_cndmask_b32_e64 v8, 0, 1, vcc
	v_lshrrev_b64 v[2:3], v8, v[2:3]
; %bb.845:                              ;   in Loop: Header=BB2_124 Depth=2
	s_andn2_saveexec_b64 s[22:23], s[22:23]
; %bb.846:                              ;   in Loop: Header=BB2_124 Depth=2
	v_bfe_u32 v7, v2, 23, 1
; %bb.847:                              ;   in Loop: Header=BB2_124 Depth=2
	s_or_b64 exec, exec, s[22:23]
	v_lshrrev_b64 v[2:3], 20, v[2:3]
	v_cmp_gt_i32_e32 vcc, 16, v7
	v_cndmask_b32_e32 v3, 0, v3, vcc
	v_cndmask_b32_e32 v2, 7, v2, vcc
	v_cmp_eq_u64_e64 s[22:23], 0, v[2:3]
	v_min_i32_e32 v3, 15, v7
	v_cmp_eq_u32_e32 vcc, 0, v7
	v_lshlrev_b32_e32 v3, 3, v3
	v_and_or_b32 v2, v2, 7, v3
	s_and_b64 s[22:23], vcc, s[22:23]
	v_cndmask_b32_e64 v2, v2, 0, s[22:23]
	v_or_b32_e32 v24, v2, v6
.LBB2_848:                              ;   in Loop: Header=BB2_124 Depth=2
	s_or_b64 exec, exec, s[60:61]
.LBB2_849:                              ;   in Loop: Header=BB2_124 Depth=2
	s_or_b64 exec, exec, s[58:59]
                                        ; implicit-def: $vgpr7
                                        ; implicit-def: $vgpr2_vgpr3
.LBB2_850:                              ;   in Loop: Header=BB2_124 Depth=2
	s_andn2_saveexec_b64 s[22:23], s[56:57]
; %bb.851:                              ;   in Loop: Header=BB2_124 Depth=2
	v_or_b32_sdwa v6, v7, s74 dst_sel:DWORD dst_unused:UNUSED_PAD src0_sel:BYTE_3 src1_sel:DWORD
	v_cmp_eq_u64_e32 vcc, 0, v[2:3]
	v_cndmask_b32_e32 v24, v6, v24, vcc
; %bb.852:                              ;   in Loop: Header=BB2_124 Depth=2
	s_or_b64 exec, exec, s[22:23]
	v_lshrrev_b32_e32 v2, 16, v38
	v_cmp_ne_u16_sdwa vcc, v2, v39 src0_sel:BYTE_0 src1_sel:DWORD
	v_mov_b32_e32 v3, 0
	v_mov_b32_e32 v6, 0
	s_and_saveexec_b64 s[22:23], vcc
	s_cbranch_execz .LBB2_858
; %bb.853:                              ;   in Loop: Header=BB2_124 Depth=2
	v_cmp_ne_u16_sdwa vcc, v2, s75 src0_sel:BYTE_0 src1_sel:DWORD
	v_bfrev_b32_e32 v6, 1
	s_and_saveexec_b64 s[56:57], vcc
	s_cbranch_execz .LBB2_857
; %bb.854:                              ;   in Loop: Header=BB2_124 Depth=2
	v_bfe_u32 v7, v38, 16, 7
	v_cmp_ne_u32_e32 vcc, s74, v7
	v_mov_b32_e32 v6, 0x7f800001
	s_and_saveexec_b64 s[58:59], vcc
	s_cbranch_execz .LBB2_856
; %bb.855:                              ;   in Loop: Header=BB2_124 Depth=2
	v_and_b32_e32 v6, 7, v2
	v_ffbh_u32_e32 v8, v6
	v_min_u32_e32 v23, 32, v8
	v_subrev_u32_e32 v8, 28, v23
	v_lshlrev_b64 v[8:9], v8, v[2:3]
	v_lshrrev_b32_e32 v22, 3, v7
	v_sub_u32_e32 v9, 29, v23
	v_and_b32_e32 v8, 7, v8
	v_cmp_gt_u32_e32 vcc, 8, v7
	v_cndmask_b32_e32 v7, v22, v9, vcc
	v_cndmask_b32_e32 v6, v6, v8, vcc
	v_lshlrev_b32_e32 v2, 24, v2
	v_lshlrev_b32_e32 v6, 20, v6
	v_and_b32_e32 v2, 0x80000000, v2
	v_lshl_add_u32 v7, v7, 23, v20
	v_or3_b32 v6, v2, v7, v6
.LBB2_856:                              ;   in Loop: Header=BB2_124 Depth=2
	s_or_b64 exec, exec, s[58:59]
.LBB2_857:                              ;   in Loop: Header=BB2_124 Depth=2
	s_or_b64 exec, exec, s[56:57]
.LBB2_858:                              ;   in Loop: Header=BB2_124 Depth=2
	s_or_b64 exec, exec, s[22:23]
	v_lshrrev_b32_e32 v2, 16, v15
	v_cmp_ne_u16_sdwa vcc, v2, v39 src0_sel:BYTE_0 src1_sel:DWORD
	s_and_saveexec_b64 s[22:23], vcc
	s_cbranch_execz .LBB2_864
; %bb.859:                              ;   in Loop: Header=BB2_124 Depth=2
	v_cmp_ne_u16_sdwa vcc, v2, s75 src0_sel:BYTE_0 src1_sel:DWORD
	v_bfrev_b32_e32 v3, 1
	s_and_saveexec_b64 s[56:57], vcc
	s_cbranch_execz .LBB2_863
; %bb.860:                              ;   in Loop: Header=BB2_124 Depth=2
	v_bfe_u32 v7, v15, 16, 7
	v_cmp_ne_u32_e32 vcc, s74, v7
	v_mov_b32_e32 v3, 0x7f800001
	s_and_saveexec_b64 s[58:59], vcc
	s_cbranch_execz .LBB2_862
; %bb.861:                              ;   in Loop: Header=BB2_124 Depth=2
	v_and_b32_e32 v8, 7, v2
	v_ffbh_u32_e32 v3, v8
	v_min_u32_e32 v22, 32, v3
	v_subrev_u32_e32 v3, 28, v22
	v_lshlrev_b64 v[2:3], v3, v[2:3]
	v_lshrrev_b32_e32 v9, 3, v7
	v_sub_u32_e32 v3, 29, v22
	v_and_b32_e32 v2, 7, v2
	v_cmp_gt_u32_e32 vcc, 8, v7
	v_cndmask_b32_e32 v3, v9, v3, vcc
	v_cndmask_b32_e32 v2, v8, v2, vcc
	v_lshlrev_b32_e32 v7, 8, v15
	v_lshlrev_b32_e32 v2, 20, v2
	v_and_b32_e32 v7, 0x80000000, v7
	v_lshl_add_u32 v3, v3, 23, v20
	v_or3_b32 v3, v7, v3, v2
.LBB2_862:                              ;   in Loop: Header=BB2_124 Depth=2
	s_or_b64 exec, exec, s[58:59]
.LBB2_863:                              ;   in Loop: Header=BB2_124 Depth=2
	s_or_b64 exec, exec, s[56:57]
.LBB2_864:                              ;   in Loop: Header=BB2_124 Depth=2
	s_or_b64 exec, exec, s[22:23]
	v_add_f32_e32 v7, v6, v3
	v_and_b32_sdwa v6, v7, s75 dst_sel:DWORD dst_unused:UNUSED_PAD src0_sel:BYTE_3 src1_sel:DWORD
	v_and_b32_e32 v8, 0x7f800000, v7
	v_mov_b32_e32 v9, v39
	v_and_b32_e32 v2, 0x7fffff, v7
	v_mov_b32_e32 v3, v39
	v_or_b32_e32 v37, 0x7e, v6
	v_cmp_ne_u64_e32 vcc, s[42:43], v[8:9]
	s_and_saveexec_b64 s[22:23], vcc
	s_xor_b64 s[56:57], exec, s[22:23]
	s_cbranch_execz .LBB2_874
; %bb.865:                              ;   in Loop: Header=BB2_124 Depth=2
	v_and_b32_e32 v8, 0x7fffffff, v7
	v_mov_b32_e32 v9, v39
	v_cmp_gt_u64_e32 vcc, s[44:45], v[8:9]
	s_and_saveexec_b64 s[58:59], vcc
	s_cbranch_execz .LBB2_873
; %bb.866:                              ;   in Loop: Header=BB2_124 Depth=2
	v_cmp_ne_u32_e32 vcc, 0, v7
	v_mov_b32_e32 v37, 0
	s_and_saveexec_b64 s[60:61], vcc
	s_cbranch_execz .LBB2_872
; %bb.867:                              ;   in Loop: Header=BB2_124 Depth=2
	v_bfe_u32 v7, v7, 23, 8
	v_sub_u32_e32 v9, 0x79, v7
	v_cmp_gt_u32_e32 vcc, s76, v7
	v_cndmask_b32_e32 v9, 0, v9, vcc
	v_cmp_eq_u32_e32 vcc, 0, v7
	v_add_u32_e32 v8, 0xffffff81, v7
	v_mov_b32_e32 v7, 0xffffff82
	v_cndmask_b32_e32 v37, v9, v18, vcc
	v_cndmask_b32_e32 v7, v8, v7, vcc
	v_add_u32_e32 v8, 20, v37
	v_or_b32_e32 v22, 0x800000, v2
	v_lshlrev_b64 v[8:9], v8, -1
	v_cndmask_b32_e32 v2, v22, v2, vcc
	v_not_b32_e32 v8, v8
	v_and_b32_e32 v22, v2, v8
	v_add_u32_e32 v8, 19, v37
	v_lshrrev_b64 v[2:3], v37, v[2:3]
	v_not_b32_e32 v9, v9
	v_lshlrev_b64 v[52:53], v8, 1
	v_lshrrev_b32_e32 v8, 23, v2
	v_and_b32_e32 v23, 0, v9
	v_add3_u32 v9, v37, v7, v8
	v_bfe_u32 v7, v2, 20, 1
	v_add_u32_e32 v7, -1, v7
	v_cmp_eq_u64_e32 vcc, v[22:23], v[52:53]
	v_cndmask_b32_e32 v7, 0, v7, vcc
	v_add_u32_e32 v7, v7, v2
	v_and_b32_e32 v7, 0xfffff, v7
	v_add_co_u32_e32 v2, vcc, v7, v2
	v_add_u32_e32 v8, 6, v9
	v_addc_co_u32_e32 v3, vcc, 0, v3, vcc
	v_cmp_ne_u32_e32 vcc, 0, v8
                                        ; implicit-def: $vgpr7
	s_and_saveexec_b64 s[22:23], vcc
	s_xor_b64 s[22:23], exec, s[22:23]
; %bb.868:                              ;   in Loop: Header=BB2_124 Depth=2
	v_add_u32_e32 v7, 7, v9
	v_cmp_lt_u64_e32 vcc, s[48:49], v[2:3]
	v_cndmask_b32_e32 v7, v8, v7, vcc
	v_cndmask_b32_e64 v8, 0, 1, vcc
	v_lshrrev_b64 v[2:3], v8, v[2:3]
; %bb.869:                              ;   in Loop: Header=BB2_124 Depth=2
	s_andn2_saveexec_b64 s[22:23], s[22:23]
; %bb.870:                              ;   in Loop: Header=BB2_124 Depth=2
	v_bfe_u32 v7, v2, 23, 1
; %bb.871:                              ;   in Loop: Header=BB2_124 Depth=2
	s_or_b64 exec, exec, s[22:23]
	v_lshrrev_b64 v[2:3], 20, v[2:3]
	v_cmp_gt_i32_e32 vcc, 16, v7
	v_cndmask_b32_e32 v3, 0, v3, vcc
	v_cndmask_b32_e32 v2, 7, v2, vcc
	v_cmp_eq_u64_e64 s[22:23], 0, v[2:3]
	v_min_i32_e32 v3, 15, v7
	v_lshlrev_b32_e32 v3, 3, v3
	v_cmp_eq_u32_e32 vcc, 0, v7
	v_and_b32_e32 v3, 0xf8, v3
	v_and_or_b32 v2, v2, 7, v3
	s_and_b64 s[22:23], vcc, s[22:23]
	v_cndmask_b32_e64 v2, v2, 0, s[22:23]
	v_or_b32_e32 v37, v2, v6
.LBB2_872:                              ;   in Loop: Header=BB2_124 Depth=2
	s_or_b64 exec, exec, s[60:61]
.LBB2_873:                              ;   in Loop: Header=BB2_124 Depth=2
	s_or_b64 exec, exec, s[58:59]
                                        ; implicit-def: $vgpr7
                                        ; implicit-def: $vgpr2_vgpr3
.LBB2_874:                              ;   in Loop: Header=BB2_124 Depth=2
	s_andn2_saveexec_b64 s[22:23], s[56:57]
; %bb.875:                              ;   in Loop: Header=BB2_124 Depth=2
	v_or_b32_sdwa v6, v7, s74 dst_sel:DWORD dst_unused:UNUSED_PAD src0_sel:BYTE_3 src1_sel:DWORD
	v_cmp_eq_u64_e32 vcc, 0, v[2:3]
	v_cndmask_b32_e32 v37, v6, v37, vcc
; %bb.876:                              ;   in Loop: Header=BB2_124 Depth=2
	s_or_b64 exec, exec, s[22:23]
	v_cmp_lt_u32_e32 vcc, s47, v38
	v_mov_b32_e32 v3, 0
	v_mov_b32_e32 v6, 0
	s_and_saveexec_b64 s[22:23], vcc
	s_cbranch_execz .LBB2_882
; %bb.877:                              ;   in Loop: Header=BB2_124 Depth=2
	v_lshrrev_b32_e32 v2, 24, v38
	v_cmp_ne_u32_sdwa vcc, v38, s75 src0_sel:BYTE_3 src1_sel:DWORD
	v_bfrev_b32_e32 v6, 1
	s_and_saveexec_b64 s[56:57], vcc
	s_cbranch_execz .LBB2_881
; %bb.878:                              ;   in Loop: Header=BB2_124 Depth=2
	v_bfe_u32 v7, v38, 24, 7
	v_cmp_ne_u32_e32 vcc, s74, v7
	v_mov_b32_e32 v6, 0x7f800001
	s_and_saveexec_b64 s[58:59], vcc
	s_cbranch_execz .LBB2_880
; %bb.879:                              ;   in Loop: Header=BB2_124 Depth=2
	v_and_b32_e32 v6, 7, v2
	v_ffbh_u32_e32 v8, v6
	v_min_u32_e32 v23, 32, v8
	v_subrev_u32_e32 v8, 28, v23
	v_lshlrev_b64 v[8:9], v8, v[2:3]
	v_lshrrev_b32_e32 v22, 3, v7
	v_sub_u32_e32 v2, 29, v23
	v_and_b32_e32 v8, 7, v8
	v_cmp_gt_u32_e32 vcc, 8, v7
	v_mov_b32_e32 v7, 24
	v_cndmask_b32_e32 v2, v22, v2, vcc
	v_cndmask_b32_e32 v6, v6, v8, vcc
	v_lshlrev_b32_sdwa v7, v7, v38 dst_sel:DWORD dst_unused:UNUSED_PAD src0_sel:DWORD src1_sel:BYTE_3
	v_lshlrev_b32_e32 v6, 20, v6
	v_and_b32_e32 v7, 0x80000000, v7
	v_lshl_add_u32 v2, v2, 23, v20
	v_or3_b32 v6, v7, v2, v6
.LBB2_880:                              ;   in Loop: Header=BB2_124 Depth=2
	s_or_b64 exec, exec, s[58:59]
.LBB2_881:                              ;   in Loop: Header=BB2_124 Depth=2
	s_or_b64 exec, exec, s[56:57]
.LBB2_882:                              ;   in Loop: Header=BB2_124 Depth=2
	s_or_b64 exec, exec, s[22:23]
	v_cmp_lt_u64_e32 vcc, s[46:47], v[14:15]
	s_and_saveexec_b64 s[22:23], vcc
	s_cbranch_execz .LBB2_888
; %bb.883:                              ;   in Loop: Header=BB2_124 Depth=2
	v_lshrrev_b32_e32 v2, 24, v15
	v_cmp_ne_u32_e32 vcc, s75, v2
	v_bfrev_b32_e32 v3, 1
	s_and_saveexec_b64 s[56:57], vcc
	s_cbranch_execz .LBB2_887
; %bb.884:                              ;   in Loop: Header=BB2_124 Depth=2
	v_bfe_u32 v7, v15, 24, 7
	v_cmp_ne_u32_e32 vcc, s74, v7
	v_mov_b32_e32 v3, 0x7f800001
	s_and_saveexec_b64 s[58:59], vcc
	s_cbranch_execz .LBB2_886
; %bb.885:                              ;   in Loop: Header=BB2_124 Depth=2
	v_and_b32_e32 v3, 7, v2
	v_ffbh_u32_e32 v8, v3
	v_min_u32_e32 v15, 32, v8
	v_subrev_u32_e32 v8, 28, v15
	v_lshlrev_b64 v[8:9], v8, v[2:3]
	v_lshrrev_b32_e32 v14, 3, v7
	v_sub_u32_e32 v9, 29, v15
	v_and_b32_e32 v8, 7, v8
	v_cmp_gt_u32_e32 vcc, 8, v7
	v_cndmask_b32_e32 v7, v14, v9, vcc
	v_cndmask_b32_e32 v3, v3, v8, vcc
	v_lshlrev_b32_e32 v2, 24, v2
	v_lshlrev_b32_e32 v3, 20, v3
	v_and_b32_e32 v2, 0x80000000, v2
	v_lshl_add_u32 v7, v7, 23, v20
	v_or3_b32 v3, v2, v7, v3
.LBB2_886:                              ;   in Loop: Header=BB2_124 Depth=2
	s_or_b64 exec, exec, s[58:59]
.LBB2_887:                              ;   in Loop: Header=BB2_124 Depth=2
	s_or_b64 exec, exec, s[56:57]
.LBB2_888:                              ;   in Loop: Header=BB2_124 Depth=2
	s_or_b64 exec, exec, s[22:23]
	v_add_f32_e32 v2, v6, v3
	v_and_b32_sdwa v7, v2, s75 dst_sel:DWORD dst_unused:UNUSED_PAD src0_sel:BYTE_3 src1_sel:DWORD
	v_and_b32_e32 v8, 0x7f800000, v2
	v_mov_b32_e32 v9, v39
	v_and_b32_e32 v38, 0x7fffff, v2
	v_or_b32_e32 v6, 0x7e, v7
	v_cmp_ne_u64_e32 vcc, s[42:43], v[8:9]
	s_and_saveexec_b64 s[22:23], vcc
	s_xor_b64 s[56:57], exec, s[22:23]
	s_cbranch_execz .LBB2_898
; %bb.889:                              ;   in Loop: Header=BB2_124 Depth=2
	v_and_b32_e32 v8, 0x7fffffff, v2
	v_mov_b32_e32 v9, v39
	v_cmp_gt_u64_e32 vcc, s[44:45], v[8:9]
	s_and_saveexec_b64 s[58:59], vcc
	s_cbranch_execz .LBB2_897
; %bb.890:                              ;   in Loop: Header=BB2_124 Depth=2
	v_cmp_ne_u32_e32 vcc, 0, v2
	v_mov_b32_e32 v6, 0
	s_and_saveexec_b64 s[60:61], vcc
	s_cbranch_execz .LBB2_896
; %bb.891:                              ;   in Loop: Header=BB2_124 Depth=2
	v_bfe_u32 v2, v2, 23, 8
	v_sub_u32_e32 v6, 0x79, v2
	v_cmp_gt_u32_e32 vcc, s76, v2
	v_cndmask_b32_e32 v6, 0, v6, vcc
	v_cmp_eq_u32_e32 vcc, 0, v2
	v_add_u32_e32 v3, 0xffffff81, v2
	v_or_b32_e32 v8, 0x800000, v38
	v_mov_b32_e32 v2, 0xffffff82
	v_cndmask_b32_e32 v6, v6, v18, vcc
	v_cndmask_b32_e32 v9, v3, v2, vcc
	;; [unrolled: 1-line block ×3, first 2 shown]
	v_add_u32_e32 v2, 20, v6
	v_lshlrev_b64 v[2:3], v2, -1
	v_add_u32_e32 v8, 19, v6
	v_lshrrev_b64 v[22:23], v6, v[38:39]
	v_not_b32_e32 v3, v3
	v_not_b32_e32 v2, v2
	v_lshlrev_b64 v[14:15], v8, 1
	v_lshrrev_b32_e32 v8, 23, v22
	v_and_b32_e32 v3, 0, v3
	v_and_b32_e32 v2, v38, v2
	v_add3_u32 v9, v6, v9, v8
	v_bfe_u32 v6, v22, 20, 1
	v_add_u32_e32 v6, -1, v6
	v_cmp_eq_u64_e32 vcc, v[2:3], v[14:15]
	v_cndmask_b32_e32 v2, 0, v6, vcc
	v_add_u32_e32 v2, v2, v22
	v_and_b32_e32 v2, 0xfffff, v2
	v_add_co_u32_e32 v2, vcc, v2, v22
	v_add_u32_e32 v8, 6, v9
	v_addc_co_u32_e32 v3, vcc, 0, v23, vcc
	v_cmp_ne_u32_e32 vcc, 0, v8
                                        ; implicit-def: $vgpr6
	s_and_saveexec_b64 s[22:23], vcc
	s_xor_b64 s[22:23], exec, s[22:23]
; %bb.892:                              ;   in Loop: Header=BB2_124 Depth=2
	v_add_u32_e32 v6, 7, v9
	v_cmp_lt_u64_e32 vcc, s[48:49], v[2:3]
	v_cndmask_b32_e32 v6, v8, v6, vcc
	v_cndmask_b32_e64 v8, 0, 1, vcc
	v_lshrrev_b64 v[2:3], v8, v[2:3]
; %bb.893:                              ;   in Loop: Header=BB2_124 Depth=2
	s_andn2_saveexec_b64 s[22:23], s[22:23]
; %bb.894:                              ;   in Loop: Header=BB2_124 Depth=2
	v_bfe_u32 v6, v2, 23, 1
; %bb.895:                              ;   in Loop: Header=BB2_124 Depth=2
	s_or_b64 exec, exec, s[22:23]
	v_lshrrev_b64 v[2:3], 20, v[2:3]
	v_cmp_gt_i32_e32 vcc, 16, v6
	v_cndmask_b32_e32 v3, 0, v3, vcc
	v_cndmask_b32_e32 v2, 7, v2, vcc
	v_cmp_eq_u64_e64 s[22:23], 0, v[2:3]
	v_min_i32_e32 v3, 15, v6
	v_lshlrev_b32_e32 v3, 3, v3
	v_cmp_eq_u32_e32 vcc, 0, v6
	v_and_b32_e32 v3, 0xf8, v3
	v_and_or_b32 v2, v2, 7, v3
	s_and_b64 s[22:23], vcc, s[22:23]
	v_cndmask_b32_e64 v2, v2, 0, s[22:23]
	v_or_b32_e32 v6, v2, v7
.LBB2_896:                              ;   in Loop: Header=BB2_124 Depth=2
	s_or_b64 exec, exec, s[60:61]
.LBB2_897:                              ;   in Loop: Header=BB2_124 Depth=2
	s_or_b64 exec, exec, s[58:59]
                                        ; implicit-def: $vgpr2
.LBB2_898:                              ;   in Loop: Header=BB2_124 Depth=2
	s_andn2_saveexec_b64 s[22:23], s[56:57]
; %bb.899:                              ;   in Loop: Header=BB2_124 Depth=2
	v_or_b32_sdwa v2, v2, s74 dst_sel:DWORD dst_unused:UNUSED_PAD src0_sel:BYTE_3 src1_sel:DWORD
	v_cmp_eq_u64_e32 vcc, 0, v[38:39]
	v_cndmask_b32_e32 v6, v2, v6, vcc
; %bb.900:                              ;   in Loop: Header=BB2_124 Depth=2
	s_or_b64 exec, exec, s[22:23]
	v_lshlrev_b32_e32 v7, 8, v36
	v_cmp_ne_u16_sdwa vcc, v5, v39 src0_sel:BYTE_0 src1_sel:DWORD
	v_mov_b32_e32 v2, 0
	v_mov_b32_e32 v3, 0
	s_and_saveexec_b64 s[22:23], vcc
	s_cbranch_execz .LBB2_906
; %bb.901:                              ;   in Loop: Header=BB2_124 Depth=2
	v_cmp_ne_u16_sdwa vcc, v5, s75 src0_sel:BYTE_0 src1_sel:DWORD
	v_bfrev_b32_e32 v3, 1
	s_and_saveexec_b64 s[56:57], vcc
	s_cbranch_execz .LBB2_905
; %bb.902:                              ;   in Loop: Header=BB2_124 Depth=2
	v_and_b32_e32 v8, 0x7f, v5
	v_cmp_ne_u32_e32 vcc, s74, v8
	v_mov_b32_e32 v3, 0x7f800001
	s_and_saveexec_b64 s[58:59], vcc
	s_cbranch_execz .LBB2_904
; %bb.903:                              ;   in Loop: Header=BB2_124 Depth=2
	v_and_b32_e32 v3, 7, v5
	v_ffbh_u32_e32 v3, v3
	v_min_u32_e32 v3, 32, v3
	v_subrev_u32_e32 v15, 28, v3
	v_cmp_gt_u32_e32 vcc, 8, v8
	v_lshrrev_b32_e32 v9, 3, v8
	v_perm_b32 v14, v7, v5, s77
	v_sub_u32_e32 v3, 29, v3
	v_cndmask_b32_e32 v8, 0, v15, vcc
	v_cndmask_b32_e32 v3, v9, v3, vcc
	v_lshlrev_b64 v[8:9], v8, v[14:15]
	v_lshlrev_b32_e32 v8, 20, v8
	v_lshlrev_b32_e32 v5, 24, v5
	v_and_b32_e32 v8, 0x700000, v8
	v_and_b32_e32 v5, 0x80000000, v5
	v_lshl_add_u32 v3, v3, 23, v20
	v_or3_b32 v3, v5, v3, v8
.LBB2_904:                              ;   in Loop: Header=BB2_124 Depth=2
	s_or_b64 exec, exec, s[58:59]
.LBB2_905:                              ;   in Loop: Header=BB2_124 Depth=2
	s_or_b64 exec, exec, s[56:57]
.LBB2_906:                              ;   in Loop: Header=BB2_124 Depth=2
	s_or_b64 exec, exec, s[22:23]
	v_cmp_ne_u16_sdwa vcc, v16, v39 src0_sel:BYTE_0 src1_sel:DWORD
	s_and_saveexec_b64 s[22:23], vcc
	s_cbranch_execz .LBB2_912
; %bb.907:                              ;   in Loop: Header=BB2_124 Depth=2
	v_cmp_ne_u16_sdwa vcc, v16, s75 src0_sel:BYTE_0 src1_sel:DWORD
	v_bfrev_b32_e32 v2, 1
	s_and_saveexec_b64 s[56:57], vcc
	s_cbranch_execz .LBB2_911
; %bb.908:                              ;   in Loop: Header=BB2_124 Depth=2
	v_and_b32_e32 v5, 0x7f, v16
	v_cmp_ne_u32_e32 vcc, s74, v5
	v_mov_b32_e32 v2, 0x7f800001
	s_and_saveexec_b64 s[58:59], vcc
	s_cbranch_execz .LBB2_910
; %bb.909:                              ;   in Loop: Header=BB2_124 Depth=2
	v_and_b32_e32 v2, 7, v16
	v_ffbh_u32_e32 v2, v2
	v_min_u32_e32 v2, 32, v2
	v_subrev_u32_e32 v9, 28, v2
	v_cmp_gt_u32_e32 vcc, 8, v5
	v_lshrrev_b32_e32 v8, 3, v5
	v_sub_u32_e32 v2, 29, v2
	v_cndmask_b32_e32 v5, 0, v9, vcc
	v_cndmask_b32_e32 v2, v8, v2, vcc
	v_lshlrev_b64 v[8:9], v5, v[16:17]
	v_lshlrev_b32_e32 v5, 20, v8
	v_lshlrev_b32_e32 v8, 24, v16
	v_and_b32_e32 v5, 0x700000, v5
	v_and_b32_e32 v8, 0x80000000, v8
	v_lshl_add_u32 v2, v2, 23, v20
	v_or3_b32 v2, v8, v2, v5
.LBB2_910:                              ;   in Loop: Header=BB2_124 Depth=2
	s_or_b64 exec, exec, s[58:59]
.LBB2_911:                              ;   in Loop: Header=BB2_124 Depth=2
	s_or_b64 exec, exec, s[56:57]
.LBB2_912:                              ;   in Loop: Header=BB2_124 Depth=2
	s_or_b64 exec, exec, s[22:23]
	v_add_f32_e32 v2, v3, v2
	v_and_b32_sdwa v8, v2, s75 dst_sel:DWORD dst_unused:UNUSED_PAD src0_sel:BYTE_3 src1_sel:DWORD
	v_and_b32_e32 v14, 0x7f800000, v2
	v_mov_b32_e32 v15, v39
	v_and_b32_e32 v38, 0x7fffff, v2
	v_or_b32_e32 v5, 0x7e, v8
	v_cmp_ne_u64_e32 vcc, s[42:43], v[14:15]
	s_and_saveexec_b64 s[22:23], vcc
	s_xor_b64 s[56:57], exec, s[22:23]
	s_cbranch_execz .LBB2_922
; %bb.913:                              ;   in Loop: Header=BB2_124 Depth=2
	v_and_b32_e32 v14, 0x7fffffff, v2
	v_mov_b32_e32 v15, v39
	v_cmp_gt_u64_e32 vcc, s[44:45], v[14:15]
	s_and_saveexec_b64 s[58:59], vcc
	s_cbranch_execz .LBB2_921
; %bb.914:                              ;   in Loop: Header=BB2_124 Depth=2
	v_cmp_ne_u32_e32 vcc, 0, v2
	v_mov_b32_e32 v5, 0
	s_and_saveexec_b64 s[60:61], vcc
	s_cbranch_execz .LBB2_920
; %bb.915:                              ;   in Loop: Header=BB2_124 Depth=2
	v_bfe_u32 v2, v2, 23, 8
	v_sub_u32_e32 v5, 0x79, v2
	v_cmp_gt_u32_e32 vcc, s76, v2
	v_cndmask_b32_e32 v5, 0, v5, vcc
	v_cmp_eq_u32_e32 vcc, 0, v2
	v_add_u32_e32 v3, 0xffffff81, v2
	v_or_b32_e32 v9, 0x800000, v38
	v_mov_b32_e32 v2, 0xffffff82
	v_cndmask_b32_e32 v5, v5, v18, vcc
	v_cndmask_b32_e32 v14, v3, v2, vcc
	;; [unrolled: 1-line block ×3, first 2 shown]
	v_add_u32_e32 v2, 20, v5
	v_lshlrev_b64 v[2:3], v2, -1
	v_add_u32_e32 v9, 19, v5
	v_lshrrev_b64 v[52:53], v5, v[38:39]
	v_not_b32_e32 v3, v3
	v_not_b32_e32 v2, v2
	v_lshlrev_b64 v[22:23], v9, 1
	v_lshrrev_b32_e32 v9, 23, v52
	v_and_b32_e32 v3, 0, v3
	v_and_b32_e32 v2, v38, v2
	v_add3_u32 v14, v5, v14, v9
	v_bfe_u32 v5, v52, 20, 1
	v_add_u32_e32 v5, -1, v5
	v_cmp_eq_u64_e32 vcc, v[2:3], v[22:23]
	v_cndmask_b32_e32 v2, 0, v5, vcc
	v_add_u32_e32 v2, v2, v52
	v_and_b32_e32 v2, 0xfffff, v2
	v_add_co_u32_e32 v2, vcc, v2, v52
	v_add_u32_e32 v9, 6, v14
	v_addc_co_u32_e32 v3, vcc, 0, v53, vcc
	v_cmp_ne_u32_e32 vcc, 0, v9
                                        ; implicit-def: $vgpr5
	s_and_saveexec_b64 s[22:23], vcc
	s_xor_b64 s[22:23], exec, s[22:23]
; %bb.916:                              ;   in Loop: Header=BB2_124 Depth=2
	v_add_u32_e32 v5, 7, v14
	v_cmp_lt_u64_e32 vcc, s[48:49], v[2:3]
	v_cndmask_b32_e32 v5, v9, v5, vcc
	v_cndmask_b32_e64 v9, 0, 1, vcc
	v_lshrrev_b64 v[2:3], v9, v[2:3]
; %bb.917:                              ;   in Loop: Header=BB2_124 Depth=2
	s_andn2_saveexec_b64 s[22:23], s[22:23]
; %bb.918:                              ;   in Loop: Header=BB2_124 Depth=2
	v_bfe_u32 v5, v2, 23, 1
; %bb.919:                              ;   in Loop: Header=BB2_124 Depth=2
	s_or_b64 exec, exec, s[22:23]
	v_lshrrev_b64 v[2:3], 20, v[2:3]
	v_cmp_gt_i32_e32 vcc, 16, v5
	v_cndmask_b32_e32 v3, 0, v3, vcc
	v_cndmask_b32_e32 v2, 7, v2, vcc
	v_cmp_eq_u64_e64 s[22:23], 0, v[2:3]
	v_min_i32_e32 v3, 15, v5
	v_cmp_eq_u32_e32 vcc, 0, v5
	v_lshlrev_b32_e32 v3, 3, v3
	v_and_or_b32 v2, v2, 7, v3
	s_and_b64 s[22:23], vcc, s[22:23]
	v_cndmask_b32_e64 v2, v2, 0, s[22:23]
	v_or_b32_e32 v5, v2, v8
.LBB2_920:                              ;   in Loop: Header=BB2_124 Depth=2
	s_or_b64 exec, exec, s[60:61]
.LBB2_921:                              ;   in Loop: Header=BB2_124 Depth=2
	s_or_b64 exec, exec, s[58:59]
                                        ; implicit-def: $vgpr2
.LBB2_922:                              ;   in Loop: Header=BB2_124 Depth=2
	s_andn2_saveexec_b64 s[22:23], s[56:57]
; %bb.923:                              ;   in Loop: Header=BB2_124 Depth=2
	v_or_b32_sdwa v2, v2, s74 dst_sel:DWORD dst_unused:UNUSED_PAD src0_sel:BYTE_3 src1_sel:DWORD
	v_cmp_eq_u64_e32 vcc, 0, v[38:39]
	v_cndmask_b32_e32 v5, v2, v5, vcc
; %bb.924:                              ;   in Loop: Header=BB2_124 Depth=2
	s_or_b64 exec, exec, s[22:23]
	v_lshrrev_b16_e32 v2, 8, v7
	v_cmp_ne_u16_e32 vcc, 0, v2
	v_mov_b32_e32 v3, 0
	v_mov_b32_e32 v8, 0
	s_and_saveexec_b64 s[22:23], vcc
	s_cbranch_execz .LBB2_930
; %bb.925:                              ;   in Loop: Header=BB2_124 Depth=2
	v_cmp_ne_u16_e32 vcc, s75, v2
	v_bfrev_b32_e32 v8, 1
	s_and_saveexec_b64 s[56:57], vcc
	s_cbranch_execz .LBB2_929
; %bb.926:                              ;   in Loop: Header=BB2_124 Depth=2
	v_and_b32_e32 v9, 0x7f, v2
	v_cmp_ne_u32_e32 vcc, s74, v9
	v_mov_b32_e32 v8, 0x7f800001
	s_and_saveexec_b64 s[58:59], vcc
	s_cbranch_execz .LBB2_928
; %bb.927:                              ;   in Loop: Header=BB2_124 Depth=2
	v_and_b32_e32 v8, 7, v2
	v_ffbh_u32_e32 v14, v8
	v_min_u32_e32 v23, 32, v14
	v_subrev_u32_e32 v14, 28, v23
	v_lshlrev_b64 v[14:15], v14, v[2:3]
	v_lshrrev_b32_e32 v22, 3, v9
	v_sub_u32_e32 v2, 29, v23
	v_and_b32_e32 v14, 7, v14
	v_cmp_gt_u32_e32 vcc, 8, v9
	v_cndmask_b32_e32 v2, v22, v2, vcc
	v_cndmask_b32_e32 v8, v8, v14, vcc
	v_lshlrev_b32_e32 v7, 16, v7
	v_lshlrev_b32_e32 v8, 20, v8
	v_and_b32_e32 v7, 0x80000000, v7
	v_lshl_add_u32 v2, v2, 23, v20
	v_or3_b32 v8, v7, v2, v8
.LBB2_928:                              ;   in Loop: Header=BB2_124 Depth=2
	s_or_b64 exec, exec, s[58:59]
.LBB2_929:                              ;   in Loop: Header=BB2_124 Depth=2
	s_or_b64 exec, exec, s[56:57]
.LBB2_930:                              ;   in Loop: Header=BB2_124 Depth=2
	s_or_b64 exec, exec, s[22:23]
	v_lshrrev_b16_e32 v2, 8, v16
	v_cmp_ne_u16_e32 vcc, 0, v2
	s_and_saveexec_b64 s[22:23], vcc
	s_cbranch_execz .LBB2_936
; %bb.931:                              ;   in Loop: Header=BB2_124 Depth=2
	v_cmp_ne_u16_e32 vcc, s75, v2
	v_bfrev_b32_e32 v3, 1
	s_and_saveexec_b64 s[56:57], vcc
	s_cbranch_execz .LBB2_935
; %bb.932:                              ;   in Loop: Header=BB2_124 Depth=2
	v_and_b32_e32 v7, 0x7f, v2
	v_cmp_ne_u32_e32 vcc, s74, v7
	v_mov_b32_e32 v3, 0x7f800001
	s_and_saveexec_b64 s[58:59], vcc
	s_cbranch_execz .LBB2_934
; %bb.933:                              ;   in Loop: Header=BB2_124 Depth=2
	v_and_b32_e32 v9, 7, v2
	v_ffbh_u32_e32 v3, v9
	v_min_u32_e32 v15, 32, v3
	v_subrev_u32_e32 v3, 28, v15
	v_lshlrev_b64 v[2:3], v3, v[2:3]
	v_lshrrev_b32_e32 v14, 3, v7
	v_sub_u32_e32 v3, 29, v15
	v_and_b32_e32 v2, 7, v2
	v_cmp_gt_u32_e32 vcc, 8, v7
	v_cndmask_b32_e32 v3, v14, v3, vcc
	v_cndmask_b32_e32 v2, v9, v2, vcc
	v_lshlrev_b32_e32 v7, 16, v16
	v_lshlrev_b32_e32 v2, 20, v2
	v_and_b32_e32 v7, 0x80000000, v7
	v_lshl_add_u32 v3, v3, 23, v20
	v_or3_b32 v3, v7, v3, v2
.LBB2_934:                              ;   in Loop: Header=BB2_124 Depth=2
	s_or_b64 exec, exec, s[58:59]
.LBB2_935:                              ;   in Loop: Header=BB2_124 Depth=2
	s_or_b64 exec, exec, s[56:57]
.LBB2_936:                              ;   in Loop: Header=BB2_124 Depth=2
	s_or_b64 exec, exec, s[22:23]
	v_add_f32_e32 v2, v8, v3
	v_and_b32_sdwa v8, v2, s75 dst_sel:DWORD dst_unused:UNUSED_PAD src0_sel:BYTE_3 src1_sel:DWORD
	v_and_b32_e32 v14, 0x7f800000, v2
	v_mov_b32_e32 v15, v39
	v_and_b32_e32 v38, 0x7fffff, v2
	v_or_b32_e32 v7, 0x7e, v8
	v_cmp_ne_u64_e32 vcc, s[42:43], v[14:15]
	s_and_saveexec_b64 s[22:23], vcc
	s_xor_b64 s[56:57], exec, s[22:23]
	s_cbranch_execz .LBB2_946
; %bb.937:                              ;   in Loop: Header=BB2_124 Depth=2
	v_and_b32_e32 v14, 0x7fffffff, v2
	v_mov_b32_e32 v15, v39
	v_cmp_gt_u64_e32 vcc, s[44:45], v[14:15]
	s_and_saveexec_b64 s[58:59], vcc
	s_cbranch_execz .LBB2_945
; %bb.938:                              ;   in Loop: Header=BB2_124 Depth=2
	v_cmp_ne_u32_e32 vcc, 0, v2
	v_mov_b32_e32 v7, 0
	s_and_saveexec_b64 s[60:61], vcc
	s_cbranch_execz .LBB2_944
; %bb.939:                              ;   in Loop: Header=BB2_124 Depth=2
	v_bfe_u32 v2, v2, 23, 8
	v_sub_u32_e32 v7, 0x79, v2
	v_cmp_gt_u32_e32 vcc, s76, v2
	v_cndmask_b32_e32 v7, 0, v7, vcc
	v_cmp_eq_u32_e32 vcc, 0, v2
	v_add_u32_e32 v3, 0xffffff81, v2
	v_or_b32_e32 v9, 0x800000, v38
	v_mov_b32_e32 v2, 0xffffff82
	v_cndmask_b32_e32 v7, v7, v18, vcc
	v_cndmask_b32_e32 v14, v3, v2, vcc
	;; [unrolled: 1-line block ×3, first 2 shown]
	v_add_u32_e32 v2, 20, v7
	v_lshlrev_b64 v[2:3], v2, -1
	v_add_u32_e32 v9, 19, v7
	v_lshrrev_b64 v[52:53], v7, v[38:39]
	v_not_b32_e32 v3, v3
	v_not_b32_e32 v2, v2
	v_lshlrev_b64 v[22:23], v9, 1
	v_lshrrev_b32_e32 v9, 23, v52
	v_and_b32_e32 v3, 0, v3
	v_and_b32_e32 v2, v38, v2
	v_add3_u32 v14, v7, v14, v9
	v_bfe_u32 v7, v52, 20, 1
	v_add_u32_e32 v7, -1, v7
	v_cmp_eq_u64_e32 vcc, v[2:3], v[22:23]
	v_cndmask_b32_e32 v2, 0, v7, vcc
	v_add_u32_e32 v2, v2, v52
	v_and_b32_e32 v2, 0xfffff, v2
	v_add_co_u32_e32 v2, vcc, v2, v52
	v_add_u32_e32 v9, 6, v14
	v_addc_co_u32_e32 v3, vcc, 0, v53, vcc
	v_cmp_ne_u32_e32 vcc, 0, v9
                                        ; implicit-def: $vgpr7
	s_and_saveexec_b64 s[22:23], vcc
	s_xor_b64 s[22:23], exec, s[22:23]
; %bb.940:                              ;   in Loop: Header=BB2_124 Depth=2
	v_add_u32_e32 v7, 7, v14
	v_cmp_lt_u64_e32 vcc, s[48:49], v[2:3]
	v_cndmask_b32_e32 v7, v9, v7, vcc
	v_cndmask_b32_e64 v9, 0, 1, vcc
	v_lshrrev_b64 v[2:3], v9, v[2:3]
; %bb.941:                              ;   in Loop: Header=BB2_124 Depth=2
	s_andn2_saveexec_b64 s[22:23], s[22:23]
; %bb.942:                              ;   in Loop: Header=BB2_124 Depth=2
	v_bfe_u32 v7, v2, 23, 1
; %bb.943:                              ;   in Loop: Header=BB2_124 Depth=2
	s_or_b64 exec, exec, s[22:23]
	v_lshrrev_b64 v[2:3], 20, v[2:3]
	v_cmp_gt_i32_e32 vcc, 16, v7
	v_cndmask_b32_e32 v3, 0, v3, vcc
	v_cndmask_b32_e32 v2, 7, v2, vcc
	v_cmp_eq_u64_e64 s[22:23], 0, v[2:3]
	v_min_i32_e32 v3, 15, v7
	v_cmp_eq_u32_e32 vcc, 0, v7
	v_lshlrev_b32_e32 v3, 3, v3
	v_and_or_b32 v2, v2, 7, v3
	s_and_b64 s[22:23], vcc, s[22:23]
	v_cndmask_b32_e64 v2, v2, 0, s[22:23]
	v_or_b32_e32 v7, v2, v8
.LBB2_944:                              ;   in Loop: Header=BB2_124 Depth=2
	s_or_b64 exec, exec, s[60:61]
.LBB2_945:                              ;   in Loop: Header=BB2_124 Depth=2
	s_or_b64 exec, exec, s[58:59]
                                        ; implicit-def: $vgpr2
.LBB2_946:                              ;   in Loop: Header=BB2_124 Depth=2
	s_andn2_saveexec_b64 s[22:23], s[56:57]
; %bb.947:                              ;   in Loop: Header=BB2_124 Depth=2
	v_or_b32_sdwa v2, v2, s74 dst_sel:DWORD dst_unused:UNUSED_PAD src0_sel:BYTE_3 src1_sel:DWORD
	v_cmp_eq_u64_e32 vcc, 0, v[38:39]
	v_cndmask_b32_e32 v7, v2, v7, vcc
; %bb.948:                              ;   in Loop: Header=BB2_124 Depth=2
	s_or_b64 exec, exec, s[22:23]
	v_cmp_ne_u16_sdwa vcc, v48, v39 src0_sel:BYTE_0 src1_sel:DWORD
	v_mov_b32_e32 v3, 0
	v_mov_b32_e32 v8, 0
	s_and_saveexec_b64 s[22:23], vcc
	s_cbranch_execz .LBB2_954
; %bb.949:                              ;   in Loop: Header=BB2_124 Depth=2
	v_cmp_ne_u16_sdwa vcc, v48, s75 src0_sel:BYTE_0 src1_sel:DWORD
	v_bfrev_b32_e32 v8, 1
	s_and_saveexec_b64 s[56:57], vcc
	s_cbranch_execz .LBB2_953
; %bb.950:                              ;   in Loop: Header=BB2_124 Depth=2
	v_and_b32_e32 v2, 0x7f, v48
	v_cmp_ne_u32_e32 vcc, s74, v2
	v_mov_b32_e32 v8, 0x7f800001
	s_and_saveexec_b64 s[58:59], vcc
	s_cbranch_execz .LBB2_952
; %bb.951:                              ;   in Loop: Header=BB2_124 Depth=2
	v_and_b32_e32 v14, 7, v48
	v_ffbh_u32_e32 v8, v14
	v_min_u32_e32 v22, 32, v8
	v_subrev_u32_e32 v8, 28, v22
	v_lshlrev_b64 v[8:9], v8, v[48:49]
	v_lshrrev_b32_e32 v15, 3, v2
	v_sub_u32_e32 v9, 29, v22
	v_and_b32_e32 v8, 7, v8
	v_cmp_gt_u32_e32 vcc, 8, v2
	v_cndmask_b32_e32 v2, v15, v9, vcc
	v_cndmask_b32_e32 v8, v14, v8, vcc
	v_lshlrev_b32_e32 v9, 24, v48
	v_lshlrev_b32_e32 v8, 20, v8
	v_and_b32_e32 v9, 0x80000000, v9
	v_lshl_add_u32 v2, v2, 23, v20
	v_or3_b32 v8, v9, v2, v8
.LBB2_952:                              ;   in Loop: Header=BB2_124 Depth=2
	s_or_b64 exec, exec, s[58:59]
.LBB2_953:                              ;   in Loop: Header=BB2_124 Depth=2
	s_or_b64 exec, exec, s[56:57]
.LBB2_954:                              ;   in Loop: Header=BB2_124 Depth=2
	s_or_b64 exec, exec, s[22:23]
	v_lshrrev_b32_e32 v2, 16, v16
	v_cmp_ne_u16_sdwa vcc, v2, v39 src0_sel:BYTE_0 src1_sel:DWORD
	s_and_saveexec_b64 s[22:23], vcc
	s_cbranch_execz .LBB2_960
; %bb.955:                              ;   in Loop: Header=BB2_124 Depth=2
	v_cmp_ne_u16_sdwa vcc, v2, s75 src0_sel:BYTE_0 src1_sel:DWORD
	v_bfrev_b32_e32 v3, 1
	s_and_saveexec_b64 s[56:57], vcc
	s_cbranch_execz .LBB2_959
; %bb.956:                              ;   in Loop: Header=BB2_124 Depth=2
	v_bfe_u32 v9, v16, 16, 7
	v_cmp_ne_u32_e32 vcc, s74, v9
	v_mov_b32_e32 v3, 0x7f800001
	s_and_saveexec_b64 s[58:59], vcc
	s_cbranch_execz .LBB2_958
; %bb.957:                              ;   in Loop: Header=BB2_124 Depth=2
	v_and_b32_e32 v14, 7, v2
	v_ffbh_u32_e32 v3, v14
	v_min_u32_e32 v22, 32, v3
	v_subrev_u32_e32 v3, 28, v22
	v_lshlrev_b64 v[2:3], v3, v[2:3]
	v_lshrrev_b32_e32 v15, 3, v9
	v_sub_u32_e32 v3, 29, v22
	v_and_b32_e32 v2, 7, v2
	v_cmp_gt_u32_e32 vcc, 8, v9
	v_cndmask_b32_e32 v3, v15, v3, vcc
	v_cndmask_b32_e32 v2, v14, v2, vcc
	v_lshlrev_b32_e32 v9, 8, v16
	v_lshlrev_b32_e32 v2, 20, v2
	v_and_b32_e32 v9, 0x80000000, v9
	v_lshl_add_u32 v3, v3, 23, v20
	v_or3_b32 v3, v9, v3, v2
.LBB2_958:                              ;   in Loop: Header=BB2_124 Depth=2
	s_or_b64 exec, exec, s[58:59]
.LBB2_959:                              ;   in Loop: Header=BB2_124 Depth=2
	s_or_b64 exec, exec, s[56:57]
.LBB2_960:                              ;   in Loop: Header=BB2_124 Depth=2
	s_or_b64 exec, exec, s[22:23]
	v_add_f32_e32 v2, v8, v3
	v_and_b32_sdwa v9, v2, s75 dst_sel:DWORD dst_unused:UNUSED_PAD src0_sel:BYTE_3 src1_sel:DWORD
	v_and_b32_e32 v14, 0x7f800000, v2
	v_mov_b32_e32 v15, v39
	v_and_b32_e32 v38, 0x7fffff, v2
	v_or_b32_e32 v8, 0x7e, v9
	v_cmp_ne_u64_e32 vcc, s[42:43], v[14:15]
	s_and_saveexec_b64 s[22:23], vcc
	s_xor_b64 s[56:57], exec, s[22:23]
	s_cbranch_execz .LBB2_970
; %bb.961:                              ;   in Loop: Header=BB2_124 Depth=2
	v_and_b32_e32 v14, 0x7fffffff, v2
	v_mov_b32_e32 v15, v39
	v_cmp_gt_u64_e32 vcc, s[44:45], v[14:15]
	s_and_saveexec_b64 s[58:59], vcc
	s_cbranch_execz .LBB2_969
; %bb.962:                              ;   in Loop: Header=BB2_124 Depth=2
	v_cmp_ne_u32_e32 vcc, 0, v2
	v_mov_b32_e32 v8, 0
	s_and_saveexec_b64 s[60:61], vcc
	s_cbranch_execz .LBB2_968
; %bb.963:                              ;   in Loop: Header=BB2_124 Depth=2
	v_bfe_u32 v2, v2, 23, 8
	v_sub_u32_e32 v8, 0x79, v2
	v_cmp_gt_u32_e32 vcc, s76, v2
	v_cndmask_b32_e32 v8, 0, v8, vcc
	v_cmp_eq_u32_e32 vcc, 0, v2
	v_add_u32_e32 v3, 0xffffff81, v2
	v_or_b32_e32 v14, 0x800000, v38
	v_mov_b32_e32 v2, 0xffffff82
	v_cndmask_b32_e32 v8, v8, v18, vcc
	v_cndmask_b32_e32 v15, v3, v2, vcc
	;; [unrolled: 1-line block ×3, first 2 shown]
	v_add_u32_e32 v2, 20, v8
	v_lshlrev_b64 v[2:3], v2, -1
	v_add_u32_e32 v14, 19, v8
	v_lshrrev_b64 v[52:53], v8, v[38:39]
	v_not_b32_e32 v3, v3
	v_not_b32_e32 v2, v2
	v_lshlrev_b64 v[22:23], v14, 1
	v_lshrrev_b32_e32 v14, 23, v52
	v_and_b32_e32 v3, 0, v3
	v_and_b32_e32 v2, v38, v2
	v_add3_u32 v15, v8, v15, v14
	v_bfe_u32 v8, v52, 20, 1
	v_add_u32_e32 v8, -1, v8
	v_cmp_eq_u64_e32 vcc, v[2:3], v[22:23]
	v_cndmask_b32_e32 v2, 0, v8, vcc
	v_add_u32_e32 v2, v2, v52
	v_and_b32_e32 v2, 0xfffff, v2
	v_add_co_u32_e32 v2, vcc, v2, v52
	v_add_u32_e32 v14, 6, v15
	v_addc_co_u32_e32 v3, vcc, 0, v53, vcc
	v_cmp_ne_u32_e32 vcc, 0, v14
                                        ; implicit-def: $vgpr8
	s_and_saveexec_b64 s[22:23], vcc
	s_xor_b64 s[22:23], exec, s[22:23]
; %bb.964:                              ;   in Loop: Header=BB2_124 Depth=2
	v_add_u32_e32 v8, 7, v15
	v_cmp_lt_u64_e32 vcc, s[48:49], v[2:3]
	v_cndmask_b32_e32 v8, v14, v8, vcc
	v_cndmask_b32_e64 v14, 0, 1, vcc
	v_lshrrev_b64 v[2:3], v14, v[2:3]
; %bb.965:                              ;   in Loop: Header=BB2_124 Depth=2
	s_andn2_saveexec_b64 s[22:23], s[22:23]
; %bb.966:                              ;   in Loop: Header=BB2_124 Depth=2
	v_bfe_u32 v8, v2, 23, 1
; %bb.967:                              ;   in Loop: Header=BB2_124 Depth=2
	s_or_b64 exec, exec, s[22:23]
	v_lshrrev_b64 v[2:3], 20, v[2:3]
	v_cmp_gt_i32_e32 vcc, 16, v8
	v_cndmask_b32_e32 v3, 0, v3, vcc
	v_cndmask_b32_e32 v2, 7, v2, vcc
	v_cmp_eq_u64_e64 s[22:23], 0, v[2:3]
	v_min_i32_e32 v3, 15, v8
	v_cmp_eq_u32_e32 vcc, 0, v8
	v_lshlrev_b32_e32 v3, 3, v3
	v_and_or_b32 v2, v2, 7, v3
	s_and_b64 s[22:23], vcc, s[22:23]
	v_cndmask_b32_e64 v2, v2, 0, s[22:23]
	v_or_b32_e32 v8, v2, v9
.LBB2_968:                              ;   in Loop: Header=BB2_124 Depth=2
	s_or_b64 exec, exec, s[60:61]
.LBB2_969:                              ;   in Loop: Header=BB2_124 Depth=2
	s_or_b64 exec, exec, s[58:59]
                                        ; implicit-def: $vgpr2
.LBB2_970:                              ;   in Loop: Header=BB2_124 Depth=2
	s_andn2_saveexec_b64 s[22:23], s[56:57]
; %bb.971:                              ;   in Loop: Header=BB2_124 Depth=2
	v_or_b32_sdwa v2, v2, s74 dst_sel:DWORD dst_unused:UNUSED_PAD src0_sel:BYTE_3 src1_sel:DWORD
	v_cmp_eq_u64_e32 vcc, 0, v[38:39]
	v_cndmask_b32_e32 v8, v2, v8, vcc
; %bb.972:                              ;   in Loop: Header=BB2_124 Depth=2
	s_or_b64 exec, exec, s[22:23]
	v_lshlrev_b32_e32 v2, 8, v4
	v_and_b32_e32 v2, 0xff00, v2
	v_cmp_ne_u32_e32 vcc, 0, v2
	v_mov_b32_e32 v3, 0
	v_mov_b32_e32 v4, 0
	s_and_saveexec_b64 s[22:23], vcc
	s_cbranch_execz .LBB2_978
; %bb.973:                              ;   in Loop: Header=BB2_124 Depth=2
	v_cmp_ne_u32_e32 vcc, s78, v2
	v_bfrev_b32_e32 v4, 1
	s_and_saveexec_b64 s[56:57], vcc
	s_cbranch_execz .LBB2_977
; %bb.974:                              ;   in Loop: Header=BB2_124 Depth=2
	v_bfe_u32 v9, v2, 8, 7
	v_cmp_ne_u32_e32 vcc, s74, v9
	v_mov_b32_e32 v4, 0x7f800001
	s_and_saveexec_b64 s[58:59], vcc
	s_cbranch_execz .LBB2_976
; %bb.975:                              ;   in Loop: Header=BB2_124 Depth=2
	v_lshrrev_b32_e32 v4, 8, v2
	v_and_b32_e32 v22, 7, v4
	v_ffbh_u32_e32 v14, v22
	v_min_u32_e32 v36, 32, v14
	v_subrev_u32_e32 v14, 28, v36
	v_lshlrev_b64 v[14:15], v14, v[4:5]
	v_lshrrev_b32_e32 v23, 3, v9
	v_sub_u32_e32 v4, 29, v36
	v_and_b32_e32 v14, 7, v14
	v_cmp_gt_u32_e32 vcc, 8, v9
	v_cndmask_b32_e32 v4, v23, v4, vcc
	v_cndmask_b32_e32 v9, v22, v14, vcc
	v_lshlrev_b32_e32 v2, 16, v2
	v_lshlrev_b32_e32 v9, 20, v9
	v_and_b32_e32 v2, 0x80000000, v2
	v_lshl_add_u32 v4, v4, 23, v20
	v_or3_b32 v4, v2, v4, v9
.LBB2_976:                              ;   in Loop: Header=BB2_124 Depth=2
	s_or_b64 exec, exec, s[58:59]
.LBB2_977:                              ;   in Loop: Header=BB2_124 Depth=2
	s_or_b64 exec, exec, s[56:57]
.LBB2_978:                              ;   in Loop: Header=BB2_124 Depth=2
	s_or_b64 exec, exec, s[22:23]
	v_cmp_lt_u32_e32 vcc, s47, v16
	s_and_saveexec_b64 s[22:23], vcc
	s_cbranch_execz .LBB2_984
; %bb.979:                              ;   in Loop: Header=BB2_124 Depth=2
	v_lshrrev_b32_e32 v2, 24, v16
	v_cmp_ne_u32_e32 vcc, s75, v2
	v_bfrev_b32_e32 v3, 1
	s_and_saveexec_b64 s[56:57], vcc
	s_cbranch_execz .LBB2_983
; %bb.980:                              ;   in Loop: Header=BB2_124 Depth=2
	v_bfe_u32 v9, v16, 24, 7
	v_cmp_ne_u32_e32 vcc, s74, v9
	v_mov_b32_e32 v3, 0x7f800001
	s_and_saveexec_b64 s[58:59], vcc
	s_cbranch_execz .LBB2_982
; %bb.981:                              ;   in Loop: Header=BB2_124 Depth=2
	v_and_b32_e32 v3, 7, v2
	v_ffbh_u32_e32 v14, v3
	v_min_u32_e32 v23, 32, v14
	v_subrev_u32_e32 v14, 28, v23
	v_lshlrev_b64 v[14:15], v14, v[2:3]
	v_lshrrev_b32_e32 v22, 3, v9
	v_sub_u32_e32 v15, 29, v23
	v_and_b32_e32 v14, 7, v14
	v_cmp_gt_u32_e32 vcc, 8, v9
	v_cndmask_b32_e32 v9, v22, v15, vcc
	v_cndmask_b32_e32 v3, v3, v14, vcc
	v_lshlrev_b32_e32 v2, 24, v2
	v_lshlrev_b32_e32 v3, 20, v3
	v_and_b32_e32 v2, 0x80000000, v2
	v_lshl_add_u32 v9, v9, 23, v20
	v_or3_b32 v3, v2, v9, v3
.LBB2_982:                              ;   in Loop: Header=BB2_124 Depth=2
	s_or_b64 exec, exec, s[58:59]
.LBB2_983:                              ;   in Loop: Header=BB2_124 Depth=2
	s_or_b64 exec, exec, s[56:57]
.LBB2_984:                              ;   in Loop: Header=BB2_124 Depth=2
	s_or_b64 exec, exec, s[22:23]
	v_add_f32_e32 v2, v4, v3
	v_and_b32_sdwa v9, v2, s75 dst_sel:DWORD dst_unused:UNUSED_PAD src0_sel:BYTE_3 src1_sel:DWORD
	v_and_b32_e32 v14, 0x7f800000, v2
	v_mov_b32_e32 v15, v39
	v_and_b32_e32 v38, 0x7fffff, v2
	v_or_b32_e32 v4, 0x7e, v9
	v_cmp_ne_u64_e32 vcc, s[42:43], v[14:15]
	s_and_saveexec_b64 s[22:23], vcc
	s_xor_b64 s[56:57], exec, s[22:23]
	s_cbranch_execz .LBB2_994
; %bb.985:                              ;   in Loop: Header=BB2_124 Depth=2
	v_and_b32_e32 v14, 0x7fffffff, v2
	v_mov_b32_e32 v15, v39
	v_cmp_gt_u64_e32 vcc, s[44:45], v[14:15]
	s_and_saveexec_b64 s[58:59], vcc
	s_cbranch_execz .LBB2_993
; %bb.986:                              ;   in Loop: Header=BB2_124 Depth=2
	v_cmp_ne_u32_e32 vcc, 0, v2
	v_mov_b32_e32 v4, 0
	s_and_saveexec_b64 s[60:61], vcc
	s_cbranch_execz .LBB2_992
; %bb.987:                              ;   in Loop: Header=BB2_124 Depth=2
	v_bfe_u32 v2, v2, 23, 8
	v_sub_u32_e32 v4, 0x79, v2
	v_cmp_gt_u32_e32 vcc, s76, v2
	v_cndmask_b32_e32 v4, 0, v4, vcc
	v_cmp_eq_u32_e32 vcc, 0, v2
	v_add_u32_e32 v3, 0xffffff81, v2
	v_or_b32_e32 v14, 0x800000, v38
	v_mov_b32_e32 v2, 0xffffff82
	v_cndmask_b32_e32 v4, v4, v18, vcc
	v_cndmask_b32_e32 v15, v3, v2, vcc
	;; [unrolled: 1-line block ×3, first 2 shown]
	v_add_u32_e32 v2, 20, v4
	v_lshlrev_b64 v[2:3], v2, -1
	v_add_u32_e32 v14, 19, v4
	v_lshrrev_b64 v[52:53], v4, v[38:39]
	v_not_b32_e32 v3, v3
	v_not_b32_e32 v2, v2
	v_lshlrev_b64 v[22:23], v14, 1
	v_lshrrev_b32_e32 v14, 23, v52
	v_and_b32_e32 v3, 0, v3
	v_and_b32_e32 v2, v38, v2
	v_add3_u32 v15, v4, v15, v14
	v_bfe_u32 v4, v52, 20, 1
	v_add_u32_e32 v4, -1, v4
	v_cmp_eq_u64_e32 vcc, v[2:3], v[22:23]
	v_cndmask_b32_e32 v2, 0, v4, vcc
	v_add_u32_e32 v2, v2, v52
	v_and_b32_e32 v2, 0xfffff, v2
	v_add_co_u32_e32 v2, vcc, v2, v52
	v_add_u32_e32 v14, 6, v15
	v_addc_co_u32_e32 v3, vcc, 0, v53, vcc
	v_cmp_ne_u32_e32 vcc, 0, v14
                                        ; implicit-def: $vgpr4
	s_and_saveexec_b64 s[22:23], vcc
	s_xor_b64 s[22:23], exec, s[22:23]
; %bb.988:                              ;   in Loop: Header=BB2_124 Depth=2
	v_add_u32_e32 v4, 7, v15
	v_cmp_lt_u64_e32 vcc, s[48:49], v[2:3]
	v_cndmask_b32_e32 v4, v14, v4, vcc
	v_cndmask_b32_e64 v14, 0, 1, vcc
	v_lshrrev_b64 v[2:3], v14, v[2:3]
; %bb.989:                              ;   in Loop: Header=BB2_124 Depth=2
	s_andn2_saveexec_b64 s[22:23], s[22:23]
; %bb.990:                              ;   in Loop: Header=BB2_124 Depth=2
	v_bfe_u32 v4, v2, 23, 1
; %bb.991:                              ;   in Loop: Header=BB2_124 Depth=2
	s_or_b64 exec, exec, s[22:23]
	v_lshrrev_b64 v[2:3], 20, v[2:3]
	v_cmp_gt_i32_e32 vcc, 16, v4
	v_cndmask_b32_e32 v3, 0, v3, vcc
	v_cndmask_b32_e32 v2, 7, v2, vcc
	v_cmp_eq_u64_e64 s[22:23], 0, v[2:3]
	v_min_i32_e32 v3, 15, v4
	v_cmp_eq_u32_e32 vcc, 0, v4
	v_lshlrev_b32_e32 v3, 3, v3
	v_and_or_b32 v2, v2, 7, v3
	s_and_b64 s[22:23], vcc, s[22:23]
	v_cndmask_b32_e64 v2, v2, 0, s[22:23]
	v_or_b32_e32 v4, v2, v9
.LBB2_992:                              ;   in Loop: Header=BB2_124 Depth=2
	s_or_b64 exec, exec, s[60:61]
.LBB2_993:                              ;   in Loop: Header=BB2_124 Depth=2
	s_or_b64 exec, exec, s[58:59]
                                        ; implicit-def: $vgpr2
.LBB2_994:                              ;   in Loop: Header=BB2_124 Depth=2
	s_andn2_saveexec_b64 s[22:23], s[56:57]
; %bb.995:                              ;   in Loop: Header=BB2_124 Depth=2
	v_or_b32_sdwa v2, v2, s74 dst_sel:DWORD dst_unused:UNUSED_PAD src0_sel:BYTE_3 src1_sel:DWORD
	v_cmp_eq_u64_e32 vcc, 0, v[38:39]
	v_cndmask_b32_e32 v4, v2, v4, vcc
; %bb.996:                              ;   in Loop: Header=BB2_124 Depth=2
	s_or_b64 exec, exec, s[22:23]
	v_lshlrev_b32_e32 v14, 8, v33
	v_lshlrev_b32_e32 v2, 24, v21
	v_perm_b32 v3, v42, v61, s79
	v_or3_b32 v38, v3, v2, v14
	v_cmp_ne_u16_sdwa vcc, v61, v39 src0_sel:BYTE_0 src1_sel:DWORD
	v_mov_b32_e32 v3, 0
	v_mov_b32_e32 v2, 0
	s_and_saveexec_b64 s[22:23], vcc
	s_cbranch_execz .LBB2_1002
; %bb.997:                              ;   in Loop: Header=BB2_124 Depth=2
	v_cmp_ne_u16_sdwa vcc, v61, s75 src0_sel:BYTE_0 src1_sel:DWORD
	v_bfrev_b32_e32 v2, 1
	s_and_saveexec_b64 s[56:57], vcc
	s_cbranch_execz .LBB2_1001
; %bb.998:                              ;   in Loop: Header=BB2_124 Depth=2
	v_and_b32_e32 v9, 0x7f, v61
	v_cmp_ne_u32_e32 vcc, s74, v9
	v_mov_b32_e32 v2, 0x7f800001
	s_and_saveexec_b64 s[58:59], vcc
	s_cbranch_execz .LBB2_1000
; %bb.999:                              ;   in Loop: Header=BB2_124 Depth=2
	v_and_b32_e32 v2, 7, v61
	v_ffbh_u32_e32 v2, v2
	v_min_u32_e32 v2, 32, v2
	v_subrev_u32_e32 v21, 28, v2
	v_cmp_gt_u32_e32 vcc, 8, v9
	v_lshrrev_b32_e32 v15, 3, v9
	v_cndmask_b32_e32 v9, 0, v21, vcc
	v_sub_u32_e32 v2, 29, v2
	v_lshlrev_b64 v[22:23], v9, v[38:39]
	v_cndmask_b32_e32 v2, v15, v2, vcc
	v_lshlrev_b32_e32 v9, 20, v22
	v_lshlrev_b32_e32 v15, 24, v38
	v_and_b32_e32 v9, 0x700000, v9
	v_and_b32_e32 v15, 0x80000000, v15
	v_lshl_add_u32 v2, v2, 23, v20
	v_or3_b32 v2, v15, v2, v9
.LBB2_1000:                             ;   in Loop: Header=BB2_124 Depth=2
	s_or_b64 exec, exec, s[58:59]
.LBB2_1001:                             ;   in Loop: Header=BB2_124 Depth=2
	s_or_b64 exec, exec, s[56:57]
.LBB2_1002:                             ;   in Loop: Header=BB2_124 Depth=2
	s_or_b64 exec, exec, s[22:23]
	v_cmp_ne_u16_sdwa vcc, v17, v39 src0_sel:BYTE_0 src1_sel:DWORD
	s_and_saveexec_b64 s[22:23], vcc
	s_cbranch_execz .LBB2_1008
; %bb.1003:                             ;   in Loop: Header=BB2_124 Depth=2
	v_cmp_ne_u16_sdwa vcc, v17, s75 src0_sel:BYTE_0 src1_sel:DWORD
	v_bfrev_b32_e32 v3, 1
	s_and_saveexec_b64 s[56:57], vcc
	s_cbranch_execz .LBB2_1007
; %bb.1004:                             ;   in Loop: Header=BB2_124 Depth=2
	v_and_b32_e32 v9, 0x7f, v17
	v_cmp_ne_u32_e32 vcc, s74, v9
	v_mov_b32_e32 v3, 0x7f800001
	s_and_saveexec_b64 s[58:59], vcc
	s_cbranch_execz .LBB2_1006
; %bb.1005:                             ;   in Loop: Header=BB2_124 Depth=2
	v_and_b32_e32 v3, 7, v17
	v_ffbh_u32_e32 v3, v3
	v_min_u32_e32 v3, 32, v3
	v_subrev_u32_e32 v21, 28, v3
	v_cmp_gt_u32_e32 vcc, 8, v9
	v_mov_b32_e32 v22, v17
	v_mov_b32_e32 v23, v39
	v_lshrrev_b32_e32 v15, 3, v9
	v_cndmask_b32_e32 v9, 0, v21, vcc
	v_sub_u32_e32 v3, 29, v3
	v_lshlrev_b64 v[52:53], v9, v[22:23]
	v_cndmask_b32_e32 v3, v15, v3, vcc
	v_lshlrev_b32_e32 v9, 20, v52
	v_lshlrev_b32_e32 v15, 24, v22
	v_and_b32_e32 v9, 0x700000, v9
	v_and_b32_e32 v15, 0x80000000, v15
	v_lshl_add_u32 v3, v3, 23, v20
	v_or3_b32 v3, v15, v3, v9
.LBB2_1006:                             ;   in Loop: Header=BB2_124 Depth=2
	s_or_b64 exec, exec, s[58:59]
.LBB2_1007:                             ;   in Loop: Header=BB2_124 Depth=2
	s_or_b64 exec, exec, s[56:57]
.LBB2_1008:                             ;   in Loop: Header=BB2_124 Depth=2
	s_or_b64 exec, exec, s[22:23]
	v_add_f32_e32 v21, v2, v3
	v_and_b32_sdwa v15, v21, s75 dst_sel:DWORD dst_unused:UNUSED_PAD src0_sel:BYTE_3 src1_sel:DWORD
	v_and_b32_e32 v22, 0x7f800000, v21
	v_mov_b32_e32 v23, v39
	v_and_b32_e32 v2, 0x7fffff, v21
	v_mov_b32_e32 v3, v39
	v_or_b32_e32 v9, 0x7e, v15
	v_cmp_ne_u64_e32 vcc, s[42:43], v[22:23]
	s_and_saveexec_b64 s[22:23], vcc
	s_xor_b64 s[56:57], exec, s[22:23]
	s_cbranch_execz .LBB2_1018
; %bb.1009:                             ;   in Loop: Header=BB2_124 Depth=2
	v_and_b32_e32 v22, 0x7fffffff, v21
	v_mov_b32_e32 v23, v39
	v_cmp_gt_u64_e32 vcc, s[44:45], v[22:23]
	s_and_saveexec_b64 s[58:59], vcc
	s_cbranch_execz .LBB2_1017
; %bb.1010:                             ;   in Loop: Header=BB2_124 Depth=2
	v_cmp_ne_u32_e32 vcc, 0, v21
	v_mov_b32_e32 v9, 0
	s_and_saveexec_b64 s[60:61], vcc
	s_cbranch_execz .LBB2_1016
; %bb.1011:                             ;   in Loop: Header=BB2_124 Depth=2
	v_bfe_u32 v9, v21, 23, 8
	v_sub_u32_e32 v22, 0x79, v9
	v_cmp_gt_u32_e32 vcc, s76, v9
	v_add_u32_e32 v21, 0xffffff81, v9
	v_cndmask_b32_e32 v22, 0, v22, vcc
	v_cmp_eq_u32_e32 vcc, 0, v9
	v_mov_b32_e32 v9, 0xffffff82
	v_cndmask_b32_e32 v9, v21, v9, vcc
	v_cndmask_b32_e32 v21, v22, v18, vcc
	v_or_b32_e32 v23, 0x800000, v2
	v_add_u32_e32 v22, 20, v21
	v_cndmask_b32_e32 v2, v23, v2, vcc
	v_lshlrev_b64 v[22:23], v22, -1
	v_not_b32_e32 v22, v22
	v_and_b32_e32 v22, v2, v22
	v_add_u32_e32 v33, 19, v21
	v_lshrrev_b64 v[2:3], v21, v[2:3]
	v_not_b32_e32 v23, v23
	v_lshlrev_b64 v[52:53], v33, 1
	v_lshrrev_b32_e32 v33, 23, v2
	v_and_b32_e32 v23, 0, v23
	v_add3_u32 v33, v21, v9, v33
	v_bfe_u32 v9, v2, 20, 1
	v_add_u32_e32 v9, -1, v9
	v_cmp_eq_u64_e32 vcc, v[22:23], v[52:53]
	v_cndmask_b32_e32 v9, 0, v9, vcc
	v_add_u32_e32 v9, v9, v2
	v_and_b32_e32 v9, 0xfffff, v9
	v_add_co_u32_e32 v2, vcc, v9, v2
	v_add_u32_e32 v21, 6, v33
	v_addc_co_u32_e32 v3, vcc, 0, v3, vcc
	v_cmp_ne_u32_e32 vcc, 0, v21
                                        ; implicit-def: $vgpr9
	s_and_saveexec_b64 s[22:23], vcc
	s_xor_b64 s[22:23], exec, s[22:23]
; %bb.1012:                             ;   in Loop: Header=BB2_124 Depth=2
	v_add_u32_e32 v9, 7, v33
	v_cmp_lt_u64_e32 vcc, s[48:49], v[2:3]
	v_cndmask_b32_e32 v9, v21, v9, vcc
	v_cndmask_b32_e64 v21, 0, 1, vcc
	v_lshrrev_b64 v[2:3], v21, v[2:3]
; %bb.1013:                             ;   in Loop: Header=BB2_124 Depth=2
	s_andn2_saveexec_b64 s[22:23], s[22:23]
; %bb.1014:                             ;   in Loop: Header=BB2_124 Depth=2
	v_bfe_u32 v9, v2, 23, 1
; %bb.1015:                             ;   in Loop: Header=BB2_124 Depth=2
	s_or_b64 exec, exec, s[22:23]
	v_lshrrev_b64 v[2:3], 20, v[2:3]
	v_cmp_gt_i32_e32 vcc, 16, v9
	v_cndmask_b32_e32 v3, 0, v3, vcc
	v_cndmask_b32_e32 v2, 7, v2, vcc
	v_cmp_eq_u64_e64 s[22:23], 0, v[2:3]
	v_min_i32_e32 v3, 15, v9
	v_cmp_eq_u32_e32 vcc, 0, v9
	v_lshlrev_b32_e32 v3, 3, v3
	v_and_or_b32 v2, v2, 7, v3
	s_and_b64 s[22:23], vcc, s[22:23]
	v_cndmask_b32_e64 v2, v2, 0, s[22:23]
	v_or_b32_e32 v9, v2, v15
.LBB2_1016:                             ;   in Loop: Header=BB2_124 Depth=2
	s_or_b64 exec, exec, s[60:61]
.LBB2_1017:                             ;   in Loop: Header=BB2_124 Depth=2
	s_or_b64 exec, exec, s[58:59]
                                        ; implicit-def: $vgpr21
                                        ; implicit-def: $vgpr2_vgpr3
.LBB2_1018:                             ;   in Loop: Header=BB2_124 Depth=2
	s_andn2_saveexec_b64 s[22:23], s[56:57]
; %bb.1019:                             ;   in Loop: Header=BB2_124 Depth=2
	v_or_b32_sdwa v15, v21, s74 dst_sel:DWORD dst_unused:UNUSED_PAD src0_sel:BYTE_3 src1_sel:DWORD
	v_cmp_eq_u64_e32 vcc, 0, v[2:3]
	v_cndmask_b32_e32 v9, v15, v9, vcc
; %bb.1020:                             ;   in Loop: Header=BB2_124 Depth=2
	s_or_b64 exec, exec, s[22:23]
	v_lshrrev_b16_e32 v2, 8, v14
	v_cmp_ne_u16_e32 vcc, 0, v2
	v_mov_b32_e32 v3, 0
	v_mov_b32_e32 v15, 0
	s_and_saveexec_b64 s[22:23], vcc
	s_cbranch_execz .LBB2_1026
; %bb.1021:                             ;   in Loop: Header=BB2_124 Depth=2
	v_cmp_ne_u16_e32 vcc, s75, v2
	v_bfrev_b32_e32 v15, 1
	s_and_saveexec_b64 s[56:57], vcc
	s_cbranch_execz .LBB2_1025
; %bb.1022:                             ;   in Loop: Header=BB2_124 Depth=2
	v_and_b32_e32 v21, 0x7f, v2
	v_cmp_ne_u32_e32 vcc, s74, v21
	v_mov_b32_e32 v15, 0x7f800001
	s_and_saveexec_b64 s[58:59], vcc
	s_cbranch_execz .LBB2_1024
; %bb.1023:                             ;   in Loop: Header=BB2_124 Depth=2
	v_and_b32_e32 v15, 7, v2
	v_ffbh_u32_e32 v22, v15
	v_min_u32_e32 v36, 32, v22
	v_subrev_u32_e32 v22, 28, v36
	v_lshlrev_b64 v[22:23], v22, v[2:3]
	v_lshrrev_b32_e32 v33, 3, v21
	v_sub_u32_e32 v2, 29, v36
	v_and_b32_e32 v22, 7, v22
	v_cmp_gt_u32_e32 vcc, 8, v21
	v_cndmask_b32_e32 v2, v33, v2, vcc
	v_cndmask_b32_e32 v15, v15, v22, vcc
	v_lshlrev_b32_e32 v14, 16, v14
	v_lshlrev_b32_e32 v15, 20, v15
	v_and_b32_e32 v14, 0x80000000, v14
	v_lshl_add_u32 v2, v2, 23, v20
	v_or3_b32 v15, v14, v2, v15
.LBB2_1024:                             ;   in Loop: Header=BB2_124 Depth=2
	s_or_b64 exec, exec, s[58:59]
.LBB2_1025:                             ;   in Loop: Header=BB2_124 Depth=2
	s_or_b64 exec, exec, s[56:57]
.LBB2_1026:                             ;   in Loop: Header=BB2_124 Depth=2
	s_or_b64 exec, exec, s[22:23]
	v_mov_b32_e32 v2, v17
	v_lshrrev_b16_e32 v14, 8, v2
	v_cmp_ne_u16_e32 vcc, 0, v14
	s_and_saveexec_b64 s[22:23], vcc
	s_cbranch_execz .LBB2_1032
; %bb.1027:                             ;   in Loop: Header=BB2_124 Depth=2
	v_cmp_ne_u16_e32 vcc, s75, v14
	v_bfrev_b32_e32 v3, 1
	s_and_saveexec_b64 s[56:57], vcc
	s_cbranch_execz .LBB2_1031
; %bb.1028:                             ;   in Loop: Header=BB2_124 Depth=2
	v_and_b32_e32 v21, 0x7f, v14
	v_cmp_ne_u32_e32 vcc, s74, v21
	v_mov_b32_e32 v3, 0x7f800001
	s_and_saveexec_b64 s[58:59], vcc
	s_cbranch_execz .LBB2_1030
; %bb.1029:                             ;   in Loop: Header=BB2_124 Depth=2
	v_and_b32_e32 v3, 7, v14
	v_ffbh_u32_e32 v22, v3
	v_min_u32_e32 v36, 32, v22
	v_subrev_u32_e32 v22, 28, v36
	v_lshlrev_b64 v[22:23], v22, v[14:15]
	v_lshrrev_b32_e32 v33, 3, v21
	v_sub_u32_e32 v14, 29, v36
	v_and_b32_e32 v22, 7, v22
	v_cmp_gt_u32_e32 vcc, 8, v21
	v_cndmask_b32_e32 v14, v33, v14, vcc
	v_cndmask_b32_e32 v3, v3, v22, vcc
	v_lshlrev_b32_e32 v2, 16, v2
	v_lshlrev_b32_e32 v3, 20, v3
	v_and_b32_e32 v2, 0x80000000, v2
	v_lshl_add_u32 v14, v14, 23, v20
	v_or3_b32 v3, v2, v14, v3
.LBB2_1030:                             ;   in Loop: Header=BB2_124 Depth=2
	s_or_b64 exec, exec, s[58:59]
.LBB2_1031:                             ;   in Loop: Header=BB2_124 Depth=2
	s_or_b64 exec, exec, s[56:57]
.LBB2_1032:                             ;   in Loop: Header=BB2_124 Depth=2
	s_or_b64 exec, exec, s[22:23]
	v_add_f32_e32 v21, v15, v3
	v_and_b32_sdwa v14, v21, s75 dst_sel:DWORD dst_unused:UNUSED_PAD src0_sel:BYTE_3 src1_sel:DWORD
	v_and_b32_e32 v22, 0x7f800000, v21
	v_mov_b32_e32 v23, v39
	v_and_b32_e32 v2, 0x7fffff, v21
	v_mov_b32_e32 v3, v39
	v_or_b32_e32 v15, 0x7e, v14
	v_cmp_ne_u64_e32 vcc, s[42:43], v[22:23]
	s_and_saveexec_b64 s[22:23], vcc
	s_xor_b64 s[56:57], exec, s[22:23]
	s_cbranch_execz .LBB2_1042
; %bb.1033:                             ;   in Loop: Header=BB2_124 Depth=2
	v_and_b32_e32 v22, 0x7fffffff, v21
	v_mov_b32_e32 v23, v39
	v_cmp_gt_u64_e32 vcc, s[44:45], v[22:23]
	s_and_saveexec_b64 s[58:59], vcc
	s_cbranch_execz .LBB2_1041
; %bb.1034:                             ;   in Loop: Header=BB2_124 Depth=2
	v_cmp_ne_u32_e32 vcc, 0, v21
	v_mov_b32_e32 v15, 0
	s_and_saveexec_b64 s[60:61], vcc
	s_cbranch_execz .LBB2_1040
; %bb.1035:                             ;   in Loop: Header=BB2_124 Depth=2
	v_bfe_u32 v15, v21, 23, 8
	v_sub_u32_e32 v22, 0x79, v15
	v_cmp_gt_u32_e32 vcc, s76, v15
	v_add_u32_e32 v21, 0xffffff81, v15
	v_cndmask_b32_e32 v22, 0, v22, vcc
	v_cmp_eq_u32_e32 vcc, 0, v15
	v_mov_b32_e32 v15, 0xffffff82
	v_cndmask_b32_e32 v15, v21, v15, vcc
	v_cndmask_b32_e32 v21, v22, v18, vcc
	v_or_b32_e32 v23, 0x800000, v2
	v_add_u32_e32 v22, 20, v21
	v_cndmask_b32_e32 v2, v23, v2, vcc
	v_lshlrev_b64 v[22:23], v22, -1
	v_not_b32_e32 v22, v22
	v_and_b32_e32 v22, v2, v22
	v_add_u32_e32 v33, 19, v21
	v_lshrrev_b64 v[2:3], v21, v[2:3]
	v_not_b32_e32 v23, v23
	v_lshlrev_b64 v[52:53], v33, 1
	v_lshrrev_b32_e32 v33, 23, v2
	v_and_b32_e32 v23, 0, v23
	v_add3_u32 v33, v21, v15, v33
	v_bfe_u32 v15, v2, 20, 1
	v_add_u32_e32 v15, -1, v15
	v_cmp_eq_u64_e32 vcc, v[22:23], v[52:53]
	v_cndmask_b32_e32 v15, 0, v15, vcc
	v_add_u32_e32 v15, v15, v2
	v_and_b32_e32 v15, 0xfffff, v15
	v_add_co_u32_e32 v2, vcc, v15, v2
	v_add_u32_e32 v21, 6, v33
	v_addc_co_u32_e32 v3, vcc, 0, v3, vcc
	v_cmp_ne_u32_e32 vcc, 0, v21
                                        ; implicit-def: $vgpr15
	s_and_saveexec_b64 s[22:23], vcc
	s_xor_b64 s[22:23], exec, s[22:23]
; %bb.1036:                             ;   in Loop: Header=BB2_124 Depth=2
	v_add_u32_e32 v15, 7, v33
	v_cmp_lt_u64_e32 vcc, s[48:49], v[2:3]
	v_cndmask_b32_e32 v15, v21, v15, vcc
	v_cndmask_b32_e64 v21, 0, 1, vcc
	v_lshrrev_b64 v[2:3], v21, v[2:3]
; %bb.1037:                             ;   in Loop: Header=BB2_124 Depth=2
	s_andn2_saveexec_b64 s[22:23], s[22:23]
; %bb.1038:                             ;   in Loop: Header=BB2_124 Depth=2
	v_bfe_u32 v15, v2, 23, 1
; %bb.1039:                             ;   in Loop: Header=BB2_124 Depth=2
	s_or_b64 exec, exec, s[22:23]
	v_lshrrev_b64 v[2:3], 20, v[2:3]
	v_cmp_gt_i32_e32 vcc, 16, v15
	v_cndmask_b32_e32 v3, 0, v3, vcc
	v_cndmask_b32_e32 v2, 7, v2, vcc
	v_cmp_eq_u64_e64 s[22:23], 0, v[2:3]
	v_min_i32_e32 v3, 15, v15
	v_cmp_eq_u32_e32 vcc, 0, v15
	v_lshlrev_b32_e32 v3, 3, v3
	v_and_or_b32 v2, v2, 7, v3
	s_and_b64 s[22:23], vcc, s[22:23]
	v_cndmask_b32_e64 v2, v2, 0, s[22:23]
	v_or_b32_e32 v15, v2, v14
.LBB2_1040:                             ;   in Loop: Header=BB2_124 Depth=2
	s_or_b64 exec, exec, s[60:61]
.LBB2_1041:                             ;   in Loop: Header=BB2_124 Depth=2
	s_or_b64 exec, exec, s[58:59]
                                        ; implicit-def: $vgpr21
                                        ; implicit-def: $vgpr2_vgpr3
.LBB2_1042:                             ;   in Loop: Header=BB2_124 Depth=2
	s_andn2_saveexec_b64 s[22:23], s[56:57]
; %bb.1043:                             ;   in Loop: Header=BB2_124 Depth=2
	v_or_b32_sdwa v14, v21, s74 dst_sel:DWORD dst_unused:UNUSED_PAD src0_sel:BYTE_3 src1_sel:DWORD
	v_cmp_eq_u64_e32 vcc, 0, v[2:3]
	v_cndmask_b32_e32 v15, v14, v15, vcc
; %bb.1044:                             ;   in Loop: Header=BB2_124 Depth=2
	s_or_b64 exec, exec, s[22:23]
	v_lshrrev_b32_e32 v2, 16, v38
	v_cmp_ne_u16_sdwa vcc, v2, v39 src0_sel:BYTE_0 src1_sel:DWORD
	v_mov_b32_e32 v3, 0
	v_mov_b32_e32 v14, 0
	s_and_saveexec_b64 s[22:23], vcc
	s_cbranch_execz .LBB2_1050
; %bb.1045:                             ;   in Loop: Header=BB2_124 Depth=2
	v_cmp_ne_u16_sdwa vcc, v2, s75 src0_sel:BYTE_0 src1_sel:DWORD
	v_bfrev_b32_e32 v14, 1
	s_and_saveexec_b64 s[56:57], vcc
	s_cbranch_execz .LBB2_1049
; %bb.1046:                             ;   in Loop: Header=BB2_124 Depth=2
	v_bfe_u32 v21, v38, 16, 7
	v_cmp_ne_u32_e32 vcc, s74, v21
	v_mov_b32_e32 v14, 0x7f800001
	s_and_saveexec_b64 s[58:59], vcc
	s_cbranch_execz .LBB2_1048
; %bb.1047:                             ;   in Loop: Header=BB2_124 Depth=2
	v_and_b32_e32 v14, 7, v2
	v_ffbh_u32_e32 v22, v14
	v_min_u32_e32 v36, 32, v22
	v_subrev_u32_e32 v22, 28, v36
	v_lshlrev_b64 v[22:23], v22, v[2:3]
	v_lshrrev_b32_e32 v33, 3, v21
	v_sub_u32_e32 v23, 29, v36
	v_and_b32_e32 v22, 7, v22
	v_cmp_gt_u32_e32 vcc, 8, v21
	v_cndmask_b32_e32 v21, v33, v23, vcc
	v_cndmask_b32_e32 v14, v14, v22, vcc
	v_lshlrev_b32_e32 v2, 24, v2
	v_lshlrev_b32_e32 v14, 20, v14
	v_and_b32_e32 v2, 0x80000000, v2
	v_lshl_add_u32 v21, v21, 23, v20
	v_or3_b32 v14, v2, v21, v14
.LBB2_1048:                             ;   in Loop: Header=BB2_124 Depth=2
	s_or_b64 exec, exec, s[58:59]
.LBB2_1049:                             ;   in Loop: Header=BB2_124 Depth=2
	s_or_b64 exec, exec, s[56:57]
.LBB2_1050:                             ;   in Loop: Header=BB2_124 Depth=2
	s_or_b64 exec, exec, s[22:23]
	v_lshrrev_b32_e32 v2, 16, v17
	v_cmp_ne_u16_sdwa vcc, v2, v39 src0_sel:BYTE_0 src1_sel:DWORD
	s_and_saveexec_b64 s[22:23], vcc
	s_cbranch_execz .LBB2_1056
; %bb.1051:                             ;   in Loop: Header=BB2_124 Depth=2
	v_cmp_ne_u16_sdwa vcc, v2, s75 src0_sel:BYTE_0 src1_sel:DWORD
	v_bfrev_b32_e32 v3, 1
	s_and_saveexec_b64 s[56:57], vcc
	s_cbranch_execz .LBB2_1055
; %bb.1052:                             ;   in Loop: Header=BB2_124 Depth=2
	v_bfe_u32 v21, v17, 16, 7
	v_cmp_ne_u32_e32 vcc, s74, v21
	v_mov_b32_e32 v3, 0x7f800001
	s_and_saveexec_b64 s[58:59], vcc
	s_cbranch_execz .LBB2_1054
; %bb.1053:                             ;   in Loop: Header=BB2_124 Depth=2
	v_and_b32_e32 v22, 7, v2
	v_ffbh_u32_e32 v3, v22
	v_min_u32_e32 v33, 32, v3
	v_subrev_u32_e32 v3, 28, v33
	v_lshlrev_b64 v[2:3], v3, v[2:3]
	v_lshrrev_b32_e32 v23, 3, v21
	v_sub_u32_e32 v3, 29, v33
	v_and_b32_e32 v2, 7, v2
	v_cmp_gt_u32_e32 vcc, 8, v21
	v_cndmask_b32_e32 v3, v23, v3, vcc
	v_cndmask_b32_e32 v2, v22, v2, vcc
	v_lshlrev_b32_e32 v21, 8, v17
	v_lshlrev_b32_e32 v2, 20, v2
	v_and_b32_e32 v21, 0x80000000, v21
	v_lshl_add_u32 v3, v3, 23, v20
	v_or3_b32 v3, v21, v3, v2
.LBB2_1054:                             ;   in Loop: Header=BB2_124 Depth=2
	s_or_b64 exec, exec, s[58:59]
.LBB2_1055:                             ;   in Loop: Header=BB2_124 Depth=2
	s_or_b64 exec, exec, s[56:57]
.LBB2_1056:                             ;   in Loop: Header=BB2_124 Depth=2
	s_or_b64 exec, exec, s[22:23]
	v_add_f32_e32 v33, v14, v3
	v_and_b32_sdwa v14, v33, s75 dst_sel:DWORD dst_unused:UNUSED_PAD src0_sel:BYTE_3 src1_sel:DWORD
	v_and_b32_e32 v22, 0x7f800000, v33
	v_mov_b32_e32 v23, v39
	v_and_b32_e32 v2, 0x7fffff, v33
	v_mov_b32_e32 v3, v39
	v_or_b32_e32 v21, 0x7e, v14
	v_cmp_ne_u64_e32 vcc, s[42:43], v[22:23]
	s_and_saveexec_b64 s[22:23], vcc
	s_xor_b64 s[56:57], exec, s[22:23]
	s_cbranch_execz .LBB2_1066
; %bb.1057:                             ;   in Loop: Header=BB2_124 Depth=2
	v_and_b32_e32 v22, 0x7fffffff, v33
	v_mov_b32_e32 v23, v39
	v_cmp_gt_u64_e32 vcc, s[44:45], v[22:23]
	s_and_saveexec_b64 s[58:59], vcc
	s_cbranch_execz .LBB2_1065
; %bb.1058:                             ;   in Loop: Header=BB2_124 Depth=2
	v_cmp_ne_u32_e32 vcc, 0, v33
	v_mov_b32_e32 v21, 0
	s_and_saveexec_b64 s[60:61], vcc
	s_cbranch_execz .LBB2_1064
; %bb.1059:                             ;   in Loop: Header=BB2_124 Depth=2
	v_bfe_u32 v21, v33, 23, 8
	v_sub_u32_e32 v23, 0x79, v21
	v_cmp_gt_u32_e32 vcc, s76, v21
	v_cndmask_b32_e32 v23, 0, v23, vcc
	v_cmp_eq_u32_e32 vcc, 0, v21
	v_add_u32_e32 v22, 0xffffff81, v21
	v_mov_b32_e32 v21, 0xffffff82
	v_cndmask_b32_e32 v36, v23, v18, vcc
	v_cndmask_b32_e32 v21, v22, v21, vcc
	v_add_u32_e32 v22, 20, v36
	v_or_b32_e32 v33, 0x800000, v2
	v_lshlrev_b64 v[22:23], v22, -1
	v_cndmask_b32_e32 v2, v33, v2, vcc
	v_not_b32_e32 v22, v22
	v_and_b32_e32 v22, v2, v22
	v_add_u32_e32 v33, 19, v36
	v_lshrrev_b64 v[2:3], v36, v[2:3]
	v_not_b32_e32 v23, v23
	v_lshlrev_b64 v[52:53], v33, 1
	v_lshrrev_b32_e32 v33, 23, v2
	v_and_b32_e32 v23, 0, v23
	v_add3_u32 v36, v36, v21, v33
	v_bfe_u32 v21, v2, 20, 1
	v_add_u32_e32 v21, -1, v21
	v_cmp_eq_u64_e32 vcc, v[22:23], v[52:53]
	v_cndmask_b32_e32 v21, 0, v21, vcc
	v_add_u32_e32 v21, v21, v2
	v_and_b32_e32 v21, 0xfffff, v21
	v_add_co_u32_e32 v2, vcc, v21, v2
	v_add_u32_e32 v33, 6, v36
	v_addc_co_u32_e32 v3, vcc, 0, v3, vcc
	v_cmp_ne_u32_e32 vcc, 0, v33
                                        ; implicit-def: $vgpr21
	s_and_saveexec_b64 s[22:23], vcc
	s_xor_b64 s[22:23], exec, s[22:23]
; %bb.1060:                             ;   in Loop: Header=BB2_124 Depth=2
	v_cmp_lt_u64_e32 vcc, s[48:49], v[2:3]
	v_add_u32_e32 v21, 7, v36
	v_cndmask_b32_e64 v22, 0, 1, vcc
	v_cndmask_b32_e32 v21, v33, v21, vcc
	v_lshrrev_b64 v[2:3], v22, v[2:3]
; %bb.1061:                             ;   in Loop: Header=BB2_124 Depth=2
	s_andn2_saveexec_b64 s[22:23], s[22:23]
; %bb.1062:                             ;   in Loop: Header=BB2_124 Depth=2
	v_bfe_u32 v21, v2, 23, 1
; %bb.1063:                             ;   in Loop: Header=BB2_124 Depth=2
	s_or_b64 exec, exec, s[22:23]
	v_lshrrev_b64 v[2:3], 20, v[2:3]
	v_cmp_gt_i32_e32 vcc, 16, v21
	v_cndmask_b32_e32 v3, 0, v3, vcc
	v_cndmask_b32_e32 v2, 7, v2, vcc
	v_cmp_eq_u64_e64 s[22:23], 0, v[2:3]
	v_min_i32_e32 v3, 15, v21
	v_lshlrev_b32_e32 v3, 3, v3
	v_cmp_eq_u32_e32 vcc, 0, v21
	v_and_b32_e32 v3, 0xf8, v3
	v_and_or_b32 v2, v2, 7, v3
	s_and_b64 s[22:23], vcc, s[22:23]
	v_cndmask_b32_e64 v2, v2, 0, s[22:23]
	v_or_b32_e32 v21, v2, v14
.LBB2_1064:                             ;   in Loop: Header=BB2_124 Depth=2
	s_or_b64 exec, exec, s[60:61]
.LBB2_1065:                             ;   in Loop: Header=BB2_124 Depth=2
	s_or_b64 exec, exec, s[58:59]
                                        ; implicit-def: $vgpr33
                                        ; implicit-def: $vgpr2_vgpr3
.LBB2_1066:                             ;   in Loop: Header=BB2_124 Depth=2
	s_andn2_saveexec_b64 s[22:23], s[56:57]
; %bb.1067:                             ;   in Loop: Header=BB2_124 Depth=2
	v_or_b32_sdwa v14, v33, s74 dst_sel:DWORD dst_unused:UNUSED_PAD src0_sel:BYTE_3 src1_sel:DWORD
	v_cmp_eq_u64_e32 vcc, 0, v[2:3]
	v_cndmask_b32_e32 v21, v14, v21, vcc
; %bb.1068:                             ;   in Loop: Header=BB2_124 Depth=2
	s_or_b64 exec, exec, s[22:23]
	v_cmp_lt_u32_e32 vcc, s47, v38
	v_mov_b32_e32 v3, 0
	v_mov_b32_e32 v14, 0
	s_and_saveexec_b64 s[22:23], vcc
	s_cbranch_execz .LBB2_1074
; %bb.1069:                             ;   in Loop: Header=BB2_124 Depth=2
	v_lshrrev_b32_e32 v2, 24, v38
	v_cmp_ne_u32_sdwa vcc, v38, s75 src0_sel:BYTE_3 src1_sel:DWORD
	v_bfrev_b32_e32 v14, 1
	s_and_saveexec_b64 s[56:57], vcc
	s_cbranch_execz .LBB2_1073
; %bb.1070:                             ;   in Loop: Header=BB2_124 Depth=2
	v_bfe_u32 v33, v38, 24, 7
	v_cmp_ne_u32_e32 vcc, s74, v33
	v_mov_b32_e32 v14, 0x7f800001
	s_and_saveexec_b64 s[58:59], vcc
	s_cbranch_execz .LBB2_1072
; %bb.1071:                             ;   in Loop: Header=BB2_124 Depth=2
	v_and_b32_e32 v14, 7, v2
	v_ffbh_u32_e32 v22, v14
	v_min_u32_e32 v48, 32, v22
	v_subrev_u32_e32 v22, 28, v48
	v_lshlrev_b64 v[22:23], v22, v[2:3]
	v_and_b32_e32 v22, 7, v22
	v_cmp_gt_u32_e32 vcc, 8, v33
	v_lshrrev_b32_e32 v36, 3, v33
	v_sub_u32_e32 v2, 29, v48
	v_cndmask_b32_e32 v14, v14, v22, vcc
	v_mov_b32_e32 v22, 24
	v_cndmask_b32_e32 v2, v36, v2, vcc
	v_lshlrev_b32_sdwa v22, v22, v38 dst_sel:DWORD dst_unused:UNUSED_PAD src0_sel:DWORD src1_sel:BYTE_3
	v_lshlrev_b32_e32 v14, 20, v14
	v_and_b32_e32 v22, 0x80000000, v22
	v_lshl_add_u32 v2, v2, 23, v20
	v_or3_b32 v14, v22, v2, v14
.LBB2_1072:                             ;   in Loop: Header=BB2_124 Depth=2
	s_or_b64 exec, exec, s[58:59]
.LBB2_1073:                             ;   in Loop: Header=BB2_124 Depth=2
	s_or_b64 exec, exec, s[56:57]
.LBB2_1074:                             ;   in Loop: Header=BB2_124 Depth=2
	s_or_b64 exec, exec, s[22:23]
	v_cmp_lt_u64_e32 vcc, s[46:47], v[16:17]
	s_and_saveexec_b64 s[22:23], vcc
	s_cbranch_execz .LBB2_1080
; %bb.1075:                             ;   in Loop: Header=BB2_124 Depth=2
	v_lshrrev_b32_e32 v2, 24, v17
	v_cmp_ne_u32_e32 vcc, s75, v2
	v_bfrev_b32_e32 v3, 1
	s_and_saveexec_b64 s[56:57], vcc
	s_cbranch_execz .LBB2_1079
; %bb.1076:                             ;   in Loop: Header=BB2_124 Depth=2
	v_bfe_u32 v16, v17, 24, 7
	v_cmp_ne_u32_e32 vcc, s74, v16
	v_mov_b32_e32 v3, 0x7f800001
	s_and_saveexec_b64 s[58:59], vcc
	s_cbranch_execz .LBB2_1078
; %bb.1077:                             ;   in Loop: Header=BB2_124 Depth=2
	v_and_b32_e32 v3, 7, v2
	v_ffbh_u32_e32 v22, v3
	v_min_u32_e32 v33, 32, v22
	v_subrev_u32_e32 v22, 28, v33
	v_lshlrev_b64 v[22:23], v22, v[2:3]
	v_lshrrev_b32_e32 v17, 3, v16
	v_sub_u32_e32 v23, 29, v33
	v_and_b32_e32 v22, 7, v22
	v_cmp_gt_u32_e32 vcc, 8, v16
	v_cndmask_b32_e32 v16, v17, v23, vcc
	v_cndmask_b32_e32 v3, v3, v22, vcc
	v_lshlrev_b32_e32 v2, 24, v2
	v_lshlrev_b32_e32 v3, 20, v3
	v_and_b32_e32 v2, 0x80000000, v2
	v_lshl_add_u32 v16, v16, 23, v20
	v_or3_b32 v3, v2, v16, v3
.LBB2_1078:                             ;   in Loop: Header=BB2_124 Depth=2
	s_or_b64 exec, exec, s[58:59]
.LBB2_1079:                             ;   in Loop: Header=BB2_124 Depth=2
	s_or_b64 exec, exec, s[56:57]
.LBB2_1080:                             ;   in Loop: Header=BB2_124 Depth=2
	s_or_b64 exec, exec, s[22:23]
	v_add_f32_e32 v2, v14, v3
	v_and_b32_sdwa v14, v2, s75 dst_sel:DWORD dst_unused:UNUSED_PAD src0_sel:BYTE_3 src1_sel:DWORD
	v_and_b32_e32 v22, 0x7f800000, v2
	v_mov_b32_e32 v23, v39
	v_and_b32_e32 v38, 0x7fffff, v2
	v_or_b32_e32 v16, 0x7e, v14
	v_cmp_ne_u64_e32 vcc, s[42:43], v[22:23]
	s_and_saveexec_b64 s[22:23], vcc
	s_xor_b64 s[56:57], exec, s[22:23]
	s_cbranch_execz .LBB2_1090
; %bb.1081:                             ;   in Loop: Header=BB2_124 Depth=2
	v_and_b32_e32 v22, 0x7fffffff, v2
	v_mov_b32_e32 v23, v39
	v_cmp_gt_u64_e32 vcc, s[44:45], v[22:23]
	s_and_saveexec_b64 s[58:59], vcc
	s_cbranch_execz .LBB2_1089
; %bb.1082:                             ;   in Loop: Header=BB2_124 Depth=2
	v_cmp_ne_u32_e32 vcc, 0, v2
	v_mov_b32_e32 v16, 0
	s_and_saveexec_b64 s[60:61], vcc
	s_cbranch_execz .LBB2_1088
; %bb.1083:                             ;   in Loop: Header=BB2_124 Depth=2
	v_bfe_u32 v2, v2, 23, 8
	v_sub_u32_e32 v16, 0x79, v2
	v_cmp_gt_u32_e32 vcc, s76, v2
	v_cndmask_b32_e32 v16, 0, v16, vcc
	v_cmp_eq_u32_e32 vcc, 0, v2
	v_add_u32_e32 v3, 0xffffff81, v2
	v_or_b32_e32 v17, 0x800000, v38
	v_mov_b32_e32 v2, 0xffffff82
	v_cndmask_b32_e32 v16, v16, v18, vcc
	v_cndmask_b32_e32 v33, v3, v2, vcc
	;; [unrolled: 1-line block ×3, first 2 shown]
	v_add_u32_e32 v2, 20, v16
	v_lshlrev_b64 v[2:3], v2, -1
	v_add_u32_e32 v17, 19, v16
	v_lshrrev_b64 v[52:53], v16, v[38:39]
	v_not_b32_e32 v3, v3
	v_not_b32_e32 v2, v2
	v_lshlrev_b64 v[22:23], v17, 1
	v_lshrrev_b32_e32 v17, 23, v52
	v_and_b32_e32 v3, 0, v3
	v_and_b32_e32 v2, v38, v2
	v_add3_u32 v33, v16, v33, v17
	v_bfe_u32 v16, v52, 20, 1
	v_add_u32_e32 v16, -1, v16
	v_cmp_eq_u64_e32 vcc, v[2:3], v[22:23]
	v_cndmask_b32_e32 v2, 0, v16, vcc
	v_add_u32_e32 v2, v2, v52
	v_and_b32_e32 v2, 0xfffff, v2
	v_add_co_u32_e32 v2, vcc, v2, v52
	v_add_u32_e32 v17, 6, v33
	v_addc_co_u32_e32 v3, vcc, 0, v53, vcc
	v_cmp_ne_u32_e32 vcc, 0, v17
                                        ; implicit-def: $vgpr16
	s_and_saveexec_b64 s[22:23], vcc
	s_xor_b64 s[22:23], exec, s[22:23]
; %bb.1084:                             ;   in Loop: Header=BB2_124 Depth=2
	v_add_u32_e32 v16, 7, v33
	v_cmp_lt_u64_e32 vcc, s[48:49], v[2:3]
	v_cndmask_b32_e32 v16, v17, v16, vcc
	v_cndmask_b32_e64 v17, 0, 1, vcc
	v_lshrrev_b64 v[2:3], v17, v[2:3]
; %bb.1085:                             ;   in Loop: Header=BB2_124 Depth=2
	s_andn2_saveexec_b64 s[22:23], s[22:23]
; %bb.1086:                             ;   in Loop: Header=BB2_124 Depth=2
	v_bfe_u32 v16, v2, 23, 1
; %bb.1087:                             ;   in Loop: Header=BB2_124 Depth=2
	s_or_b64 exec, exec, s[22:23]
	v_lshrrev_b64 v[2:3], 20, v[2:3]
	v_cmp_gt_i32_e32 vcc, 16, v16
	v_cndmask_b32_e32 v3, 0, v3, vcc
	v_cndmask_b32_e32 v2, 7, v2, vcc
	v_cmp_eq_u64_e64 s[22:23], 0, v[2:3]
	v_min_i32_e32 v3, 15, v16
	v_lshlrev_b32_e32 v3, 3, v3
	v_cmp_eq_u32_e32 vcc, 0, v16
	v_and_b32_e32 v3, 0xf8, v3
	v_and_or_b32 v2, v2, 7, v3
	s_and_b64 s[22:23], vcc, s[22:23]
	v_cndmask_b32_e64 v2, v2, 0, s[22:23]
	v_or_b32_e32 v16, v2, v14
.LBB2_1088:                             ;   in Loop: Header=BB2_124 Depth=2
	s_or_b64 exec, exec, s[60:61]
.LBB2_1089:                             ;   in Loop: Header=BB2_124 Depth=2
	s_or_b64 exec, exec, s[58:59]
                                        ; implicit-def: $vgpr2
.LBB2_1090:                             ;   in Loop: Header=BB2_124 Depth=2
	s_andn2_saveexec_b64 s[22:23], s[56:57]
; %bb.1091:                             ;   in Loop: Header=BB2_124 Depth=2
	v_or_b32_sdwa v2, v2, s74 dst_sel:DWORD dst_unused:UNUSED_PAD src0_sel:BYTE_3 src1_sel:DWORD
	v_cmp_eq_u64_e32 vcc, 0, v[38:39]
	v_cndmask_b32_e32 v16, v2, v16, vcc
; %bb.1092:                             ;   in Loop: Header=BB2_124 Depth=2
	s_or_b64 exec, exec, s[22:23]
	v_lshlrev_b32_e32 v14, 8, v35
	v_cmp_ne_u16_sdwa vcc, v31, v39 src0_sel:BYTE_0 src1_sel:DWORD
	v_mov_b32_e32 v2, 0
	v_mov_b32_e32 v3, 0
	s_and_saveexec_b64 s[22:23], vcc
	s_cbranch_execz .LBB2_1098
; %bb.1093:                             ;   in Loop: Header=BB2_124 Depth=2
	v_cmp_ne_u16_sdwa vcc, v31, s75 src0_sel:BYTE_0 src1_sel:DWORD
	v_bfrev_b32_e32 v3, 1
	s_and_saveexec_b64 s[56:57], vcc
	s_cbranch_execz .LBB2_1097
; %bb.1094:                             ;   in Loop: Header=BB2_124 Depth=2
	v_and_b32_e32 v17, 0x7f, v31
	v_cmp_ne_u32_e32 vcc, s74, v17
	v_mov_b32_e32 v3, 0x7f800001
	s_and_saveexec_b64 s[58:59], vcc
	s_cbranch_execz .LBB2_1096
; %bb.1095:                             ;   in Loop: Header=BB2_124 Depth=2
	v_and_b32_e32 v3, 7, v31
	v_ffbh_u32_e32 v3, v3
	v_min_u32_e32 v3, 32, v3
	v_subrev_u32_e32 v33, 28, v3
	v_cmp_gt_u32_e32 vcc, 8, v17
	v_lshrrev_b32_e32 v23, 3, v17
	v_perm_b32 v22, v14, v31, s77
	v_sub_u32_e32 v3, 29, v3
	v_cndmask_b32_e32 v17, 0, v33, vcc
	v_cndmask_b32_e32 v3, v23, v3, vcc
	v_lshlrev_b64 v[22:23], v17, v[22:23]
	v_lshlrev_b32_e32 v17, 20, v22
	v_lshlrev_b32_e32 v22, 24, v31
	v_and_b32_e32 v17, 0x700000, v17
	v_and_b32_e32 v22, 0x80000000, v22
	v_lshl_add_u32 v3, v3, 23, v20
	v_or3_b32 v3, v22, v3, v17
.LBB2_1096:                             ;   in Loop: Header=BB2_124 Depth=2
	s_or_b64 exec, exec, s[58:59]
.LBB2_1097:                             ;   in Loop: Header=BB2_124 Depth=2
	s_or_b64 exec, exec, s[56:57]
.LBB2_1098:                             ;   in Loop: Header=BB2_124 Depth=2
	s_or_b64 exec, exec, s[22:23]
	s_waitcnt vmcnt(0)
	v_cmp_ne_u16_sdwa vcc, v10, v39 src0_sel:BYTE_0 src1_sel:DWORD
	s_and_saveexec_b64 s[22:23], vcc
	s_cbranch_execz .LBB2_1104
; %bb.1099:                             ;   in Loop: Header=BB2_124 Depth=2
	v_cmp_ne_u16_sdwa vcc, v10, s75 src0_sel:BYTE_0 src1_sel:DWORD
	v_bfrev_b32_e32 v2, 1
	s_and_saveexec_b64 s[56:57], vcc
	s_cbranch_execz .LBB2_1103
; %bb.1100:                             ;   in Loop: Header=BB2_124 Depth=2
	v_and_b32_e32 v17, 0x7f, v10
	v_cmp_ne_u32_e32 vcc, s74, v17
	v_mov_b32_e32 v2, 0x7f800001
	s_and_saveexec_b64 s[58:59], vcc
	s_cbranch_execz .LBB2_1102
; %bb.1101:                             ;   in Loop: Header=BB2_124 Depth=2
	v_and_b32_e32 v2, 7, v10
	v_ffbh_u32_e32 v2, v2
	v_min_u32_e32 v2, 32, v2
	v_subrev_u32_e32 v23, 28, v2
	v_cmp_gt_u32_e32 vcc, 8, v17
	v_lshrrev_b32_e32 v22, 3, v17
	v_sub_u32_e32 v2, 29, v2
	v_cndmask_b32_e32 v17, 0, v23, vcc
	v_cndmask_b32_e32 v2, v22, v2, vcc
	v_lshlrev_b64 v[22:23], v17, v[10:11]
	v_lshlrev_b32_e32 v17, 20, v22
	v_lshlrev_b32_e32 v22, 24, v10
	v_and_b32_e32 v17, 0x700000, v17
	v_and_b32_e32 v22, 0x80000000, v22
	v_lshl_add_u32 v2, v2, 23, v20
	v_or3_b32 v2, v22, v2, v17
.LBB2_1102:                             ;   in Loop: Header=BB2_124 Depth=2
	s_or_b64 exec, exec, s[58:59]
.LBB2_1103:                             ;   in Loop: Header=BB2_124 Depth=2
	s_or_b64 exec, exec, s[56:57]
.LBB2_1104:                             ;   in Loop: Header=BB2_124 Depth=2
	s_or_b64 exec, exec, s[22:23]
	v_add_f32_e32 v2, v3, v2
	v_and_b32_sdwa v31, v2, s75 dst_sel:DWORD dst_unused:UNUSED_PAD src0_sel:BYTE_3 src1_sel:DWORD
	v_and_b32_e32 v22, 0x7f800000, v2
	v_mov_b32_e32 v23, v39
	v_and_b32_e32 v38, 0x7fffff, v2
	v_or_b32_e32 v17, 0x7e, v31
	v_cmp_ne_u64_e32 vcc, s[42:43], v[22:23]
	s_and_saveexec_b64 s[22:23], vcc
	s_xor_b64 s[56:57], exec, s[22:23]
	s_cbranch_execz .LBB2_1114
; %bb.1105:                             ;   in Loop: Header=BB2_124 Depth=2
	v_and_b32_e32 v22, 0x7fffffff, v2
	v_mov_b32_e32 v23, v39
	v_cmp_gt_u64_e32 vcc, s[44:45], v[22:23]
	s_and_saveexec_b64 s[58:59], vcc
	s_cbranch_execz .LBB2_1113
; %bb.1106:                             ;   in Loop: Header=BB2_124 Depth=2
	v_cmp_ne_u32_e32 vcc, 0, v2
	v_mov_b32_e32 v17, 0
	s_and_saveexec_b64 s[60:61], vcc
	s_cbranch_execz .LBB2_1112
; %bb.1107:                             ;   in Loop: Header=BB2_124 Depth=2
	v_bfe_u32 v2, v2, 23, 8
	v_sub_u32_e32 v17, 0x79, v2
	v_cmp_gt_u32_e32 vcc, s76, v2
	v_cndmask_b32_e32 v17, 0, v17, vcc
	v_cmp_eq_u32_e32 vcc, 0, v2
	v_add_u32_e32 v3, 0xffffff81, v2
	v_or_b32_e32 v22, 0x800000, v38
	v_mov_b32_e32 v2, 0xffffff82
	v_cndmask_b32_e32 v17, v17, v18, vcc
	v_cndmask_b32_e32 v33, v3, v2, vcc
	;; [unrolled: 1-line block ×3, first 2 shown]
	v_add_u32_e32 v2, 20, v17
	v_lshlrev_b64 v[2:3], v2, -1
	v_lshrrev_b64 v[52:53], v17, v[38:39]
	v_not_b32_e32 v3, v3
	v_not_b32_e32 v2, v2
	v_add_u32_e32 v22, 19, v17
	v_lshrrev_b32_e32 v35, 23, v52
	v_and_b32_e32 v3, 0, v3
	v_and_b32_e32 v2, v38, v2
	v_lshlrev_b64 v[22:23], v22, 1
	v_add3_u32 v35, v17, v33, v35
	v_bfe_u32 v17, v52, 20, 1
	v_add_u32_e32 v17, -1, v17
	v_cmp_eq_u64_e32 vcc, v[2:3], v[22:23]
	v_cndmask_b32_e32 v2, 0, v17, vcc
	v_add_u32_e32 v2, v2, v52
	v_and_b32_e32 v2, 0xfffff, v2
	v_add_co_u32_e32 v2, vcc, v2, v52
	v_add_u32_e32 v33, 6, v35
	v_addc_co_u32_e32 v3, vcc, 0, v53, vcc
	v_cmp_ne_u32_e32 vcc, 0, v33
                                        ; implicit-def: $vgpr17
	s_and_saveexec_b64 s[22:23], vcc
	s_xor_b64 s[22:23], exec, s[22:23]
; %bb.1108:                             ;   in Loop: Header=BB2_124 Depth=2
	v_cmp_lt_u64_e32 vcc, s[48:49], v[2:3]
	v_add_u32_e32 v17, 7, v35
	v_cndmask_b32_e64 v22, 0, 1, vcc
	v_cndmask_b32_e32 v17, v33, v17, vcc
	v_lshrrev_b64 v[2:3], v22, v[2:3]
; %bb.1109:                             ;   in Loop: Header=BB2_124 Depth=2
	s_andn2_saveexec_b64 s[22:23], s[22:23]
; %bb.1110:                             ;   in Loop: Header=BB2_124 Depth=2
	v_bfe_u32 v17, v2, 23, 1
; %bb.1111:                             ;   in Loop: Header=BB2_124 Depth=2
	s_or_b64 exec, exec, s[22:23]
	v_lshrrev_b64 v[2:3], 20, v[2:3]
	v_cmp_gt_i32_e32 vcc, 16, v17
	v_cndmask_b32_e32 v3, 0, v3, vcc
	v_cndmask_b32_e32 v2, 7, v2, vcc
	v_cmp_eq_u64_e64 s[22:23], 0, v[2:3]
	v_min_i32_e32 v3, 15, v17
	v_cmp_eq_u32_e32 vcc, 0, v17
	v_lshlrev_b32_e32 v3, 3, v3
	v_and_or_b32 v2, v2, 7, v3
	s_and_b64 s[22:23], vcc, s[22:23]
	v_cndmask_b32_e64 v2, v2, 0, s[22:23]
	v_or_b32_e32 v17, v2, v31
.LBB2_1112:                             ;   in Loop: Header=BB2_124 Depth=2
	s_or_b64 exec, exec, s[60:61]
.LBB2_1113:                             ;   in Loop: Header=BB2_124 Depth=2
	s_or_b64 exec, exec, s[58:59]
                                        ; implicit-def: $vgpr2
.LBB2_1114:                             ;   in Loop: Header=BB2_124 Depth=2
	s_andn2_saveexec_b64 s[22:23], s[56:57]
; %bb.1115:                             ;   in Loop: Header=BB2_124 Depth=2
	v_or_b32_sdwa v2, v2, s74 dst_sel:DWORD dst_unused:UNUSED_PAD src0_sel:BYTE_3 src1_sel:DWORD
	v_cmp_eq_u64_e32 vcc, 0, v[38:39]
	v_cndmask_b32_e32 v17, v2, v17, vcc
; %bb.1116:                             ;   in Loop: Header=BB2_124 Depth=2
	s_or_b64 exec, exec, s[22:23]
	v_lshrrev_b16_e32 v2, 8, v14
	v_cmp_ne_u16_e32 vcc, 0, v2
	v_mov_b32_e32 v3, 0
	v_mov_b32_e32 v31, 0
	s_and_saveexec_b64 s[22:23], vcc
	s_cbranch_execz .LBB2_1122
; %bb.1117:                             ;   in Loop: Header=BB2_124 Depth=2
	v_cmp_ne_u16_e32 vcc, s75, v2
	v_bfrev_b32_e32 v31, 1
	s_and_saveexec_b64 s[56:57], vcc
	s_cbranch_execz .LBB2_1121
; %bb.1118:                             ;   in Loop: Header=BB2_124 Depth=2
	v_and_b32_e32 v33, 0x7f, v2
	v_cmp_ne_u32_e32 vcc, s74, v33
	v_mov_b32_e32 v31, 0x7f800001
	s_and_saveexec_b64 s[58:59], vcc
	s_cbranch_execz .LBB2_1120
; %bb.1119:                             ;   in Loop: Header=BB2_124 Depth=2
	v_and_b32_e32 v31, 7, v2
	v_ffbh_u32_e32 v22, v31
	v_min_u32_e32 v36, 32, v22
	v_subrev_u32_e32 v22, 28, v36
	v_lshlrev_b64 v[22:23], v22, v[2:3]
	v_lshrrev_b32_e32 v35, 3, v33
	v_sub_u32_e32 v2, 29, v36
	v_and_b32_e32 v22, 7, v22
	v_cmp_gt_u32_e32 vcc, 8, v33
	v_cndmask_b32_e32 v2, v35, v2, vcc
	v_cndmask_b32_e32 v22, v31, v22, vcc
	v_lshlrev_b32_e32 v14, 16, v14
	v_lshlrev_b32_e32 v22, 20, v22
	v_and_b32_e32 v14, 0x80000000, v14
	v_lshl_add_u32 v2, v2, 23, v20
	v_or3_b32 v31, v14, v2, v22
.LBB2_1120:                             ;   in Loop: Header=BB2_124 Depth=2
	s_or_b64 exec, exec, s[58:59]
.LBB2_1121:                             ;   in Loop: Header=BB2_124 Depth=2
	s_or_b64 exec, exec, s[56:57]
.LBB2_1122:                             ;   in Loop: Header=BB2_124 Depth=2
	s_or_b64 exec, exec, s[22:23]
	v_lshrrev_b16_e32 v2, 8, v10
	v_cmp_ne_u16_e32 vcc, 0, v2
	s_and_saveexec_b64 s[22:23], vcc
	s_cbranch_execz .LBB2_1128
; %bb.1123:                             ;   in Loop: Header=BB2_124 Depth=2
	v_cmp_ne_u16_e32 vcc, s75, v2
	v_bfrev_b32_e32 v3, 1
	s_and_saveexec_b64 s[56:57], vcc
	s_cbranch_execz .LBB2_1127
; %bb.1124:                             ;   in Loop: Header=BB2_124 Depth=2
	v_and_b32_e32 v14, 0x7f, v2
	v_cmp_ne_u32_e32 vcc, s74, v14
	v_mov_b32_e32 v3, 0x7f800001
	s_and_saveexec_b64 s[58:59], vcc
	s_cbranch_execz .LBB2_1126
; %bb.1125:                             ;   in Loop: Header=BB2_124 Depth=2
	v_and_b32_e32 v22, 7, v2
	v_ffbh_u32_e32 v3, v22
	v_min_u32_e32 v33, 32, v3
	v_subrev_u32_e32 v3, 28, v33
	v_lshlrev_b64 v[2:3], v3, v[2:3]
	v_lshrrev_b32_e32 v23, 3, v14
	v_sub_u32_e32 v3, 29, v33
	v_and_b32_e32 v2, 7, v2
	v_cmp_gt_u32_e32 vcc, 8, v14
	v_cndmask_b32_e32 v3, v23, v3, vcc
	v_cndmask_b32_e32 v2, v22, v2, vcc
	v_lshlrev_b32_e32 v14, 16, v10
	v_lshlrev_b32_e32 v2, 20, v2
	v_and_b32_e32 v14, 0x80000000, v14
	v_lshl_add_u32 v3, v3, 23, v20
	v_or3_b32 v3, v14, v3, v2
.LBB2_1126:                             ;   in Loop: Header=BB2_124 Depth=2
	s_or_b64 exec, exec, s[58:59]
.LBB2_1127:                             ;   in Loop: Header=BB2_124 Depth=2
	s_or_b64 exec, exec, s[56:57]
.LBB2_1128:                             ;   in Loop: Header=BB2_124 Depth=2
	s_or_b64 exec, exec, s[22:23]
	v_add_f32_e32 v2, v31, v3
	v_and_b32_sdwa v14, v2, s75 dst_sel:DWORD dst_unused:UNUSED_PAD src0_sel:BYTE_3 src1_sel:DWORD
	v_and_b32_e32 v22, 0x7f800000, v2
	v_mov_b32_e32 v23, v39
	v_and_b32_e32 v38, 0x7fffff, v2
	v_or_b32_e32 v31, 0x7e, v14
	v_cmp_ne_u64_e32 vcc, s[42:43], v[22:23]
	s_and_saveexec_b64 s[22:23], vcc
	s_xor_b64 s[56:57], exec, s[22:23]
	s_cbranch_execz .LBB2_1138
; %bb.1129:                             ;   in Loop: Header=BB2_124 Depth=2
	v_and_b32_e32 v22, 0x7fffffff, v2
	v_mov_b32_e32 v23, v39
	v_cmp_gt_u64_e32 vcc, s[44:45], v[22:23]
	s_and_saveexec_b64 s[58:59], vcc
	s_cbranch_execz .LBB2_1137
; %bb.1130:                             ;   in Loop: Header=BB2_124 Depth=2
	v_cmp_ne_u32_e32 vcc, 0, v2
	v_mov_b32_e32 v31, 0
	s_and_saveexec_b64 s[60:61], vcc
	s_cbranch_execz .LBB2_1136
; %bb.1131:                             ;   in Loop: Header=BB2_124 Depth=2
	v_bfe_u32 v2, v2, 23, 8
	v_sub_u32_e32 v22, 0x79, v2
	v_cmp_gt_u32_e32 vcc, s76, v2
	v_cndmask_b32_e32 v22, 0, v22, vcc
	v_cmp_eq_u32_e32 vcc, 0, v2
	v_add_u32_e32 v3, 0xffffff81, v2
	v_or_b32_e32 v23, 0x800000, v38
	v_mov_b32_e32 v2, 0xffffff82
	v_cndmask_b32_e32 v33, v22, v18, vcc
	v_cndmask_b32_e32 v31, v3, v2, vcc
	;; [unrolled: 1-line block ×3, first 2 shown]
	v_add_u32_e32 v2, 20, v33
	v_lshlrev_b64 v[2:3], v2, -1
	v_lshrrev_b64 v[52:53], v33, v[38:39]
	v_not_b32_e32 v3, v3
	v_not_b32_e32 v2, v2
	v_add_u32_e32 v22, 19, v33
	v_lshrrev_b32_e32 v35, 23, v52
	v_and_b32_e32 v3, 0, v3
	v_and_b32_e32 v2, v38, v2
	v_lshlrev_b64 v[22:23], v22, 1
	v_add3_u32 v35, v33, v31, v35
	v_bfe_u32 v31, v52, 20, 1
	v_add_u32_e32 v31, -1, v31
	v_cmp_eq_u64_e32 vcc, v[2:3], v[22:23]
	v_cndmask_b32_e32 v2, 0, v31, vcc
	v_add_u32_e32 v2, v2, v52
	v_and_b32_e32 v2, 0xfffff, v2
	v_add_co_u32_e32 v2, vcc, v2, v52
	v_add_u32_e32 v33, 6, v35
	v_addc_co_u32_e32 v3, vcc, 0, v53, vcc
	v_cmp_ne_u32_e32 vcc, 0, v33
                                        ; implicit-def: $vgpr31
	s_and_saveexec_b64 s[22:23], vcc
	s_xor_b64 s[22:23], exec, s[22:23]
; %bb.1132:                             ;   in Loop: Header=BB2_124 Depth=2
	v_add_u32_e32 v22, 7, v35
	v_cmp_lt_u64_e32 vcc, s[48:49], v[2:3]
	v_cndmask_b32_e32 v31, v33, v22, vcc
	v_cndmask_b32_e64 v22, 0, 1, vcc
	v_lshrrev_b64 v[2:3], v22, v[2:3]
; %bb.1133:                             ;   in Loop: Header=BB2_124 Depth=2
	s_andn2_saveexec_b64 s[22:23], s[22:23]
; %bb.1134:                             ;   in Loop: Header=BB2_124 Depth=2
	v_bfe_u32 v31, v2, 23, 1
; %bb.1135:                             ;   in Loop: Header=BB2_124 Depth=2
	s_or_b64 exec, exec, s[22:23]
	v_lshrrev_b64 v[2:3], 20, v[2:3]
	v_cmp_gt_i32_e32 vcc, 16, v31
	v_cndmask_b32_e32 v3, 0, v3, vcc
	v_cndmask_b32_e32 v2, 7, v2, vcc
	v_cmp_eq_u64_e64 s[22:23], 0, v[2:3]
	v_min_i32_e32 v3, 15, v31
	v_cmp_eq_u32_e32 vcc, 0, v31
	v_lshlrev_b32_e32 v3, 3, v3
	v_and_or_b32 v2, v2, 7, v3
	s_and_b64 s[22:23], vcc, s[22:23]
	v_cndmask_b32_e64 v2, v2, 0, s[22:23]
	v_or_b32_e32 v31, v2, v14
.LBB2_1136:                             ;   in Loop: Header=BB2_124 Depth=2
	s_or_b64 exec, exec, s[60:61]
.LBB2_1137:                             ;   in Loop: Header=BB2_124 Depth=2
	s_or_b64 exec, exec, s[58:59]
                                        ; implicit-def: $vgpr2
.LBB2_1138:                             ;   in Loop: Header=BB2_124 Depth=2
	s_andn2_saveexec_b64 s[22:23], s[56:57]
; %bb.1139:                             ;   in Loop: Header=BB2_124 Depth=2
	v_or_b32_sdwa v2, v2, s74 dst_sel:DWORD dst_unused:UNUSED_PAD src0_sel:BYTE_3 src1_sel:DWORD
	v_cmp_eq_u64_e32 vcc, 0, v[38:39]
	v_cndmask_b32_e32 v31, v2, v31, vcc
; %bb.1140:                             ;   in Loop: Header=BB2_124 Depth=2
	s_or_b64 exec, exec, s[22:23]
	v_cmp_ne_u16_sdwa vcc, v60, v39 src0_sel:BYTE_0 src1_sel:DWORD
	v_mov_b32_e32 v3, 0
	v_mov_b32_e32 v14, 0
	s_and_saveexec_b64 s[22:23], vcc
	s_cbranch_execz .LBB2_1146
; %bb.1141:                             ;   in Loop: Header=BB2_124 Depth=2
	v_cmp_ne_u16_sdwa vcc, v60, s75 src0_sel:BYTE_0 src1_sel:DWORD
	v_bfrev_b32_e32 v14, 1
	s_and_saveexec_b64 s[56:57], vcc
	s_cbranch_execz .LBB2_1145
; %bb.1142:                             ;   in Loop: Header=BB2_124 Depth=2
	v_and_b32_e32 v2, 0x7f, v60
	v_cmp_ne_u32_e32 vcc, s74, v2
	v_mov_b32_e32 v14, 0x7f800001
	s_and_saveexec_b64 s[58:59], vcc
	s_cbranch_execz .LBB2_1144
; %bb.1143:                             ;   in Loop: Header=BB2_124 Depth=2
	v_and_b32_e32 v14, 7, v60
	v_ffbh_u32_e32 v22, v14
	v_min_u32_e32 v35, 32, v22
	v_subrev_u32_e32 v22, 28, v35
	v_lshlrev_b64 v[22:23], v22, v[60:61]
	v_lshrrev_b32_e32 v33, 3, v2
	v_sub_u32_e32 v23, 29, v35
	v_and_b32_e32 v22, 7, v22
	v_cmp_gt_u32_e32 vcc, 8, v2
	v_cndmask_b32_e32 v2, v33, v23, vcc
	v_cndmask_b32_e32 v14, v14, v22, vcc
	v_lshlrev_b32_e32 v22, 24, v60
	v_lshlrev_b32_e32 v14, 20, v14
	v_and_b32_e32 v22, 0x80000000, v22
	v_lshl_add_u32 v2, v2, 23, v20
	v_or3_b32 v14, v22, v2, v14
.LBB2_1144:                             ;   in Loop: Header=BB2_124 Depth=2
	s_or_b64 exec, exec, s[58:59]
.LBB2_1145:                             ;   in Loop: Header=BB2_124 Depth=2
	s_or_b64 exec, exec, s[56:57]
.LBB2_1146:                             ;   in Loop: Header=BB2_124 Depth=2
	s_or_b64 exec, exec, s[22:23]
	v_lshrrev_b32_e32 v2, 16, v10
	v_cmp_ne_u16_sdwa vcc, v2, v39 src0_sel:BYTE_0 src1_sel:DWORD
	s_and_saveexec_b64 s[22:23], vcc
	s_cbranch_execz .LBB2_1152
; %bb.1147:                             ;   in Loop: Header=BB2_124 Depth=2
	v_cmp_ne_u16_sdwa vcc, v2, s75 src0_sel:BYTE_0 src1_sel:DWORD
	v_bfrev_b32_e32 v3, 1
	s_and_saveexec_b64 s[56:57], vcc
	s_cbranch_execz .LBB2_1151
; %bb.1148:                             ;   in Loop: Header=BB2_124 Depth=2
	v_bfe_u32 v33, v10, 16, 7
	v_cmp_ne_u32_e32 vcc, s74, v33
	v_mov_b32_e32 v3, 0x7f800001
	s_and_saveexec_b64 s[58:59], vcc
	s_cbranch_execz .LBB2_1150
; %bb.1149:                             ;   in Loop: Header=BB2_124 Depth=2
	v_and_b32_e32 v22, 7, v2
	v_ffbh_u32_e32 v3, v22
	v_min_u32_e32 v35, 32, v3
	v_subrev_u32_e32 v3, 28, v35
	v_lshlrev_b64 v[2:3], v3, v[2:3]
	v_lshrrev_b32_e32 v23, 3, v33
	v_sub_u32_e32 v3, 29, v35
	v_and_b32_e32 v2, 7, v2
	v_cmp_gt_u32_e32 vcc, 8, v33
	v_cndmask_b32_e32 v3, v23, v3, vcc
	v_cndmask_b32_e32 v2, v22, v2, vcc
	v_lshlrev_b32_e32 v22, 8, v10
	v_lshlrev_b32_e32 v2, 20, v2
	v_and_b32_e32 v22, 0x80000000, v22
	v_lshl_add_u32 v3, v3, 23, v20
	v_or3_b32 v3, v22, v3, v2
.LBB2_1150:                             ;   in Loop: Header=BB2_124 Depth=2
	s_or_b64 exec, exec, s[58:59]
.LBB2_1151:                             ;   in Loop: Header=BB2_124 Depth=2
	s_or_b64 exec, exec, s[56:57]
.LBB2_1152:                             ;   in Loop: Header=BB2_124 Depth=2
	s_or_b64 exec, exec, s[22:23]
	v_add_f32_e32 v2, v14, v3
	v_and_b32_sdwa v14, v2, s75 dst_sel:DWORD dst_unused:UNUSED_PAD src0_sel:BYTE_3 src1_sel:DWORD
	v_and_b32_e32 v22, 0x7f800000, v2
	v_mov_b32_e32 v23, v39
	v_and_b32_e32 v38, 0x7fffff, v2
	v_or_b32_e32 v33, 0x7e, v14
	v_cmp_ne_u64_e32 vcc, s[42:43], v[22:23]
	s_and_saveexec_b64 s[22:23], vcc
	s_xor_b64 s[56:57], exec, s[22:23]
	s_cbranch_execz .LBB2_1162
; %bb.1153:                             ;   in Loop: Header=BB2_124 Depth=2
	v_and_b32_e32 v22, 0x7fffffff, v2
	v_mov_b32_e32 v23, v39
	v_cmp_gt_u64_e32 vcc, s[44:45], v[22:23]
	s_and_saveexec_b64 s[58:59], vcc
	s_cbranch_execz .LBB2_1161
; %bb.1154:                             ;   in Loop: Header=BB2_124 Depth=2
	v_cmp_ne_u32_e32 vcc, 0, v2
	v_mov_b32_e32 v33, 0
	s_and_saveexec_b64 s[60:61], vcc
	s_cbranch_execz .LBB2_1160
; %bb.1155:                             ;   in Loop: Header=BB2_124 Depth=2
	v_bfe_u32 v2, v2, 23, 8
	v_sub_u32_e32 v22, 0x79, v2
	v_cmp_gt_u32_e32 vcc, s76, v2
	v_cndmask_b32_e32 v22, 0, v22, vcc
	v_cmp_eq_u32_e32 vcc, 0, v2
	v_add_u32_e32 v3, 0xffffff81, v2
	v_or_b32_e32 v23, 0x800000, v38
	v_mov_b32_e32 v2, 0xffffff82
	v_cndmask_b32_e32 v35, v22, v18, vcc
	v_cndmask_b32_e32 v33, v3, v2, vcc
	;; [unrolled: 1-line block ×3, first 2 shown]
	v_add_u32_e32 v2, 20, v35
	v_lshlrev_b64 v[2:3], v2, -1
	v_lshrrev_b64 v[52:53], v35, v[38:39]
	v_not_b32_e32 v3, v3
	v_not_b32_e32 v2, v2
	v_add_u32_e32 v22, 19, v35
	v_lshrrev_b32_e32 v36, 23, v52
	v_and_b32_e32 v3, 0, v3
	v_and_b32_e32 v2, v38, v2
	v_lshlrev_b64 v[22:23], v22, 1
	v_add3_u32 v36, v35, v33, v36
	v_bfe_u32 v33, v52, 20, 1
	v_add_u32_e32 v33, -1, v33
	v_cmp_eq_u64_e32 vcc, v[2:3], v[22:23]
	v_cndmask_b32_e32 v2, 0, v33, vcc
	v_add_u32_e32 v2, v2, v52
	v_and_b32_e32 v2, 0xfffff, v2
	v_add_co_u32_e32 v2, vcc, v2, v52
	v_add_u32_e32 v35, 6, v36
	v_addc_co_u32_e32 v3, vcc, 0, v53, vcc
	v_cmp_ne_u32_e32 vcc, 0, v35
                                        ; implicit-def: $vgpr33
	s_and_saveexec_b64 s[22:23], vcc
	s_xor_b64 s[22:23], exec, s[22:23]
; %bb.1156:                             ;   in Loop: Header=BB2_124 Depth=2
	v_add_u32_e32 v22, 7, v36
	v_cmp_lt_u64_e32 vcc, s[48:49], v[2:3]
	v_cndmask_b32_e32 v33, v35, v22, vcc
	v_cndmask_b32_e64 v22, 0, 1, vcc
	v_lshrrev_b64 v[2:3], v22, v[2:3]
; %bb.1157:                             ;   in Loop: Header=BB2_124 Depth=2
	s_andn2_saveexec_b64 s[22:23], s[22:23]
; %bb.1158:                             ;   in Loop: Header=BB2_124 Depth=2
	v_bfe_u32 v33, v2, 23, 1
; %bb.1159:                             ;   in Loop: Header=BB2_124 Depth=2
	s_or_b64 exec, exec, s[22:23]
	v_lshrrev_b64 v[2:3], 20, v[2:3]
	v_cmp_gt_i32_e32 vcc, 16, v33
	v_cndmask_b32_e32 v3, 0, v3, vcc
	v_cndmask_b32_e32 v2, 7, v2, vcc
	v_cmp_eq_u64_e64 s[22:23], 0, v[2:3]
	v_min_i32_e32 v3, 15, v33
	v_cmp_eq_u32_e32 vcc, 0, v33
	v_lshlrev_b32_e32 v3, 3, v3
	v_and_or_b32 v2, v2, 7, v3
	s_and_b64 s[22:23], vcc, s[22:23]
	v_cndmask_b32_e64 v2, v2, 0, s[22:23]
	v_or_b32_e32 v33, v2, v14
.LBB2_1160:                             ;   in Loop: Header=BB2_124 Depth=2
	s_or_b64 exec, exec, s[60:61]
.LBB2_1161:                             ;   in Loop: Header=BB2_124 Depth=2
	s_or_b64 exec, exec, s[58:59]
                                        ; implicit-def: $vgpr2
.LBB2_1162:                             ;   in Loop: Header=BB2_124 Depth=2
	s_andn2_saveexec_b64 s[22:23], s[56:57]
; %bb.1163:                             ;   in Loop: Header=BB2_124 Depth=2
	v_or_b32_sdwa v2, v2, s74 dst_sel:DWORD dst_unused:UNUSED_PAD src0_sel:BYTE_3 src1_sel:DWORD
	v_cmp_eq_u64_e32 vcc, 0, v[38:39]
	v_cndmask_b32_e32 v33, v2, v33, vcc
; %bb.1164:                             ;   in Loop: Header=BB2_124 Depth=2
	s_or_b64 exec, exec, s[22:23]
	v_lshlrev_b32_e32 v2, 8, v49
	v_and_b32_e32 v2, 0xff00, v2
	v_cmp_ne_u32_e32 vcc, 0, v2
	v_mov_b32_e32 v3, 0
	v_mov_b32_e32 v14, 0
	s_and_saveexec_b64 s[22:23], vcc
	s_cbranch_execz .LBB2_1170
; %bb.1165:                             ;   in Loop: Header=BB2_124 Depth=2
	v_cmp_ne_u32_e32 vcc, s78, v2
	v_bfrev_b32_e32 v14, 1
	s_and_saveexec_b64 s[56:57], vcc
	s_cbranch_execz .LBB2_1169
; %bb.1166:                             ;   in Loop: Header=BB2_124 Depth=2
	v_bfe_u32 v35, v2, 8, 7
	v_cmp_ne_u32_e32 vcc, s74, v35
	v_mov_b32_e32 v14, 0x7f800001
	s_and_saveexec_b64 s[58:59], vcc
	s_cbranch_execz .LBB2_1168
; %bb.1167:                             ;   in Loop: Header=BB2_124 Depth=2
	v_lshrrev_b32_e32 v14, 8, v2
	v_and_b32_e32 v36, 7, v14
	v_ffbh_u32_e32 v22, v36
	v_min_u32_e32 v48, 32, v22
	v_subrev_u32_e32 v22, 28, v48
	v_lshlrev_b64 v[22:23], v22, v[14:15]
	v_lshrrev_b32_e32 v38, 3, v35
	v_sub_u32_e32 v14, 29, v48
	v_and_b32_e32 v22, 7, v22
	v_cmp_gt_u32_e32 vcc, 8, v35
	v_cndmask_b32_e32 v14, v38, v14, vcc
	v_cndmask_b32_e32 v22, v36, v22, vcc
	v_lshlrev_b32_e32 v2, 16, v2
	v_lshlrev_b32_e32 v22, 20, v22
	v_and_b32_e32 v2, 0x80000000, v2
	v_lshl_add_u32 v14, v14, 23, v20
	v_or3_b32 v14, v2, v14, v22
.LBB2_1168:                             ;   in Loop: Header=BB2_124 Depth=2
	s_or_b64 exec, exec, s[58:59]
.LBB2_1169:                             ;   in Loop: Header=BB2_124 Depth=2
	s_or_b64 exec, exec, s[56:57]
.LBB2_1170:                             ;   in Loop: Header=BB2_124 Depth=2
	s_or_b64 exec, exec, s[22:23]
	v_cmp_lt_u32_e32 vcc, s47, v10
	s_and_saveexec_b64 s[22:23], vcc
	s_cbranch_execz .LBB2_1176
; %bb.1171:                             ;   in Loop: Header=BB2_124 Depth=2
	v_lshrrev_b32_e32 v2, 24, v10
	v_cmp_ne_u32_e32 vcc, s75, v2
	v_bfrev_b32_e32 v3, 1
	s_and_saveexec_b64 s[56:57], vcc
	s_cbranch_execz .LBB2_1175
; %bb.1172:                             ;   in Loop: Header=BB2_124 Depth=2
	v_bfe_u32 v35, v10, 24, 7
	v_cmp_ne_u32_e32 vcc, s74, v35
	v_mov_b32_e32 v3, 0x7f800001
	s_and_saveexec_b64 s[58:59], vcc
	s_cbranch_execz .LBB2_1174
; %bb.1173:                             ;   in Loop: Header=BB2_124 Depth=2
	v_and_b32_e32 v3, 7, v2
	v_ffbh_u32_e32 v22, v3
	v_min_u32_e32 v38, 32, v22
	v_subrev_u32_e32 v22, 28, v38
	v_lshlrev_b64 v[22:23], v22, v[2:3]
	v_lshrrev_b32_e32 v36, 3, v35
	v_sub_u32_e32 v23, 29, v38
	v_and_b32_e32 v22, 7, v22
	v_cmp_gt_u32_e32 vcc, 8, v35
	v_cndmask_b32_e32 v23, v36, v23, vcc
	v_cndmask_b32_e32 v3, v3, v22, vcc
	v_lshlrev_b32_e32 v2, 24, v2
	v_lshlrev_b32_e32 v3, 20, v3
	v_and_b32_e32 v2, 0x80000000, v2
	v_lshl_add_u32 v22, v23, 23, v20
	v_or3_b32 v3, v2, v22, v3
.LBB2_1174:                             ;   in Loop: Header=BB2_124 Depth=2
	s_or_b64 exec, exec, s[58:59]
.LBB2_1175:                             ;   in Loop: Header=BB2_124 Depth=2
	s_or_b64 exec, exec, s[56:57]
.LBB2_1176:                             ;   in Loop: Header=BB2_124 Depth=2
	s_or_b64 exec, exec, s[22:23]
	v_add_f32_e32 v2, v14, v3
	v_and_b32_sdwa v14, v2, s75 dst_sel:DWORD dst_unused:UNUSED_PAD src0_sel:BYTE_3 src1_sel:DWORD
	v_and_b32_e32 v22, 0x7f800000, v2
	v_mov_b32_e32 v23, v39
	v_and_b32_e32 v38, 0x7fffff, v2
	v_or_b32_e32 v35, 0x7e, v14
	v_cmp_ne_u64_e32 vcc, s[42:43], v[22:23]
	s_and_saveexec_b64 s[22:23], vcc
	s_xor_b64 s[56:57], exec, s[22:23]
	s_cbranch_execz .LBB2_1186
; %bb.1177:                             ;   in Loop: Header=BB2_124 Depth=2
	v_and_b32_e32 v22, 0x7fffffff, v2
	v_mov_b32_e32 v23, v39
	v_cmp_gt_u64_e32 vcc, s[44:45], v[22:23]
	s_and_saveexec_b64 s[58:59], vcc
	s_cbranch_execz .LBB2_1185
; %bb.1178:                             ;   in Loop: Header=BB2_124 Depth=2
	v_cmp_ne_u32_e32 vcc, 0, v2
	v_mov_b32_e32 v35, 0
	s_and_saveexec_b64 s[60:61], vcc
	s_cbranch_execz .LBB2_1184
; %bb.1179:                             ;   in Loop: Header=BB2_124 Depth=2
	v_bfe_u32 v2, v2, 23, 8
	v_sub_u32_e32 v22, 0x79, v2
	v_cmp_gt_u32_e32 vcc, s76, v2
	v_cndmask_b32_e32 v22, 0, v22, vcc
	v_cmp_eq_u32_e32 vcc, 0, v2
	v_add_u32_e32 v3, 0xffffff81, v2
	v_mov_b32_e32 v2, 0xffffff82
	v_cndmask_b32_e32 v36, v22, v18, vcc
	v_or_b32_e32 v23, 0x800000, v38
	v_cndmask_b32_e32 v35, v3, v2, vcc
	v_add_u32_e32 v2, 20, v36
	v_cndmask_b32_e32 v38, v23, v38, vcc
	v_lshlrev_b64 v[2:3], v2, -1
	v_not_b32_e32 v2, v2
	v_lshrrev_b64 v[48:49], v36, v[38:39]
	v_not_b32_e32 v3, v3
	v_and_b32_e32 v2, v38, v2
	v_add_u32_e32 v22, 19, v36
	v_lshrrev_b32_e32 v38, 23, v48
	v_and_b32_e32 v3, 0, v3
	v_lshlrev_b64 v[22:23], v22, 1
	v_add3_u32 v38, v36, v35, v38
	v_bfe_u32 v35, v48, 20, 1
	v_add_u32_e32 v35, -1, v35
	v_cmp_eq_u64_e32 vcc, v[2:3], v[22:23]
	v_cndmask_b32_e32 v2, 0, v35, vcc
	v_add_u32_e32 v2, v2, v48
	v_and_b32_e32 v2, 0xfffff, v2
	v_add_co_u32_e32 v2, vcc, v2, v48
	v_add_u32_e32 v36, 6, v38
	v_addc_co_u32_e32 v3, vcc, 0, v49, vcc
	v_cmp_ne_u32_e32 vcc, 0, v36
                                        ; implicit-def: $vgpr35
	s_and_saveexec_b64 s[22:23], vcc
	s_xor_b64 s[22:23], exec, s[22:23]
; %bb.1180:                             ;   in Loop: Header=BB2_124 Depth=2
	v_add_u32_e32 v22, 7, v38
	v_cmp_lt_u64_e32 vcc, s[48:49], v[2:3]
	v_cndmask_b32_e32 v35, v36, v22, vcc
	v_cndmask_b32_e64 v22, 0, 1, vcc
	v_lshrrev_b64 v[2:3], v22, v[2:3]
; %bb.1181:                             ;   in Loop: Header=BB2_124 Depth=2
	s_andn2_saveexec_b64 s[22:23], s[22:23]
; %bb.1182:                             ;   in Loop: Header=BB2_124 Depth=2
	v_bfe_u32 v35, v2, 23, 1
; %bb.1183:                             ;   in Loop: Header=BB2_124 Depth=2
	s_or_b64 exec, exec, s[22:23]
	v_lshrrev_b64 v[2:3], 20, v[2:3]
	v_cmp_gt_i32_e32 vcc, 16, v35
	v_cndmask_b32_e32 v3, 0, v3, vcc
	v_cndmask_b32_e32 v2, 7, v2, vcc
	v_cmp_eq_u64_e64 s[22:23], 0, v[2:3]
	v_min_i32_e32 v3, 15, v35
	v_cmp_eq_u32_e32 vcc, 0, v35
	v_lshlrev_b32_e32 v3, 3, v3
	v_and_or_b32 v2, v2, 7, v3
	s_and_b64 s[22:23], vcc, s[22:23]
	v_cndmask_b32_e64 v2, v2, 0, s[22:23]
	v_or_b32_e32 v35, v2, v14
.LBB2_1184:                             ;   in Loop: Header=BB2_124 Depth=2
	s_or_b64 exec, exec, s[60:61]
.LBB2_1185:                             ;   in Loop: Header=BB2_124 Depth=2
	s_or_b64 exec, exec, s[58:59]
                                        ; implicit-def: $vgpr2
.LBB2_1186:                             ;   in Loop: Header=BB2_124 Depth=2
	s_andn2_saveexec_b64 s[22:23], s[56:57]
; %bb.1187:                             ;   in Loop: Header=BB2_124 Depth=2
	v_or_b32_sdwa v2, v2, s74 dst_sel:DWORD dst_unused:UNUSED_PAD src0_sel:BYTE_3 src1_sel:DWORD
	v_cmp_eq_u64_e32 vcc, 0, v[38:39]
	v_cndmask_b32_e32 v35, v2, v35, vcc
; %bb.1188:                             ;   in Loop: Header=BB2_124 Depth=2
	s_or_b64 exec, exec, s[22:23]
	v_lshlrev_b32_e32 v14, 8, v40
	v_lshlrev_b32_e32 v2, 24, v32
	v_perm_b32 v3, v34, v27, s79
	v_or3_b32 v38, v3, v2, v14
	v_cmp_ne_u16_sdwa vcc, v27, v39 src0_sel:BYTE_0 src1_sel:DWORD
	v_mov_b32_e32 v3, 0
	v_mov_b32_e32 v2, 0
	s_and_saveexec_b64 s[22:23], vcc
	s_cbranch_execz .LBB2_1194
; %bb.1189:                             ;   in Loop: Header=BB2_124 Depth=2
	v_cmp_ne_u16_sdwa vcc, v27, s75 src0_sel:BYTE_0 src1_sel:DWORD
	v_bfrev_b32_e32 v2, 1
	s_and_saveexec_b64 s[56:57], vcc
	s_cbranch_execz .LBB2_1193
; %bb.1190:                             ;   in Loop: Header=BB2_124 Depth=2
	v_and_b32_e32 v32, 0x7f, v27
	v_cmp_ne_u32_e32 vcc, s74, v32
	v_mov_b32_e32 v2, 0x7f800001
	s_and_saveexec_b64 s[58:59], vcc
	s_cbranch_execz .LBB2_1192
; %bb.1191:                             ;   in Loop: Header=BB2_124 Depth=2
	v_and_b32_e32 v2, 7, v27
	v_ffbh_u32_e32 v2, v2
	v_min_u32_e32 v2, 32, v2
	v_lshrrev_b32_e32 v22, 3, v32
	v_subrev_u32_e32 v23, 28, v2
	v_sub_u32_e32 v2, 29, v2
	v_cmp_gt_u32_e32 vcc, 8, v32
	v_cndmask_b32_e32 v2, v22, v2, vcc
	v_cndmask_b32_e32 v22, 0, v23, vcc
	v_lshlrev_b64 v[22:23], v22, v[38:39]
	v_lshlrev_b32_e32 v22, 20, v22
	v_lshlrev_b32_e32 v23, 24, v38
	v_and_b32_e32 v22, 0x700000, v22
	v_and_b32_e32 v23, 0x80000000, v23
	v_lshl_add_u32 v2, v2, 23, v20
	v_or3_b32 v2, v23, v2, v22
.LBB2_1192:                             ;   in Loop: Header=BB2_124 Depth=2
	s_or_b64 exec, exec, s[58:59]
.LBB2_1193:                             ;   in Loop: Header=BB2_124 Depth=2
	s_or_b64 exec, exec, s[56:57]
.LBB2_1194:                             ;   in Loop: Header=BB2_124 Depth=2
	s_or_b64 exec, exec, s[22:23]
	v_cmp_ne_u16_sdwa vcc, v11, v39 src0_sel:BYTE_0 src1_sel:DWORD
	s_and_saveexec_b64 s[22:23], vcc
	s_cbranch_execz .LBB2_1200
; %bb.1195:                             ;   in Loop: Header=BB2_124 Depth=2
	v_cmp_ne_u16_sdwa vcc, v11, s75 src0_sel:BYTE_0 src1_sel:DWORD
	v_bfrev_b32_e32 v3, 1
	s_and_saveexec_b64 s[56:57], vcc
	s_cbranch_execz .LBB2_1199
; %bb.1196:                             ;   in Loop: Header=BB2_124 Depth=2
	v_and_b32_e32 v27, 0x7f, v11
	v_cmp_ne_u32_e32 vcc, s74, v27
	v_mov_b32_e32 v3, 0x7f800001
	s_and_saveexec_b64 s[58:59], vcc
	s_cbranch_execz .LBB2_1198
; %bb.1197:                             ;   in Loop: Header=BB2_124 Depth=2
	v_and_b32_e32 v3, 7, v11
	v_ffbh_u32_e32 v3, v3
	v_min_u32_e32 v3, 32, v3
	v_subrev_u32_e32 v34, 28, v3
	v_cmp_gt_u32_e32 vcc, 8, v27
	v_mov_b32_e32 v22, v11
	v_mov_b32_e32 v23, v39
	v_lshrrev_b32_e32 v32, 3, v27
	v_cndmask_b32_e32 v27, 0, v34, vcc
	v_sub_u32_e32 v3, 29, v3
	v_lshlrev_b64 v[48:49], v27, v[22:23]
	v_cndmask_b32_e32 v3, v32, v3, vcc
	v_lshlrev_b32_e32 v23, 20, v48
	v_lshlrev_b32_e32 v22, 24, v22
	v_and_b32_e32 v23, 0x700000, v23
	v_and_b32_e32 v22, 0x80000000, v22
	v_lshl_add_u32 v3, v3, 23, v20
	v_or3_b32 v3, v22, v3, v23
.LBB2_1198:                             ;   in Loop: Header=BB2_124 Depth=2
	s_or_b64 exec, exec, s[58:59]
.LBB2_1199:                             ;   in Loop: Header=BB2_124 Depth=2
	s_or_b64 exec, exec, s[56:57]
.LBB2_1200:                             ;   in Loop: Header=BB2_124 Depth=2
	s_or_b64 exec, exec, s[22:23]
	v_add_f32_e32 v34, v2, v3
	v_and_b32_sdwa v32, v34, s75 dst_sel:DWORD dst_unused:UNUSED_PAD src0_sel:BYTE_3 src1_sel:DWORD
	v_and_b32_e32 v22, 0x7f800000, v34
	v_mov_b32_e32 v23, v39
	v_and_b32_e32 v2, 0x7fffff, v34
	v_mov_b32_e32 v3, v39
	v_or_b32_e32 v27, 0x7e, v32
	v_cmp_ne_u64_e32 vcc, s[42:43], v[22:23]
	s_and_saveexec_b64 s[22:23], vcc
	s_xor_b64 s[56:57], exec, s[22:23]
	s_cbranch_execz .LBB2_1210
; %bb.1201:                             ;   in Loop: Header=BB2_124 Depth=2
	v_and_b32_e32 v22, 0x7fffffff, v34
	v_mov_b32_e32 v23, v39
	v_cmp_gt_u64_e32 vcc, s[44:45], v[22:23]
	s_and_saveexec_b64 s[58:59], vcc
	s_cbranch_execz .LBB2_1209
; %bb.1202:                             ;   in Loop: Header=BB2_124 Depth=2
	v_cmp_ne_u32_e32 vcc, 0, v34
	v_mov_b32_e32 v27, 0
	s_and_saveexec_b64 s[60:61], vcc
	s_cbranch_execz .LBB2_1208
; %bb.1203:                             ;   in Loop: Header=BB2_124 Depth=2
	v_bfe_u32 v22, v34, 23, 8
	v_sub_u32_e32 v27, 0x79, v22
	v_cmp_gt_u32_e32 vcc, s76, v22
	v_cndmask_b32_e32 v27, 0, v27, vcc
	v_cmp_eq_u32_e32 vcc, 0, v22
	v_add_u32_e32 v23, 0xffffff81, v22
	v_mov_b32_e32 v22, 0xffffff82
	v_cndmask_b32_e32 v27, v27, v18, vcc
	v_cndmask_b32_e32 v36, v23, v22, vcc
	v_add_u32_e32 v22, 20, v27
	v_or_b32_e32 v34, 0x800000, v2
	v_lshlrev_b64 v[22:23], v22, -1
	v_cndmask_b32_e32 v2, v34, v2, vcc
	v_not_b32_e32 v22, v22
	v_and_b32_e32 v22, v2, v22
	v_add_u32_e32 v34, 19, v27
	v_lshrrev_b64 v[2:3], v27, v[2:3]
	v_not_b32_e32 v23, v23
	v_lshlrev_b64 v[48:49], v34, 1
	v_lshrrev_b32_e32 v34, 23, v2
	v_and_b32_e32 v23, 0, v23
	v_add3_u32 v36, v27, v36, v34
	v_bfe_u32 v27, v2, 20, 1
	v_add_u32_e32 v27, -1, v27
	v_cmp_eq_u64_e32 vcc, v[22:23], v[48:49]
	v_cndmask_b32_e32 v22, 0, v27, vcc
	v_add_u32_e32 v22, v22, v2
	v_and_b32_e32 v22, 0xfffff, v22
	v_add_co_u32_e32 v2, vcc, v22, v2
	v_add_u32_e32 v34, 6, v36
	v_addc_co_u32_e32 v3, vcc, 0, v3, vcc
	v_cmp_ne_u32_e32 vcc, 0, v34
                                        ; implicit-def: $vgpr27
	s_and_saveexec_b64 s[22:23], vcc
	s_xor_b64 s[22:23], exec, s[22:23]
; %bb.1204:                             ;   in Loop: Header=BB2_124 Depth=2
	v_add_u32_e32 v22, 7, v36
	v_cmp_lt_u64_e32 vcc, s[48:49], v[2:3]
	v_cndmask_b32_e32 v27, v34, v22, vcc
	v_cndmask_b32_e64 v22, 0, 1, vcc
	v_lshrrev_b64 v[2:3], v22, v[2:3]
; %bb.1205:                             ;   in Loop: Header=BB2_124 Depth=2
	s_andn2_saveexec_b64 s[22:23], s[22:23]
; %bb.1206:                             ;   in Loop: Header=BB2_124 Depth=2
	v_bfe_u32 v27, v2, 23, 1
; %bb.1207:                             ;   in Loop: Header=BB2_124 Depth=2
	s_or_b64 exec, exec, s[22:23]
	v_lshrrev_b64 v[2:3], 20, v[2:3]
	v_cmp_gt_i32_e32 vcc, 16, v27
	v_cndmask_b32_e32 v3, 0, v3, vcc
	v_cndmask_b32_e32 v2, 7, v2, vcc
	v_cmp_eq_u64_e64 s[22:23], 0, v[2:3]
	v_min_i32_e32 v3, 15, v27
	v_cmp_eq_u32_e32 vcc, 0, v27
	v_lshlrev_b32_e32 v3, 3, v3
	v_and_or_b32 v2, v2, 7, v3
	s_and_b64 s[22:23], vcc, s[22:23]
	v_cndmask_b32_e64 v2, v2, 0, s[22:23]
	v_or_b32_e32 v27, v2, v32
.LBB2_1208:                             ;   in Loop: Header=BB2_124 Depth=2
	s_or_b64 exec, exec, s[60:61]
.LBB2_1209:                             ;   in Loop: Header=BB2_124 Depth=2
	s_or_b64 exec, exec, s[58:59]
                                        ; implicit-def: $vgpr34
                                        ; implicit-def: $vgpr2_vgpr3
.LBB2_1210:                             ;   in Loop: Header=BB2_124 Depth=2
	s_andn2_saveexec_b64 s[22:23], s[56:57]
; %bb.1211:                             ;   in Loop: Header=BB2_124 Depth=2
	v_or_b32_sdwa v22, v34, s74 dst_sel:DWORD dst_unused:UNUSED_PAD src0_sel:BYTE_3 src1_sel:DWORD
	v_cmp_eq_u64_e32 vcc, 0, v[2:3]
	v_cndmask_b32_e32 v27, v22, v27, vcc
; %bb.1212:                             ;   in Loop: Header=BB2_124 Depth=2
	s_or_b64 exec, exec, s[22:23]
	v_lshrrev_b16_e32 v2, 8, v14
	v_cmp_ne_u16_e32 vcc, 0, v2
	v_mov_b32_e32 v3, 0
	v_mov_b32_e32 v32, 0
	s_and_saveexec_b64 s[22:23], vcc
	s_cbranch_execz .LBB2_1218
; %bb.1213:                             ;   in Loop: Header=BB2_124 Depth=2
	v_cmp_ne_u16_e32 vcc, s75, v2
	v_bfrev_b32_e32 v32, 1
	s_and_saveexec_b64 s[56:57], vcc
	s_cbranch_execz .LBB2_1217
; %bb.1214:                             ;   in Loop: Header=BB2_124 Depth=2
	v_and_b32_e32 v34, 0x7f, v2
	v_cmp_ne_u32_e32 vcc, s74, v34
	v_mov_b32_e32 v32, 0x7f800001
	s_and_saveexec_b64 s[58:59], vcc
	s_cbranch_execz .LBB2_1216
; %bb.1215:                             ;   in Loop: Header=BB2_124 Depth=2
	v_and_b32_e32 v32, 7, v2
	v_ffbh_u32_e32 v22, v32
	v_min_u32_e32 v48, 32, v22
	v_subrev_u32_e32 v22, 28, v48
	v_lshlrev_b64 v[22:23], v22, v[2:3]
	v_lshrrev_b32_e32 v36, 3, v34
	v_sub_u32_e32 v2, 29, v48
	v_and_b32_e32 v22, 7, v22
	v_cmp_gt_u32_e32 vcc, 8, v34
	v_cndmask_b32_e32 v2, v36, v2, vcc
	v_cndmask_b32_e32 v22, v32, v22, vcc
	v_lshlrev_b32_e32 v14, 16, v14
	v_lshlrev_b32_e32 v22, 20, v22
	v_and_b32_e32 v14, 0x80000000, v14
	v_lshl_add_u32 v2, v2, 23, v20
	v_or3_b32 v32, v14, v2, v22
.LBB2_1216:                             ;   in Loop: Header=BB2_124 Depth=2
	s_or_b64 exec, exec, s[58:59]
.LBB2_1217:                             ;   in Loop: Header=BB2_124 Depth=2
	s_or_b64 exec, exec, s[56:57]
.LBB2_1218:                             ;   in Loop: Header=BB2_124 Depth=2
	s_or_b64 exec, exec, s[22:23]
	v_mov_b32_e32 v2, v11
	v_lshrrev_b16_e32 v14, 8, v2
	v_cmp_ne_u16_e32 vcc, 0, v14
	s_and_saveexec_b64 s[22:23], vcc
	s_cbranch_execz .LBB2_1224
; %bb.1219:                             ;   in Loop: Header=BB2_124 Depth=2
	v_cmp_ne_u16_e32 vcc, s75, v14
	v_bfrev_b32_e32 v3, 1
	s_and_saveexec_b64 s[56:57], vcc
	s_cbranch_execz .LBB2_1223
; %bb.1220:                             ;   in Loop: Header=BB2_124 Depth=2
	v_and_b32_e32 v34, 0x7f, v14
	v_cmp_ne_u32_e32 vcc, s74, v34
	v_mov_b32_e32 v3, 0x7f800001
	s_and_saveexec_b64 s[58:59], vcc
	s_cbranch_execz .LBB2_1222
; %bb.1221:                             ;   in Loop: Header=BB2_124 Depth=2
	v_and_b32_e32 v3, 7, v14
	v_ffbh_u32_e32 v22, v3
	v_min_u32_e32 v48, 32, v22
	v_subrev_u32_e32 v22, 28, v48
	v_lshlrev_b64 v[22:23], v22, v[14:15]
	v_lshrrev_b32_e32 v36, 3, v34
	v_sub_u32_e32 v14, 29, v48
	v_and_b32_e32 v22, 7, v22
	v_cmp_gt_u32_e32 vcc, 8, v34
	v_cndmask_b32_e32 v14, v36, v14, vcc
	v_cndmask_b32_e32 v3, v3, v22, vcc
	v_lshlrev_b32_e32 v2, 16, v2
	v_lshlrev_b32_e32 v3, 20, v3
	v_and_b32_e32 v2, 0x80000000, v2
	v_lshl_add_u32 v14, v14, 23, v20
	v_or3_b32 v3, v2, v14, v3
.LBB2_1222:                             ;   in Loop: Header=BB2_124 Depth=2
	s_or_b64 exec, exec, s[58:59]
.LBB2_1223:                             ;   in Loop: Header=BB2_124 Depth=2
	s_or_b64 exec, exec, s[56:57]
.LBB2_1224:                             ;   in Loop: Header=BB2_124 Depth=2
	s_or_b64 exec, exec, s[22:23]
	v_add_f32_e32 v34, v32, v3
	v_and_b32_sdwa v32, v34, s75 dst_sel:DWORD dst_unused:UNUSED_PAD src0_sel:BYTE_3 src1_sel:DWORD
	v_and_b32_e32 v22, 0x7f800000, v34
	v_mov_b32_e32 v23, v39
	v_and_b32_e32 v2, 0x7fffff, v34
	v_mov_b32_e32 v3, v39
	v_or_b32_e32 v14, 0x7e, v32
	v_cmp_ne_u64_e32 vcc, s[42:43], v[22:23]
	s_and_saveexec_b64 s[22:23], vcc
	s_xor_b64 s[56:57], exec, s[22:23]
	s_cbranch_execz .LBB2_1234
; %bb.1225:                             ;   in Loop: Header=BB2_124 Depth=2
	v_and_b32_e32 v22, 0x7fffffff, v34
	v_mov_b32_e32 v23, v39
	v_cmp_gt_u64_e32 vcc, s[44:45], v[22:23]
	s_and_saveexec_b64 s[58:59], vcc
	s_cbranch_execz .LBB2_1233
; %bb.1226:                             ;   in Loop: Header=BB2_124 Depth=2
	v_cmp_ne_u32_e32 vcc, 0, v34
	v_mov_b32_e32 v14, 0
	s_and_saveexec_b64 s[60:61], vcc
	s_cbranch_execz .LBB2_1232
; %bb.1227:                             ;   in Loop: Header=BB2_124 Depth=2
	v_bfe_u32 v14, v34, 23, 8
	v_sub_u32_e32 v23, 0x79, v14
	v_cmp_gt_u32_e32 vcc, s76, v14
	v_cndmask_b32_e32 v23, 0, v23, vcc
	v_cmp_eq_u32_e32 vcc, 0, v14
	v_add_u32_e32 v22, 0xffffff81, v14
	v_mov_b32_e32 v14, 0xffffff82
	v_cndmask_b32_e32 v36, v23, v18, vcc
	v_cndmask_b32_e32 v14, v22, v14, vcc
	v_add_u32_e32 v22, 20, v36
	v_or_b32_e32 v34, 0x800000, v2
	v_lshlrev_b64 v[22:23], v22, -1
	v_cndmask_b32_e32 v2, v34, v2, vcc
	v_not_b32_e32 v22, v22
	v_and_b32_e32 v22, v2, v22
	v_add_u32_e32 v34, 19, v36
	v_lshrrev_b64 v[2:3], v36, v[2:3]
	v_not_b32_e32 v23, v23
	v_lshlrev_b64 v[48:49], v34, 1
	v_lshrrev_b32_e32 v34, 23, v2
	v_and_b32_e32 v23, 0, v23
	v_add3_u32 v36, v36, v14, v34
	v_bfe_u32 v14, v2, 20, 1
	v_add_u32_e32 v14, -1, v14
	v_cmp_eq_u64_e32 vcc, v[22:23], v[48:49]
	v_cndmask_b32_e32 v14, 0, v14, vcc
	v_add_u32_e32 v14, v14, v2
	v_and_b32_e32 v14, 0xfffff, v14
	v_add_co_u32_e32 v2, vcc, v14, v2
	v_add_u32_e32 v34, 6, v36
	v_addc_co_u32_e32 v3, vcc, 0, v3, vcc
	v_cmp_ne_u32_e32 vcc, 0, v34
                                        ; implicit-def: $vgpr14
	s_and_saveexec_b64 s[22:23], vcc
	s_xor_b64 s[22:23], exec, s[22:23]
; %bb.1228:                             ;   in Loop: Header=BB2_124 Depth=2
	v_cmp_lt_u64_e32 vcc, s[48:49], v[2:3]
	v_add_u32_e32 v14, 7, v36
	v_cndmask_b32_e64 v22, 0, 1, vcc
	v_cndmask_b32_e32 v14, v34, v14, vcc
	v_lshrrev_b64 v[2:3], v22, v[2:3]
; %bb.1229:                             ;   in Loop: Header=BB2_124 Depth=2
	s_andn2_saveexec_b64 s[22:23], s[22:23]
; %bb.1230:                             ;   in Loop: Header=BB2_124 Depth=2
	v_bfe_u32 v14, v2, 23, 1
; %bb.1231:                             ;   in Loop: Header=BB2_124 Depth=2
	s_or_b64 exec, exec, s[22:23]
	v_lshrrev_b64 v[2:3], 20, v[2:3]
	v_cmp_gt_i32_e32 vcc, 16, v14
	v_cndmask_b32_e32 v3, 0, v3, vcc
	v_cndmask_b32_e32 v2, 7, v2, vcc
	v_cmp_eq_u64_e64 s[22:23], 0, v[2:3]
	v_min_i32_e32 v3, 15, v14
	v_cmp_eq_u32_e32 vcc, 0, v14
	v_lshlrev_b32_e32 v3, 3, v3
	v_and_or_b32 v2, v2, 7, v3
	s_and_b64 s[22:23], vcc, s[22:23]
	v_cndmask_b32_e64 v2, v2, 0, s[22:23]
	v_or_b32_e32 v14, v2, v32
.LBB2_1232:                             ;   in Loop: Header=BB2_124 Depth=2
	s_or_b64 exec, exec, s[60:61]
.LBB2_1233:                             ;   in Loop: Header=BB2_124 Depth=2
	s_or_b64 exec, exec, s[58:59]
                                        ; implicit-def: $vgpr34
                                        ; implicit-def: $vgpr2_vgpr3
.LBB2_1234:                             ;   in Loop: Header=BB2_124 Depth=2
	s_andn2_saveexec_b64 s[22:23], s[56:57]
; %bb.1235:                             ;   in Loop: Header=BB2_124 Depth=2
	v_or_b32_sdwa v22, v34, s74 dst_sel:DWORD dst_unused:UNUSED_PAD src0_sel:BYTE_3 src1_sel:DWORD
	v_cmp_eq_u64_e32 vcc, 0, v[2:3]
	v_cndmask_b32_e32 v14, v22, v14, vcc
; %bb.1236:                             ;   in Loop: Header=BB2_124 Depth=2
	s_or_b64 exec, exec, s[22:23]
	v_lshrrev_b32_e32 v2, 16, v38
	v_cmp_ne_u16_sdwa vcc, v2, v39 src0_sel:BYTE_0 src1_sel:DWORD
	v_mov_b32_e32 v3, 0
	v_mov_b32_e32 v32, 0
	s_and_saveexec_b64 s[22:23], vcc
	s_cbranch_execz .LBB2_1242
; %bb.1237:                             ;   in Loop: Header=BB2_124 Depth=2
	v_cmp_ne_u16_sdwa vcc, v2, s75 src0_sel:BYTE_0 src1_sel:DWORD
	v_bfrev_b32_e32 v32, 1
	s_and_saveexec_b64 s[56:57], vcc
	s_cbranch_execz .LBB2_1241
; %bb.1238:                             ;   in Loop: Header=BB2_124 Depth=2
	v_bfe_u32 v34, v38, 16, 7
	v_cmp_ne_u32_e32 vcc, s74, v34
	v_mov_b32_e32 v32, 0x7f800001
	s_and_saveexec_b64 s[58:59], vcc
	s_cbranch_execz .LBB2_1240
; %bb.1239:                             ;   in Loop: Header=BB2_124 Depth=2
	v_and_b32_e32 v32, 7, v2
	v_ffbh_u32_e32 v22, v32
	v_min_u32_e32 v48, 32, v22
	v_subrev_u32_e32 v22, 28, v48
	v_lshlrev_b64 v[22:23], v22, v[2:3]
	v_lshrrev_b32_e32 v36, 3, v34
	v_sub_u32_e32 v23, 29, v48
	v_and_b32_e32 v22, 7, v22
	v_cmp_gt_u32_e32 vcc, 8, v34
	v_cndmask_b32_e32 v23, v36, v23, vcc
	v_cndmask_b32_e32 v22, v32, v22, vcc
	v_lshlrev_b32_e32 v2, 24, v2
	v_lshlrev_b32_e32 v22, 20, v22
	v_and_b32_e32 v2, 0x80000000, v2
	v_lshl_add_u32 v23, v23, 23, v20
	v_or3_b32 v32, v2, v23, v22
.LBB2_1240:                             ;   in Loop: Header=BB2_124 Depth=2
	s_or_b64 exec, exec, s[58:59]
.LBB2_1241:                             ;   in Loop: Header=BB2_124 Depth=2
	s_or_b64 exec, exec, s[56:57]
.LBB2_1242:                             ;   in Loop: Header=BB2_124 Depth=2
	s_or_b64 exec, exec, s[22:23]
	v_lshrrev_b32_e32 v2, 16, v11
	v_cmp_ne_u16_sdwa vcc, v2, v39 src0_sel:BYTE_0 src1_sel:DWORD
	s_and_saveexec_b64 s[22:23], vcc
	s_cbranch_execz .LBB2_1248
; %bb.1243:                             ;   in Loop: Header=BB2_124 Depth=2
	v_cmp_ne_u16_sdwa vcc, v2, s75 src0_sel:BYTE_0 src1_sel:DWORD
	v_bfrev_b32_e32 v3, 1
	s_and_saveexec_b64 s[56:57], vcc
	s_cbranch_execz .LBB2_1247
; %bb.1244:                             ;   in Loop: Header=BB2_124 Depth=2
	v_bfe_u32 v34, v11, 16, 7
	v_cmp_ne_u32_e32 vcc, s74, v34
	v_mov_b32_e32 v3, 0x7f800001
	s_and_saveexec_b64 s[58:59], vcc
	s_cbranch_execz .LBB2_1246
; %bb.1245:                             ;   in Loop: Header=BB2_124 Depth=2
	v_and_b32_e32 v22, 7, v2
	v_ffbh_u32_e32 v3, v22
	v_min_u32_e32 v36, 32, v3
	v_subrev_u32_e32 v3, 28, v36
	v_lshlrev_b64 v[2:3], v3, v[2:3]
	v_lshrrev_b32_e32 v23, 3, v34
	v_sub_u32_e32 v3, 29, v36
	v_and_b32_e32 v2, 7, v2
	v_cmp_gt_u32_e32 vcc, 8, v34
	v_cndmask_b32_e32 v3, v23, v3, vcc
	v_cndmask_b32_e32 v2, v22, v2, vcc
	v_lshlrev_b32_e32 v22, 8, v11
	v_lshlrev_b32_e32 v2, 20, v2
	v_and_b32_e32 v22, 0x80000000, v22
	v_lshl_add_u32 v3, v3, 23, v20
	v_or3_b32 v3, v22, v3, v2
.LBB2_1246:                             ;   in Loop: Header=BB2_124 Depth=2
	s_or_b64 exec, exec, s[58:59]
.LBB2_1247:                             ;   in Loop: Header=BB2_124 Depth=2
	s_or_b64 exec, exec, s[56:57]
.LBB2_1248:                             ;   in Loop: Header=BB2_124 Depth=2
	s_or_b64 exec, exec, s[22:23]
	v_add_f32_e32 v36, v32, v3
	v_and_b32_sdwa v34, v36, s75 dst_sel:DWORD dst_unused:UNUSED_PAD src0_sel:BYTE_3 src1_sel:DWORD
	v_and_b32_e32 v22, 0x7f800000, v36
	v_mov_b32_e32 v23, v39
	v_and_b32_e32 v2, 0x7fffff, v36
	v_mov_b32_e32 v3, v39
	v_or_b32_e32 v32, 0x7e, v34
	v_cmp_ne_u64_e32 vcc, s[42:43], v[22:23]
	s_and_saveexec_b64 s[22:23], vcc
	s_xor_b64 s[56:57], exec, s[22:23]
	s_cbranch_execz .LBB2_1258
; %bb.1249:                             ;   in Loop: Header=BB2_124 Depth=2
	v_and_b32_e32 v22, 0x7fffffff, v36
	v_mov_b32_e32 v23, v39
	v_cmp_gt_u64_e32 vcc, s[44:45], v[22:23]
	s_and_saveexec_b64 s[58:59], vcc
	s_cbranch_execz .LBB2_1257
; %bb.1250:                             ;   in Loop: Header=BB2_124 Depth=2
	v_cmp_ne_u32_e32 vcc, 0, v36
	v_mov_b32_e32 v32, 0
	s_and_saveexec_b64 s[60:61], vcc
	s_cbranch_execz .LBB2_1256
; %bb.1251:                             ;   in Loop: Header=BB2_124 Depth=2
	v_bfe_u32 v22, v36, 23, 8
	v_sub_u32_e32 v32, 0x79, v22
	v_cmp_gt_u32_e32 vcc, s76, v22
	v_cndmask_b32_e32 v32, 0, v32, vcc
	v_cmp_eq_u32_e32 vcc, 0, v22
	v_add_u32_e32 v23, 0xffffff81, v22
	v_mov_b32_e32 v22, 0xffffff82
	v_cndmask_b32_e32 v32, v32, v18, vcc
	v_cndmask_b32_e32 v48, v23, v22, vcc
	v_add_u32_e32 v22, 20, v32
	v_or_b32_e32 v36, 0x800000, v2
	v_lshlrev_b64 v[22:23], v22, -1
	v_cndmask_b32_e32 v2, v36, v2, vcc
	v_not_b32_e32 v22, v22
	v_and_b32_e32 v22, v2, v22
	v_add_u32_e32 v36, 19, v32
	v_lshrrev_b64 v[2:3], v32, v[2:3]
	v_not_b32_e32 v23, v23
	v_lshlrev_b64 v[52:53], v36, 1
	v_lshrrev_b32_e32 v36, 23, v2
	v_and_b32_e32 v23, 0, v23
	v_add3_u32 v48, v32, v48, v36
	v_bfe_u32 v32, v2, 20, 1
	v_add_u32_e32 v32, -1, v32
	v_cmp_eq_u64_e32 vcc, v[22:23], v[52:53]
	v_cndmask_b32_e32 v22, 0, v32, vcc
	v_add_u32_e32 v22, v22, v2
	v_and_b32_e32 v22, 0xfffff, v22
	v_add_co_u32_e32 v2, vcc, v22, v2
	v_add_u32_e32 v36, 6, v48
	v_addc_co_u32_e32 v3, vcc, 0, v3, vcc
	v_cmp_ne_u32_e32 vcc, 0, v36
                                        ; implicit-def: $vgpr32
	s_and_saveexec_b64 s[22:23], vcc
	s_xor_b64 s[22:23], exec, s[22:23]
; %bb.1252:                             ;   in Loop: Header=BB2_124 Depth=2
	v_add_u32_e32 v22, 7, v48
	v_cmp_lt_u64_e32 vcc, s[48:49], v[2:3]
	v_cndmask_b32_e32 v32, v36, v22, vcc
	v_cndmask_b32_e64 v22, 0, 1, vcc
	v_lshrrev_b64 v[2:3], v22, v[2:3]
; %bb.1253:                             ;   in Loop: Header=BB2_124 Depth=2
	s_andn2_saveexec_b64 s[22:23], s[22:23]
; %bb.1254:                             ;   in Loop: Header=BB2_124 Depth=2
	v_bfe_u32 v32, v2, 23, 1
; %bb.1255:                             ;   in Loop: Header=BB2_124 Depth=2
	s_or_b64 exec, exec, s[22:23]
	v_lshrrev_b64 v[2:3], 20, v[2:3]
	v_cmp_gt_i32_e32 vcc, 16, v32
	v_cndmask_b32_e32 v3, 0, v3, vcc
	v_cndmask_b32_e32 v2, 7, v2, vcc
	v_cmp_eq_u64_e64 s[22:23], 0, v[2:3]
	v_min_i32_e32 v3, 15, v32
	v_lshlrev_b32_e32 v3, 3, v3
	v_cmp_eq_u32_e32 vcc, 0, v32
	v_and_b32_e32 v3, 0xf8, v3
	v_and_or_b32 v2, v2, 7, v3
	s_and_b64 s[22:23], vcc, s[22:23]
	v_cndmask_b32_e64 v2, v2, 0, s[22:23]
	v_or_b32_e32 v32, v2, v34
.LBB2_1256:                             ;   in Loop: Header=BB2_124 Depth=2
	s_or_b64 exec, exec, s[60:61]
.LBB2_1257:                             ;   in Loop: Header=BB2_124 Depth=2
	s_or_b64 exec, exec, s[58:59]
                                        ; implicit-def: $vgpr36
                                        ; implicit-def: $vgpr2_vgpr3
.LBB2_1258:                             ;   in Loop: Header=BB2_124 Depth=2
	s_andn2_saveexec_b64 s[22:23], s[56:57]
; %bb.1259:                             ;   in Loop: Header=BB2_124 Depth=2
	v_or_b32_sdwa v22, v36, s74 dst_sel:DWORD dst_unused:UNUSED_PAD src0_sel:BYTE_3 src1_sel:DWORD
	v_cmp_eq_u64_e32 vcc, 0, v[2:3]
	v_cndmask_b32_e32 v32, v22, v32, vcc
; %bb.1260:                             ;   in Loop: Header=BB2_124 Depth=2
	s_or_b64 exec, exec, s[22:23]
	v_cmp_lt_u32_e32 vcc, s47, v38
	v_mov_b32_e32 v3, 0
	v_mov_b32_e32 v34, 0
	s_and_saveexec_b64 s[22:23], vcc
	s_cbranch_execz .LBB2_1266
; %bb.1261:                             ;   in Loop: Header=BB2_124 Depth=2
	v_lshrrev_b32_e32 v2, 24, v38
	v_cmp_ne_u32_sdwa vcc, v38, s75 src0_sel:BYTE_3 src1_sel:DWORD
	v_bfrev_b32_e32 v34, 1
	s_and_saveexec_b64 s[56:57], vcc
	s_cbranch_execz .LBB2_1265
; %bb.1262:                             ;   in Loop: Header=BB2_124 Depth=2
	v_bfe_u32 v36, v38, 24, 7
	v_cmp_ne_u32_e32 vcc, s74, v36
	v_mov_b32_e32 v34, 0x7f800001
	s_and_saveexec_b64 s[58:59], vcc
	s_cbranch_execz .LBB2_1264
; %bb.1263:                             ;   in Loop: Header=BB2_124 Depth=2
	v_and_b32_e32 v34, 7, v2
	v_ffbh_u32_e32 v22, v34
	v_min_u32_e32 v49, 32, v22
	v_subrev_u32_e32 v22, 28, v49
	v_lshlrev_b64 v[22:23], v22, v[2:3]
	v_lshrrev_b32_e32 v48, 3, v36
	v_sub_u32_e32 v2, 29, v49
	v_and_b32_e32 v22, 7, v22
	v_cmp_gt_u32_e32 vcc, 8, v36
	v_mov_b32_e32 v23, 24
	v_cndmask_b32_e32 v2, v48, v2, vcc
	v_cndmask_b32_e32 v22, v34, v22, vcc
	v_lshlrev_b32_sdwa v23, v23, v38 dst_sel:DWORD dst_unused:UNUSED_PAD src0_sel:DWORD src1_sel:BYTE_3
	v_lshlrev_b32_e32 v22, 20, v22
	v_and_b32_e32 v23, 0x80000000, v23
	v_lshl_add_u32 v2, v2, 23, v20
	v_or3_b32 v34, v23, v2, v22
.LBB2_1264:                             ;   in Loop: Header=BB2_124 Depth=2
	s_or_b64 exec, exec, s[58:59]
.LBB2_1265:                             ;   in Loop: Header=BB2_124 Depth=2
	s_or_b64 exec, exec, s[56:57]
.LBB2_1266:                             ;   in Loop: Header=BB2_124 Depth=2
	s_or_b64 exec, exec, s[22:23]
	v_cmp_lt_u64_e32 vcc, s[46:47], v[10:11]
	s_and_saveexec_b64 s[22:23], vcc
	s_cbranch_execz .LBB2_1272
; %bb.1267:                             ;   in Loop: Header=BB2_124 Depth=2
	v_lshrrev_b32_e32 v2, 24, v11
	v_cmp_ne_u32_e32 vcc, s75, v2
	v_bfrev_b32_e32 v3, 1
	s_and_saveexec_b64 s[56:57], vcc
	s_cbranch_execz .LBB2_1271
; %bb.1268:                             ;   in Loop: Header=BB2_124 Depth=2
	v_bfe_u32 v10, v11, 24, 7
	v_cmp_ne_u32_e32 vcc, s74, v10
	v_mov_b32_e32 v3, 0x7f800001
	s_and_saveexec_b64 s[58:59], vcc
	s_cbranch_execz .LBB2_1270
; %bb.1269:                             ;   in Loop: Header=BB2_124 Depth=2
	v_and_b32_e32 v3, 7, v2
	v_ffbh_u32_e32 v22, v3
	v_min_u32_e32 v36, 32, v22
	v_subrev_u32_e32 v22, 28, v36
	v_lshlrev_b64 v[22:23], v22, v[2:3]
	v_lshrrev_b32_e32 v11, 3, v10
	v_sub_u32_e32 v23, 29, v36
	v_and_b32_e32 v22, 7, v22
	v_cmp_gt_u32_e32 vcc, 8, v10
	v_cndmask_b32_e32 v10, v11, v23, vcc
	v_cndmask_b32_e32 v3, v3, v22, vcc
	v_lshlrev_b32_e32 v2, 24, v2
	v_lshlrev_b32_e32 v3, 20, v3
	v_and_b32_e32 v2, 0x80000000, v2
	v_lshl_add_u32 v10, v10, 23, v20
	v_or3_b32 v3, v2, v10, v3
.LBB2_1270:                             ;   in Loop: Header=BB2_124 Depth=2
	s_or_b64 exec, exec, s[58:59]
.LBB2_1271:                             ;   in Loop: Header=BB2_124 Depth=2
	s_or_b64 exec, exec, s[56:57]
.LBB2_1272:                             ;   in Loop: Header=BB2_124 Depth=2
	s_or_b64 exec, exec, s[22:23]
	v_add_f32_e32 v2, v34, v3
	v_and_b32_sdwa v10, v2, s75 dst_sel:DWORD dst_unused:UNUSED_PAD src0_sel:BYTE_3 src1_sel:DWORD
	v_and_b32_e32 v22, 0x7f800000, v2
	v_mov_b32_e32 v23, v39
	v_and_b32_e32 v38, 0x7fffff, v2
	v_or_b32_e32 v11, 0x7e, v10
	v_cmp_ne_u64_e32 vcc, s[42:43], v[22:23]
	s_and_saveexec_b64 s[22:23], vcc
	s_xor_b64 s[56:57], exec, s[22:23]
	s_cbranch_execz .LBB2_1282
; %bb.1273:                             ;   in Loop: Header=BB2_124 Depth=2
	v_and_b32_e32 v22, 0x7fffffff, v2
	v_mov_b32_e32 v23, v39
	v_cmp_gt_u64_e32 vcc, s[44:45], v[22:23]
	s_and_saveexec_b64 s[58:59], vcc
	s_cbranch_execz .LBB2_1281
; %bb.1274:                             ;   in Loop: Header=BB2_124 Depth=2
	v_cmp_ne_u32_e32 vcc, 0, v2
	v_mov_b32_e32 v11, 0
	s_and_saveexec_b64 s[60:61], vcc
	s_cbranch_execz .LBB2_1280
; %bb.1275:                             ;   in Loop: Header=BB2_124 Depth=2
	v_bfe_u32 v2, v2, 23, 8
	v_sub_u32_e32 v11, 0x79, v2
	v_cmp_gt_u32_e32 vcc, s76, v2
	v_cndmask_b32_e32 v11, 0, v11, vcc
	v_cmp_eq_u32_e32 vcc, 0, v2
	v_add_u32_e32 v3, 0xffffff81, v2
	v_or_b32_e32 v22, 0x800000, v38
	v_mov_b32_e32 v2, 0xffffff82
	v_cndmask_b32_e32 v11, v11, v18, vcc
	v_cndmask_b32_e32 v34, v3, v2, vcc
	;; [unrolled: 1-line block ×3, first 2 shown]
	v_add_u32_e32 v2, 20, v11
	v_lshlrev_b64 v[2:3], v2, -1
	v_lshrrev_b64 v[48:49], v11, v[38:39]
	v_not_b32_e32 v3, v3
	v_not_b32_e32 v2, v2
	v_add_u32_e32 v22, 19, v11
	v_lshrrev_b32_e32 v36, 23, v48
	v_and_b32_e32 v3, 0, v3
	v_and_b32_e32 v2, v38, v2
	v_lshlrev_b64 v[22:23], v22, 1
	v_add3_u32 v36, v11, v34, v36
	v_bfe_u32 v11, v48, 20, 1
	v_add_u32_e32 v11, -1, v11
	v_cmp_eq_u64_e32 vcc, v[2:3], v[22:23]
	v_cndmask_b32_e32 v2, 0, v11, vcc
	v_add_u32_e32 v2, v2, v48
	v_and_b32_e32 v2, 0xfffff, v2
	v_add_co_u32_e32 v2, vcc, v2, v48
	v_add_u32_e32 v34, 6, v36
	v_addc_co_u32_e32 v3, vcc, 0, v49, vcc
	v_cmp_ne_u32_e32 vcc, 0, v34
                                        ; implicit-def: $vgpr11
	s_and_saveexec_b64 s[22:23], vcc
	s_xor_b64 s[22:23], exec, s[22:23]
; %bb.1276:                             ;   in Loop: Header=BB2_124 Depth=2
	v_cmp_lt_u64_e32 vcc, s[48:49], v[2:3]
	v_add_u32_e32 v11, 7, v36
	v_cndmask_b32_e64 v22, 0, 1, vcc
	v_cndmask_b32_e32 v11, v34, v11, vcc
	v_lshrrev_b64 v[2:3], v22, v[2:3]
; %bb.1277:                             ;   in Loop: Header=BB2_124 Depth=2
	s_andn2_saveexec_b64 s[22:23], s[22:23]
; %bb.1278:                             ;   in Loop: Header=BB2_124 Depth=2
	v_bfe_u32 v11, v2, 23, 1
; %bb.1279:                             ;   in Loop: Header=BB2_124 Depth=2
	s_or_b64 exec, exec, s[22:23]
	v_lshrrev_b64 v[2:3], 20, v[2:3]
	v_cmp_gt_i32_e32 vcc, 16, v11
	v_cndmask_b32_e32 v3, 0, v3, vcc
	v_cndmask_b32_e32 v2, 7, v2, vcc
	v_cmp_eq_u64_e64 s[22:23], 0, v[2:3]
	v_min_i32_e32 v3, 15, v11
	v_lshlrev_b32_e32 v3, 3, v3
	v_cmp_eq_u32_e32 vcc, 0, v11
	v_and_b32_e32 v3, 0xf8, v3
	v_and_or_b32 v2, v2, 7, v3
	s_and_b64 s[22:23], vcc, s[22:23]
	v_cndmask_b32_e64 v2, v2, 0, s[22:23]
	v_or_b32_e32 v11, v2, v10
.LBB2_1280:                             ;   in Loop: Header=BB2_124 Depth=2
	s_or_b64 exec, exec, s[60:61]
.LBB2_1281:                             ;   in Loop: Header=BB2_124 Depth=2
	s_or_b64 exec, exec, s[58:59]
                                        ; implicit-def: $vgpr2
.LBB2_1282:                             ;   in Loop: Header=BB2_124 Depth=2
	s_andn2_saveexec_b64 s[22:23], s[56:57]
; %bb.1283:                             ;   in Loop: Header=BB2_124 Depth=2
	v_or_b32_sdwa v2, v2, s74 dst_sel:DWORD dst_unused:UNUSED_PAD src0_sel:BYTE_3 src1_sel:DWORD
	v_cmp_eq_u64_e32 vcc, 0, v[38:39]
	v_cndmask_b32_e32 v11, v2, v11, vcc
; %bb.1284:                             ;   in Loop: Header=BB2_124 Depth=2
	s_or_b64 exec, exec, s[22:23]
	v_lshlrev_b32_e32 v10, 8, v50
	v_cmp_ne_u16_sdwa vcc, v43, v39 src0_sel:BYTE_0 src1_sel:DWORD
	v_mov_b32_e32 v2, 0
	v_mov_b32_e32 v3, 0
	s_and_saveexec_b64 s[22:23], vcc
	s_cbranch_execz .LBB2_1290
; %bb.1285:                             ;   in Loop: Header=BB2_124 Depth=2
	v_cmp_ne_u16_sdwa vcc, v43, s75 src0_sel:BYTE_0 src1_sel:DWORD
	v_bfrev_b32_e32 v3, 1
	s_and_saveexec_b64 s[56:57], vcc
	s_cbranch_execz .LBB2_1289
; %bb.1286:                             ;   in Loop: Header=BB2_124 Depth=2
	v_and_b32_e32 v34, 0x7f, v43
	v_cmp_ne_u32_e32 vcc, s74, v34
	v_mov_b32_e32 v3, 0x7f800001
	s_and_saveexec_b64 s[58:59], vcc
	s_cbranch_execz .LBB2_1288
; %bb.1287:                             ;   in Loop: Header=BB2_124 Depth=2
	v_and_b32_e32 v3, 7, v43
	v_ffbh_u32_e32 v3, v3
	v_min_u32_e32 v3, 32, v3
	v_lshrrev_b32_e32 v23, 3, v34
	v_subrev_u32_e32 v36, 28, v3
	v_sub_u32_e32 v3, 29, v3
	v_cmp_gt_u32_e32 vcc, 8, v34
	v_perm_b32 v22, v10, v43, s77
	v_cndmask_b32_e32 v3, v23, v3, vcc
	v_cndmask_b32_e32 v23, 0, v36, vcc
	v_lshlrev_b64 v[22:23], v23, v[22:23]
	v_lshlrev_b32_e32 v22, 20, v22
	v_lshlrev_b32_e32 v23, 24, v43
	v_and_b32_e32 v22, 0x700000, v22
	v_and_b32_e32 v23, 0x80000000, v23
	v_lshl_add_u32 v3, v3, 23, v20
	v_or3_b32 v3, v23, v3, v22
.LBB2_1288:                             ;   in Loop: Header=BB2_124 Depth=2
	s_or_b64 exec, exec, s[58:59]
.LBB2_1289:                             ;   in Loop: Header=BB2_124 Depth=2
	s_or_b64 exec, exec, s[56:57]
.LBB2_1290:                             ;   in Loop: Header=BB2_124 Depth=2
	s_or_b64 exec, exec, s[22:23]
	v_cmp_ne_u16_sdwa vcc, v12, v39 src0_sel:BYTE_0 src1_sel:DWORD
	s_and_saveexec_b64 s[22:23], vcc
	s_cbranch_execz .LBB2_1296
; %bb.1291:                             ;   in Loop: Header=BB2_124 Depth=2
	v_cmp_ne_u16_sdwa vcc, v12, s75 src0_sel:BYTE_0 src1_sel:DWORD
	v_bfrev_b32_e32 v2, 1
	s_and_saveexec_b64 s[56:57], vcc
	s_cbranch_execz .LBB2_1295
; %bb.1292:                             ;   in Loop: Header=BB2_124 Depth=2
	v_and_b32_e32 v34, 0x7f, v12
	v_cmp_ne_u32_e32 vcc, s74, v34
	v_mov_b32_e32 v2, 0x7f800001
	s_and_saveexec_b64 s[58:59], vcc
	s_cbranch_execz .LBB2_1294
; %bb.1293:                             ;   in Loop: Header=BB2_124 Depth=2
	v_and_b32_e32 v2, 7, v12
	v_ffbh_u32_e32 v2, v2
	v_min_u32_e32 v2, 32, v2
	v_lshrrev_b32_e32 v22, 3, v34
	v_subrev_u32_e32 v23, 28, v2
	v_sub_u32_e32 v2, 29, v2
	v_cmp_gt_u32_e32 vcc, 8, v34
	v_cndmask_b32_e32 v2, v22, v2, vcc
	v_cndmask_b32_e32 v22, 0, v23, vcc
	v_lshlrev_b64 v[22:23], v22, v[12:13]
	v_lshlrev_b32_e32 v22, 20, v22
	v_lshlrev_b32_e32 v23, 24, v12
	v_and_b32_e32 v22, 0x700000, v22
	v_and_b32_e32 v23, 0x80000000, v23
	v_lshl_add_u32 v2, v2, 23, v20
	v_or3_b32 v2, v23, v2, v22
.LBB2_1294:                             ;   in Loop: Header=BB2_124 Depth=2
	s_or_b64 exec, exec, s[58:59]
.LBB2_1295:                             ;   in Loop: Header=BB2_124 Depth=2
	s_or_b64 exec, exec, s[56:57]
.LBB2_1296:                             ;   in Loop: Header=BB2_124 Depth=2
	s_or_b64 exec, exec, s[22:23]
	v_add_f32_e32 v2, v3, v2
	v_and_b32_sdwa v36, v2, s75 dst_sel:DWORD dst_unused:UNUSED_PAD src0_sel:BYTE_3 src1_sel:DWORD
	v_and_b32_e32 v22, 0x7f800000, v2
	v_mov_b32_e32 v23, v39
	v_and_b32_e32 v38, 0x7fffff, v2
	v_or_b32_e32 v34, 0x7e, v36
	v_cmp_ne_u64_e32 vcc, s[42:43], v[22:23]
	s_and_saveexec_b64 s[22:23], vcc
	s_xor_b64 s[56:57], exec, s[22:23]
	s_cbranch_execz .LBB2_1306
; %bb.1297:                             ;   in Loop: Header=BB2_124 Depth=2
	v_and_b32_e32 v22, 0x7fffffff, v2
	v_mov_b32_e32 v23, v39
	v_cmp_gt_u64_e32 vcc, s[44:45], v[22:23]
	s_and_saveexec_b64 s[58:59], vcc
	s_cbranch_execz .LBB2_1305
; %bb.1298:                             ;   in Loop: Header=BB2_124 Depth=2
	v_cmp_ne_u32_e32 vcc, 0, v2
	v_mov_b32_e32 v34, 0
	s_and_saveexec_b64 s[60:61], vcc
	s_cbranch_execz .LBB2_1304
; %bb.1299:                             ;   in Loop: Header=BB2_124 Depth=2
	v_bfe_u32 v2, v2, 23, 8
	v_sub_u32_e32 v22, 0x79, v2
	v_cmp_gt_u32_e32 vcc, s76, v2
	v_cndmask_b32_e32 v22, 0, v22, vcc
	v_cmp_eq_u32_e32 vcc, 0, v2
	v_add_u32_e32 v3, 0xffffff81, v2
	v_mov_b32_e32 v2, 0xffffff82
	v_cndmask_b32_e32 v48, v22, v18, vcc
	v_or_b32_e32 v23, 0x800000, v38
	v_cndmask_b32_e32 v34, v3, v2, vcc
	v_add_u32_e32 v2, 20, v48
	v_cndmask_b32_e32 v38, v23, v38, vcc
	v_lshlrev_b64 v[2:3], v2, -1
	v_not_b32_e32 v2, v2
	v_lshrrev_b64 v[52:53], v48, v[38:39]
	v_not_b32_e32 v3, v3
	v_and_b32_e32 v2, v38, v2
	v_add_u32_e32 v22, 19, v48
	v_lshrrev_b32_e32 v38, 23, v52
	v_and_b32_e32 v3, 0, v3
	v_lshlrev_b64 v[22:23], v22, 1
	v_add3_u32 v48, v48, v34, v38
	v_bfe_u32 v34, v52, 20, 1
	v_add_u32_e32 v34, -1, v34
	v_cmp_eq_u64_e32 vcc, v[2:3], v[22:23]
	v_cndmask_b32_e32 v2, 0, v34, vcc
	v_add_u32_e32 v2, v2, v52
	v_and_b32_e32 v2, 0xfffff, v2
	v_add_co_u32_e32 v2, vcc, v2, v52
	v_add_u32_e32 v38, 6, v48
	v_addc_co_u32_e32 v3, vcc, 0, v53, vcc
	v_cmp_ne_u32_e32 vcc, 0, v38
                                        ; implicit-def: $vgpr34
	s_and_saveexec_b64 s[22:23], vcc
	s_xor_b64 s[22:23], exec, s[22:23]
; %bb.1300:                             ;   in Loop: Header=BB2_124 Depth=2
	v_add_u32_e32 v22, 7, v48
	v_cmp_lt_u64_e32 vcc, s[48:49], v[2:3]
	v_cndmask_b32_e32 v34, v38, v22, vcc
	v_cndmask_b32_e64 v22, 0, 1, vcc
	v_lshrrev_b64 v[2:3], v22, v[2:3]
; %bb.1301:                             ;   in Loop: Header=BB2_124 Depth=2
	s_andn2_saveexec_b64 s[22:23], s[22:23]
; %bb.1302:                             ;   in Loop: Header=BB2_124 Depth=2
	v_bfe_u32 v34, v2, 23, 1
; %bb.1303:                             ;   in Loop: Header=BB2_124 Depth=2
	s_or_b64 exec, exec, s[22:23]
	v_lshrrev_b64 v[2:3], 20, v[2:3]
	v_cmp_gt_i32_e32 vcc, 16, v34
	v_cndmask_b32_e32 v3, 0, v3, vcc
	v_cndmask_b32_e32 v2, 7, v2, vcc
	v_cmp_eq_u64_e64 s[22:23], 0, v[2:3]
	v_min_i32_e32 v3, 15, v34
	v_cmp_eq_u32_e32 vcc, 0, v34
	v_lshlrev_b32_e32 v3, 3, v3
	v_and_or_b32 v2, v2, 7, v3
	s_and_b64 s[22:23], vcc, s[22:23]
	v_cndmask_b32_e64 v2, v2, 0, s[22:23]
	v_or_b32_e32 v34, v2, v36
.LBB2_1304:                             ;   in Loop: Header=BB2_124 Depth=2
	s_or_b64 exec, exec, s[60:61]
.LBB2_1305:                             ;   in Loop: Header=BB2_124 Depth=2
	s_or_b64 exec, exec, s[58:59]
                                        ; implicit-def: $vgpr2
.LBB2_1306:                             ;   in Loop: Header=BB2_124 Depth=2
	s_andn2_saveexec_b64 s[22:23], s[56:57]
; %bb.1307:                             ;   in Loop: Header=BB2_124 Depth=2
	v_or_b32_sdwa v2, v2, s74 dst_sel:DWORD dst_unused:UNUSED_PAD src0_sel:BYTE_3 src1_sel:DWORD
	v_cmp_eq_u64_e32 vcc, 0, v[38:39]
	v_cndmask_b32_e32 v34, v2, v34, vcc
; %bb.1308:                             ;   in Loop: Header=BB2_124 Depth=2
	s_or_b64 exec, exec, s[22:23]
	v_lshrrev_b16_e32 v2, 8, v10
	v_cmp_ne_u16_e32 vcc, 0, v2
	v_mov_b32_e32 v3, 0
	v_mov_b32_e32 v36, 0
	s_and_saveexec_b64 s[22:23], vcc
	s_cbranch_execz .LBB2_1314
; %bb.1309:                             ;   in Loop: Header=BB2_124 Depth=2
	v_cmp_ne_u16_e32 vcc, s75, v2
	v_bfrev_b32_e32 v36, 1
	s_and_saveexec_b64 s[56:57], vcc
	s_cbranch_execz .LBB2_1313
; %bb.1310:                             ;   in Loop: Header=BB2_124 Depth=2
	v_and_b32_e32 v38, 0x7f, v2
	v_cmp_ne_u32_e32 vcc, s74, v38
	v_mov_b32_e32 v36, 0x7f800001
	s_and_saveexec_b64 s[58:59], vcc
	s_cbranch_execz .LBB2_1312
; %bb.1311:                             ;   in Loop: Header=BB2_124 Depth=2
	v_and_b32_e32 v36, 7, v2
	v_ffbh_u32_e32 v22, v36
	v_min_u32_e32 v49, 32, v22
	v_subrev_u32_e32 v22, 28, v49
	v_lshlrev_b64 v[22:23], v22, v[2:3]
	v_lshrrev_b32_e32 v48, 3, v38
	v_sub_u32_e32 v2, 29, v49
	v_and_b32_e32 v22, 7, v22
	v_cmp_gt_u32_e32 vcc, 8, v38
	v_cndmask_b32_e32 v2, v48, v2, vcc
	v_cndmask_b32_e32 v22, v36, v22, vcc
	v_lshlrev_b32_e32 v10, 16, v10
	v_lshlrev_b32_e32 v22, 20, v22
	v_and_b32_e32 v10, 0x80000000, v10
	v_lshl_add_u32 v2, v2, 23, v20
	v_or3_b32 v36, v10, v2, v22
.LBB2_1312:                             ;   in Loop: Header=BB2_124 Depth=2
	s_or_b64 exec, exec, s[58:59]
.LBB2_1313:                             ;   in Loop: Header=BB2_124 Depth=2
	s_or_b64 exec, exec, s[56:57]
.LBB2_1314:                             ;   in Loop: Header=BB2_124 Depth=2
	s_or_b64 exec, exec, s[22:23]
	v_lshrrev_b16_e32 v2, 8, v12
	v_cmp_ne_u16_e32 vcc, 0, v2
	s_and_saveexec_b64 s[22:23], vcc
	s_cbranch_execz .LBB2_1320
; %bb.1315:                             ;   in Loop: Header=BB2_124 Depth=2
	v_cmp_ne_u16_e32 vcc, s75, v2
	v_bfrev_b32_e32 v3, 1
	s_and_saveexec_b64 s[56:57], vcc
	s_cbranch_execz .LBB2_1319
; %bb.1316:                             ;   in Loop: Header=BB2_124 Depth=2
	v_and_b32_e32 v10, 0x7f, v2
	v_cmp_ne_u32_e32 vcc, s74, v10
	v_mov_b32_e32 v3, 0x7f800001
	s_and_saveexec_b64 s[58:59], vcc
	s_cbranch_execz .LBB2_1318
; %bb.1317:                             ;   in Loop: Header=BB2_124 Depth=2
	v_and_b32_e32 v22, 7, v2
	v_ffbh_u32_e32 v3, v22
	v_min_u32_e32 v38, 32, v3
	v_subrev_u32_e32 v3, 28, v38
	v_lshlrev_b64 v[2:3], v3, v[2:3]
	v_lshrrev_b32_e32 v23, 3, v10
	v_sub_u32_e32 v3, 29, v38
	v_and_b32_e32 v2, 7, v2
	v_cmp_gt_u32_e32 vcc, 8, v10
	v_cndmask_b32_e32 v3, v23, v3, vcc
	v_cndmask_b32_e32 v2, v22, v2, vcc
	v_lshlrev_b32_e32 v10, 16, v12
	v_lshlrev_b32_e32 v2, 20, v2
	v_and_b32_e32 v10, 0x80000000, v10
	v_lshl_add_u32 v3, v3, 23, v20
	v_or3_b32 v3, v10, v3, v2
.LBB2_1318:                             ;   in Loop: Header=BB2_124 Depth=2
	s_or_b64 exec, exec, s[58:59]
.LBB2_1319:                             ;   in Loop: Header=BB2_124 Depth=2
	s_or_b64 exec, exec, s[56:57]
.LBB2_1320:                             ;   in Loop: Header=BB2_124 Depth=2
	s_or_b64 exec, exec, s[22:23]
	v_add_f32_e32 v2, v36, v3
	v_and_b32_sdwa v10, v2, s75 dst_sel:DWORD dst_unused:UNUSED_PAD src0_sel:BYTE_3 src1_sel:DWORD
	v_and_b32_e32 v22, 0x7f800000, v2
	v_mov_b32_e32 v23, v39
	v_and_b32_e32 v38, 0x7fffff, v2
	v_or_b32_e32 v36, 0x7e, v10
	v_cmp_ne_u64_e32 vcc, s[42:43], v[22:23]
	s_and_saveexec_b64 s[22:23], vcc
	s_xor_b64 s[56:57], exec, s[22:23]
	s_cbranch_execz .LBB2_1330
; %bb.1321:                             ;   in Loop: Header=BB2_124 Depth=2
	v_and_b32_e32 v22, 0x7fffffff, v2
	v_mov_b32_e32 v23, v39
	v_cmp_gt_u64_e32 vcc, s[44:45], v[22:23]
	s_and_saveexec_b64 s[58:59], vcc
	s_cbranch_execz .LBB2_1329
; %bb.1322:                             ;   in Loop: Header=BB2_124 Depth=2
	v_cmp_ne_u32_e32 vcc, 0, v2
	v_mov_b32_e32 v36, 0
	s_and_saveexec_b64 s[60:61], vcc
	s_cbranch_execz .LBB2_1328
; %bb.1323:                             ;   in Loop: Header=BB2_124 Depth=2
	v_bfe_u32 v2, v2, 23, 8
	v_sub_u32_e32 v22, 0x79, v2
	v_cmp_gt_u32_e32 vcc, s76, v2
	v_cndmask_b32_e32 v22, 0, v22, vcc
	v_cmp_eq_u32_e32 vcc, 0, v2
	v_add_u32_e32 v3, 0xffffff81, v2
	v_mov_b32_e32 v2, 0xffffff82
	v_cndmask_b32_e32 v48, v22, v18, vcc
	v_or_b32_e32 v23, 0x800000, v38
	v_cndmask_b32_e32 v36, v3, v2, vcc
	v_add_u32_e32 v2, 20, v48
	v_cndmask_b32_e32 v38, v23, v38, vcc
	v_lshlrev_b64 v[2:3], v2, -1
	v_not_b32_e32 v2, v2
	v_lshrrev_b64 v[52:53], v48, v[38:39]
	v_not_b32_e32 v3, v3
	v_and_b32_e32 v2, v38, v2
	v_add_u32_e32 v22, 19, v48
	v_lshrrev_b32_e32 v38, 23, v52
	v_and_b32_e32 v3, 0, v3
	v_lshlrev_b64 v[22:23], v22, 1
	v_add3_u32 v48, v48, v36, v38
	v_bfe_u32 v36, v52, 20, 1
	v_add_u32_e32 v36, -1, v36
	v_cmp_eq_u64_e32 vcc, v[2:3], v[22:23]
	v_cndmask_b32_e32 v2, 0, v36, vcc
	v_add_u32_e32 v2, v2, v52
	v_and_b32_e32 v2, 0xfffff, v2
	v_add_co_u32_e32 v2, vcc, v2, v52
	v_add_u32_e32 v38, 6, v48
	v_addc_co_u32_e32 v3, vcc, 0, v53, vcc
	v_cmp_ne_u32_e32 vcc, 0, v38
                                        ; implicit-def: $vgpr36
	s_and_saveexec_b64 s[22:23], vcc
	s_xor_b64 s[22:23], exec, s[22:23]
; %bb.1324:                             ;   in Loop: Header=BB2_124 Depth=2
	v_add_u32_e32 v22, 7, v48
	v_cmp_lt_u64_e32 vcc, s[48:49], v[2:3]
	v_cndmask_b32_e32 v36, v38, v22, vcc
	v_cndmask_b32_e64 v22, 0, 1, vcc
	v_lshrrev_b64 v[2:3], v22, v[2:3]
; %bb.1325:                             ;   in Loop: Header=BB2_124 Depth=2
	s_andn2_saveexec_b64 s[22:23], s[22:23]
; %bb.1326:                             ;   in Loop: Header=BB2_124 Depth=2
	v_bfe_u32 v36, v2, 23, 1
; %bb.1327:                             ;   in Loop: Header=BB2_124 Depth=2
	s_or_b64 exec, exec, s[22:23]
	v_lshrrev_b64 v[2:3], 20, v[2:3]
	v_cmp_gt_i32_e32 vcc, 16, v36
	v_cndmask_b32_e32 v3, 0, v3, vcc
	v_cndmask_b32_e32 v2, 7, v2, vcc
	v_cmp_eq_u64_e64 s[22:23], 0, v[2:3]
	v_min_i32_e32 v3, 15, v36
	v_cmp_eq_u32_e32 vcc, 0, v36
	v_lshlrev_b32_e32 v3, 3, v3
	v_and_or_b32 v2, v2, 7, v3
	s_and_b64 s[22:23], vcc, s[22:23]
	v_cndmask_b32_e64 v2, v2, 0, s[22:23]
	v_or_b32_e32 v36, v2, v10
.LBB2_1328:                             ;   in Loop: Header=BB2_124 Depth=2
	s_or_b64 exec, exec, s[60:61]
.LBB2_1329:                             ;   in Loop: Header=BB2_124 Depth=2
	s_or_b64 exec, exec, s[58:59]
                                        ; implicit-def: $vgpr2
.LBB2_1330:                             ;   in Loop: Header=BB2_124 Depth=2
	s_andn2_saveexec_b64 s[22:23], s[56:57]
; %bb.1331:                             ;   in Loop: Header=BB2_124 Depth=2
	v_or_b32_sdwa v2, v2, s74 dst_sel:DWORD dst_unused:UNUSED_PAD src0_sel:BYTE_3 src1_sel:DWORD
	v_cmp_eq_u64_e32 vcc, 0, v[38:39]
	v_cndmask_b32_e32 v36, v2, v36, vcc
; %bb.1332:                             ;   in Loop: Header=BB2_124 Depth=2
	s_or_b64 exec, exec, s[22:23]
	v_cmp_ne_u16_sdwa vcc, v58, v39 src0_sel:BYTE_0 src1_sel:DWORD
	v_mov_b32_e32 v3, 0
	v_mov_b32_e32 v10, 0
	s_and_saveexec_b64 s[22:23], vcc
	s_cbranch_execz .LBB2_1338
; %bb.1333:                             ;   in Loop: Header=BB2_124 Depth=2
	v_cmp_ne_u16_sdwa vcc, v58, s75 src0_sel:BYTE_0 src1_sel:DWORD
	v_bfrev_b32_e32 v10, 1
	s_and_saveexec_b64 s[56:57], vcc
	s_cbranch_execz .LBB2_1337
; %bb.1334:                             ;   in Loop: Header=BB2_124 Depth=2
	v_and_b32_e32 v2, 0x7f, v58
	v_cmp_ne_u32_e32 vcc, s74, v2
	v_mov_b32_e32 v10, 0x7f800001
	s_and_saveexec_b64 s[58:59], vcc
	s_cbranch_execz .LBB2_1336
; %bb.1335:                             ;   in Loop: Header=BB2_124 Depth=2
	v_and_b32_e32 v10, 7, v58
	v_ffbh_u32_e32 v22, v10
	v_min_u32_e32 v48, 32, v22
	v_subrev_u32_e32 v22, 28, v48
	v_lshlrev_b64 v[22:23], v22, v[58:59]
	v_lshrrev_b32_e32 v38, 3, v2
	v_sub_u32_e32 v23, 29, v48
	v_and_b32_e32 v22, 7, v22
	v_cmp_gt_u32_e32 vcc, 8, v2
	v_cndmask_b32_e32 v2, v38, v23, vcc
	v_cndmask_b32_e32 v10, v10, v22, vcc
	v_lshlrev_b32_e32 v22, 24, v58
	v_lshlrev_b32_e32 v10, 20, v10
	v_and_b32_e32 v22, 0x80000000, v22
	v_lshl_add_u32 v2, v2, 23, v20
	v_or3_b32 v10, v22, v2, v10
.LBB2_1336:                             ;   in Loop: Header=BB2_124 Depth=2
	s_or_b64 exec, exec, s[58:59]
.LBB2_1337:                             ;   in Loop: Header=BB2_124 Depth=2
	s_or_b64 exec, exec, s[56:57]
.LBB2_1338:                             ;   in Loop: Header=BB2_124 Depth=2
	s_or_b64 exec, exec, s[22:23]
	v_lshrrev_b32_e32 v2, 16, v12
	v_cmp_ne_u16_sdwa vcc, v2, v39 src0_sel:BYTE_0 src1_sel:DWORD
	s_and_saveexec_b64 s[22:23], vcc
	s_cbranch_execz .LBB2_1344
; %bb.1339:                             ;   in Loop: Header=BB2_124 Depth=2
	v_cmp_ne_u16_sdwa vcc, v2, s75 src0_sel:BYTE_0 src1_sel:DWORD
	v_bfrev_b32_e32 v3, 1
	s_and_saveexec_b64 s[56:57], vcc
	s_cbranch_execz .LBB2_1343
; %bb.1340:                             ;   in Loop: Header=BB2_124 Depth=2
	v_bfe_u32 v38, v12, 16, 7
	v_cmp_ne_u32_e32 vcc, s74, v38
	v_mov_b32_e32 v3, 0x7f800001
	s_and_saveexec_b64 s[58:59], vcc
	s_cbranch_execz .LBB2_1342
; %bb.1341:                             ;   in Loop: Header=BB2_124 Depth=2
	v_and_b32_e32 v22, 7, v2
	v_ffbh_u32_e32 v3, v22
	v_min_u32_e32 v48, 32, v3
	v_subrev_u32_e32 v3, 28, v48
	v_lshlrev_b64 v[2:3], v3, v[2:3]
	v_lshrrev_b32_e32 v23, 3, v38
	v_sub_u32_e32 v3, 29, v48
	v_and_b32_e32 v2, 7, v2
	v_cmp_gt_u32_e32 vcc, 8, v38
	v_cndmask_b32_e32 v3, v23, v3, vcc
	v_cndmask_b32_e32 v2, v22, v2, vcc
	v_lshlrev_b32_e32 v22, 8, v12
	v_lshlrev_b32_e32 v2, 20, v2
	v_and_b32_e32 v22, 0x80000000, v22
	v_lshl_add_u32 v3, v3, 23, v20
	v_or3_b32 v3, v22, v3, v2
.LBB2_1342:                             ;   in Loop: Header=BB2_124 Depth=2
	s_or_b64 exec, exec, s[58:59]
.LBB2_1343:                             ;   in Loop: Header=BB2_124 Depth=2
	s_or_b64 exec, exec, s[56:57]
.LBB2_1344:                             ;   in Loop: Header=BB2_124 Depth=2
	s_or_b64 exec, exec, s[22:23]
	v_add_f32_e32 v2, v10, v3
	v_and_b32_sdwa v10, v2, s75 dst_sel:DWORD dst_unused:UNUSED_PAD src0_sel:BYTE_3 src1_sel:DWORD
	v_and_b32_e32 v22, 0x7f800000, v2
	v_mov_b32_e32 v23, v39
	v_and_b32_e32 v38, 0x7fffff, v2
	v_or_b32_e32 v48, 0x7e, v10
	v_cmp_ne_u64_e32 vcc, s[42:43], v[22:23]
	s_and_saveexec_b64 s[22:23], vcc
	s_xor_b64 s[56:57], exec, s[22:23]
	s_cbranch_execz .LBB2_1354
; %bb.1345:                             ;   in Loop: Header=BB2_124 Depth=2
	v_and_b32_e32 v22, 0x7fffffff, v2
	v_mov_b32_e32 v23, v39
	v_cmp_gt_u64_e32 vcc, s[44:45], v[22:23]
	s_and_saveexec_b64 s[58:59], vcc
	s_cbranch_execz .LBB2_1353
; %bb.1346:                             ;   in Loop: Header=BB2_124 Depth=2
	v_cmp_ne_u32_e32 vcc, 0, v2
	v_mov_b32_e32 v48, 0
	s_and_saveexec_b64 s[60:61], vcc
	s_cbranch_execz .LBB2_1352
; %bb.1347:                             ;   in Loop: Header=BB2_124 Depth=2
	v_bfe_u32 v2, v2, 23, 8
	v_sub_u32_e32 v22, 0x79, v2
	v_cmp_gt_u32_e32 vcc, s76, v2
	v_cndmask_b32_e32 v22, 0, v22, vcc
	v_cmp_eq_u32_e32 vcc, 0, v2
	v_add_u32_e32 v3, 0xffffff81, v2
	v_mov_b32_e32 v2, 0xffffff82
	v_cndmask_b32_e32 v49, v22, v18, vcc
	v_or_b32_e32 v23, 0x800000, v38
	v_cndmask_b32_e32 v48, v3, v2, vcc
	v_add_u32_e32 v2, 20, v49
	v_cndmask_b32_e32 v38, v23, v38, vcc
	v_lshlrev_b64 v[2:3], v2, -1
	v_not_b32_e32 v2, v2
	v_lshrrev_b64 v[52:53], v49, v[38:39]
	v_not_b32_e32 v3, v3
	v_and_b32_e32 v2, v38, v2
	v_add_u32_e32 v22, 19, v49
	v_lshrrev_b32_e32 v38, 23, v52
	v_and_b32_e32 v3, 0, v3
	v_lshlrev_b64 v[22:23], v22, 1
	v_add3_u32 v49, v49, v48, v38
	v_bfe_u32 v38, v52, 20, 1
	v_add_u32_e32 v38, -1, v38
	v_cmp_eq_u64_e32 vcc, v[2:3], v[22:23]
	v_cndmask_b32_e32 v2, 0, v38, vcc
	v_add_u32_e32 v2, v2, v52
	v_and_b32_e32 v2, 0xfffff, v2
	v_add_co_u32_e32 v2, vcc, v2, v52
	v_add_u32_e32 v48, 6, v49
	v_addc_co_u32_e32 v3, vcc, 0, v53, vcc
	v_cmp_ne_u32_e32 vcc, 0, v48
                                        ; implicit-def: $vgpr38
	s_and_saveexec_b64 s[22:23], vcc
	s_xor_b64 s[22:23], exec, s[22:23]
; %bb.1348:                             ;   in Loop: Header=BB2_124 Depth=2
	v_add_u32_e32 v22, 7, v49
	v_cmp_lt_u64_e32 vcc, s[48:49], v[2:3]
	v_cndmask_b32_e32 v38, v48, v22, vcc
	v_cndmask_b32_e64 v22, 0, 1, vcc
	v_lshrrev_b64 v[2:3], v22, v[2:3]
; %bb.1349:                             ;   in Loop: Header=BB2_124 Depth=2
	s_andn2_saveexec_b64 s[22:23], s[22:23]
; %bb.1350:                             ;   in Loop: Header=BB2_124 Depth=2
	v_bfe_u32 v38, v2, 23, 1
; %bb.1351:                             ;   in Loop: Header=BB2_124 Depth=2
	s_or_b64 exec, exec, s[22:23]
	v_lshrrev_b64 v[2:3], 20, v[2:3]
	v_cmp_gt_i32_e32 vcc, 16, v38
	v_cndmask_b32_e32 v3, 0, v3, vcc
	v_cndmask_b32_e32 v2, 7, v2, vcc
	v_cmp_eq_u64_e64 s[22:23], 0, v[2:3]
	v_min_i32_e32 v3, 15, v38
	v_cmp_eq_u32_e32 vcc, 0, v38
	v_lshlrev_b32_e32 v3, 3, v3
	v_and_or_b32 v2, v2, 7, v3
	s_and_b64 s[22:23], vcc, s[22:23]
	v_cndmask_b32_e64 v2, v2, 0, s[22:23]
	v_or_b32_e32 v48, v2, v10
.LBB2_1352:                             ;   in Loop: Header=BB2_124 Depth=2
	s_or_b64 exec, exec, s[60:61]
.LBB2_1353:                             ;   in Loop: Header=BB2_124 Depth=2
	s_or_b64 exec, exec, s[58:59]
                                        ; implicit-def: $vgpr2
.LBB2_1354:                             ;   in Loop: Header=BB2_124 Depth=2
	s_andn2_saveexec_b64 s[22:23], s[56:57]
; %bb.1355:                             ;   in Loop: Header=BB2_124 Depth=2
	v_or_b32_sdwa v2, v2, s74 dst_sel:DWORD dst_unused:UNUSED_PAD src0_sel:BYTE_3 src1_sel:DWORD
	v_cmp_eq_u64_e32 vcc, 0, v[38:39]
	v_cndmask_b32_e32 v48, v2, v48, vcc
; %bb.1356:                             ;   in Loop: Header=BB2_124 Depth=2
	s_or_b64 exec, exec, s[22:23]
	v_lshlrev_b32_e32 v0, 8, v0
	v_and_b32_e32 v2, 0xff00, v0
	v_cmp_ne_u32_e32 vcc, 0, v2
	v_mov_b32_e32 v0, 0
	v_mov_b32_e32 v3, 0
	s_and_saveexec_b64 s[22:23], vcc
	s_cbranch_execz .LBB2_1362
; %bb.1357:                             ;   in Loop: Header=BB2_124 Depth=2
	v_cmp_ne_u32_e32 vcc, s78, v2
	v_bfrev_b32_e32 v3, 1
	s_and_saveexec_b64 s[56:57], vcc
	s_cbranch_execz .LBB2_1361
; %bb.1358:                             ;   in Loop: Header=BB2_124 Depth=2
	v_bfe_u32 v10, v2, 8, 7
	v_cmp_ne_u32_e32 vcc, s74, v10
	v_mov_b32_e32 v3, 0x7f800001
	s_and_saveexec_b64 s[58:59], vcc
	s_cbranch_execz .LBB2_1360
; %bb.1359:                             ;   in Loop: Header=BB2_124 Depth=2
	v_lshrrev_b32_e32 v22, 8, v2
	v_and_b32_e32 v3, 7, v22
	v_ffbh_u32_e32 v23, v3
	v_min_u32_e32 v49, 32, v23
	v_subrev_u32_e32 v23, 28, v49
	v_lshlrev_b64 v[22:23], v23, v[22:23]
	v_lshrrev_b32_e32 v38, 3, v10
	v_sub_u32_e32 v23, 29, v49
	v_and_b32_e32 v22, 7, v22
	v_cmp_gt_u32_e32 vcc, 8, v10
	v_cndmask_b32_e32 v10, v38, v23, vcc
	v_cndmask_b32_e32 v3, v3, v22, vcc
	v_lshlrev_b32_e32 v2, 16, v2
	v_lshlrev_b32_e32 v3, 20, v3
	v_and_b32_e32 v2, 0x80000000, v2
	v_lshl_add_u32 v10, v10, 23, v20
	v_or3_b32 v3, v2, v10, v3
.LBB2_1360:                             ;   in Loop: Header=BB2_124 Depth=2
	s_or_b64 exec, exec, s[58:59]
.LBB2_1361:                             ;   in Loop: Header=BB2_124 Depth=2
	s_or_b64 exec, exec, s[56:57]
.LBB2_1362:                             ;   in Loop: Header=BB2_124 Depth=2
	s_or_b64 exec, exec, s[22:23]
	v_cmp_lt_u32_e32 vcc, s47, v12
	s_and_saveexec_b64 s[22:23], vcc
	s_cbranch_execz .LBB2_1368
; %bb.1363:                             ;   in Loop: Header=BB2_124 Depth=2
	v_lshrrev_b32_e32 v2, 24, v12
	v_cmp_ne_u32_e32 vcc, s75, v2
	v_bfrev_b32_e32 v0, 1
	s_and_saveexec_b64 s[56:57], vcc
	s_cbranch_execz .LBB2_1367
; %bb.1364:                             ;   in Loop: Header=BB2_124 Depth=2
	v_bfe_u32 v10, v12, 24, 7
	v_cmp_ne_u32_e32 vcc, s74, v10
	v_mov_b32_e32 v0, 0x7f800001
	s_and_saveexec_b64 s[58:59], vcc
	s_cbranch_execz .LBB2_1366
; %bb.1365:                             ;   in Loop: Header=BB2_124 Depth=2
	v_and_b32_e32 v0, 7, v2
	v_ffbh_u32_e32 v22, v0
	v_min_u32_e32 v49, 32, v22
	v_subrev_u32_e32 v22, 28, v49
	v_lshlrev_b64 v[22:23], v22, v[2:3]
	v_lshrrev_b32_e32 v38, 3, v10
	v_sub_u32_e32 v23, 29, v49
	v_and_b32_e32 v22, 7, v22
	v_cmp_gt_u32_e32 vcc, 8, v10
	v_cndmask_b32_e32 v10, v38, v23, vcc
	v_cndmask_b32_e32 v0, v0, v22, vcc
	v_lshlrev_b32_e32 v2, 24, v2
	v_lshlrev_b32_e32 v0, 20, v0
	v_and_b32_e32 v2, 0x80000000, v2
	v_lshl_add_u32 v10, v10, 23, v20
	v_or3_b32 v0, v2, v10, v0
.LBB2_1366:                             ;   in Loop: Header=BB2_124 Depth=2
	s_or_b64 exec, exec, s[58:59]
.LBB2_1367:                             ;   in Loop: Header=BB2_124 Depth=2
	s_or_b64 exec, exec, s[56:57]
.LBB2_1368:                             ;   in Loop: Header=BB2_124 Depth=2
	s_or_b64 exec, exec, s[22:23]
	v_add_f32_e32 v2, v3, v0
	v_and_b32_sdwa v10, v2, s75 dst_sel:DWORD dst_unused:UNUSED_PAD src0_sel:BYTE_3 src1_sel:DWORD
	v_and_b32_e32 v22, 0x7f800000, v2
	v_mov_b32_e32 v23, v39
	v_and_b32_e32 v38, 0x7fffff, v2
	v_or_b32_e32 v0, 0x7e, v10
	v_cmp_ne_u64_e32 vcc, s[42:43], v[22:23]
	s_and_saveexec_b64 s[22:23], vcc
	s_xor_b64 s[56:57], exec, s[22:23]
	s_cbranch_execz .LBB2_1378
; %bb.1369:                             ;   in Loop: Header=BB2_124 Depth=2
	v_and_b32_e32 v22, 0x7fffffff, v2
	v_mov_b32_e32 v23, v39
	v_cmp_gt_u64_e32 vcc, s[44:45], v[22:23]
	s_and_saveexec_b64 s[58:59], vcc
	s_cbranch_execz .LBB2_1377
; %bb.1370:                             ;   in Loop: Header=BB2_124 Depth=2
	v_cmp_ne_u32_e32 vcc, 0, v2
	v_mov_b32_e32 v0, 0
	s_and_saveexec_b64 s[60:61], vcc
	s_cbranch_execz .LBB2_1376
; %bb.1371:                             ;   in Loop: Header=BB2_124 Depth=2
	v_bfe_u32 v0, v2, 23, 8
	v_sub_u32_e32 v3, 0x79, v0
	v_cmp_gt_u32_e32 vcc, s76, v0
	v_cndmask_b32_e32 v3, 0, v3, vcc
	v_cmp_eq_u32_e32 vcc, 0, v0
	v_add_u32_e32 v2, 0xffffff81, v0
	v_mov_b32_e32 v0, 0xffffff82
	v_cndmask_b32_e32 v49, v3, v18, vcc
	v_or_b32_e32 v22, 0x800000, v38
	v_cndmask_b32_e32 v0, v2, v0, vcc
	v_add_u32_e32 v2, 20, v49
	v_cndmask_b32_e32 v38, v22, v38, vcc
	v_lshlrev_b64 v[2:3], v2, -1
	v_not_b32_e32 v2, v2
	v_lshrrev_b64 v[52:53], v49, v[38:39]
	v_not_b32_e32 v3, v3
	v_and_b32_e32 v2, v38, v2
	v_add_u32_e32 v22, 19, v49
	v_lshrrev_b32_e32 v38, 23, v52
	v_and_b32_e32 v3, 0, v3
	v_lshlrev_b64 v[22:23], v22, 1
	v_add3_u32 v49, v49, v0, v38
	v_bfe_u32 v0, v52, 20, 1
	v_add_u32_e32 v0, -1, v0
	v_cmp_eq_u64_e32 vcc, v[2:3], v[22:23]
	v_cndmask_b32_e32 v0, 0, v0, vcc
	v_add_u32_e32 v0, v0, v52
	v_and_b32_e32 v0, 0xfffff, v0
	v_add_co_u32_e32 v2, vcc, v0, v52
	v_add_u32_e32 v38, 6, v49
	v_addc_co_u32_e32 v3, vcc, 0, v53, vcc
	v_cmp_ne_u32_e32 vcc, 0, v38
                                        ; implicit-def: $vgpr0
	s_and_saveexec_b64 s[22:23], vcc
	s_xor_b64 s[22:23], exec, s[22:23]
; %bb.1372:                             ;   in Loop: Header=BB2_124 Depth=2
	v_cmp_lt_u64_e32 vcc, s[48:49], v[2:3]
	v_add_u32_e32 v0, 7, v49
	v_cndmask_b32_e64 v22, 0, 1, vcc
	v_cndmask_b32_e32 v0, v38, v0, vcc
	v_lshrrev_b64 v[2:3], v22, v[2:3]
; %bb.1373:                             ;   in Loop: Header=BB2_124 Depth=2
	s_andn2_saveexec_b64 s[22:23], s[22:23]
; %bb.1374:                             ;   in Loop: Header=BB2_124 Depth=2
	v_bfe_u32 v0, v2, 23, 1
; %bb.1375:                             ;   in Loop: Header=BB2_124 Depth=2
	s_or_b64 exec, exec, s[22:23]
	v_lshrrev_b64 v[2:3], 20, v[2:3]
	v_cmp_gt_i32_e32 vcc, 16, v0
	v_cndmask_b32_e32 v3, 0, v3, vcc
	v_cndmask_b32_e32 v2, 7, v2, vcc
	v_cmp_eq_u32_e32 vcc, 0, v0
	v_min_i32_e32 v0, 15, v0
	v_cmp_eq_u64_e64 s[22:23], 0, v[2:3]
	v_lshlrev_b32_e32 v0, 3, v0
	v_and_or_b32 v0, v2, 7, v0
	s_and_b64 s[22:23], vcc, s[22:23]
	v_cndmask_b32_e64 v0, v0, 0, s[22:23]
	v_or_b32_e32 v0, v0, v10
.LBB2_1376:                             ;   in Loop: Header=BB2_124 Depth=2
	s_or_b64 exec, exec, s[60:61]
.LBB2_1377:                             ;   in Loop: Header=BB2_124 Depth=2
	s_or_b64 exec, exec, s[58:59]
                                        ; implicit-def: $vgpr2
.LBB2_1378:                             ;   in Loop: Header=BB2_124 Depth=2
	s_andn2_saveexec_b64 s[22:23], s[56:57]
; %bb.1379:                             ;   in Loop: Header=BB2_124 Depth=2
	v_or_b32_sdwa v2, v2, s74 dst_sel:DWORD dst_unused:UNUSED_PAD src0_sel:BYTE_3 src1_sel:DWORD
	v_cmp_eq_u64_e32 vcc, 0, v[38:39]
	v_cndmask_b32_e32 v0, v2, v0, vcc
; %bb.1380:                             ;   in Loop: Header=BB2_124 Depth=2
	s_or_b64 exec, exec, s[22:23]
	v_lshlrev_b32_e32 v10, 8, v26
	v_lshlrev_b32_e32 v2, 24, v54
	v_perm_b32 v3, v51, v19, s79
	v_or3_b32 v38, v3, v2, v10
	v_cmp_ne_u16_sdwa vcc, v19, v39 src0_sel:BYTE_0 src1_sel:DWORD
	v_mov_b32_e32 v3, 0
	v_mov_b32_e32 v2, 0
	s_and_saveexec_b64 s[22:23], vcc
	s_cbranch_execz .LBB2_1386
; %bb.1381:                             ;   in Loop: Header=BB2_124 Depth=2
	v_cmp_ne_u16_sdwa vcc, v19, s75 src0_sel:BYTE_0 src1_sel:DWORD
	v_bfrev_b32_e32 v2, 1
	s_and_saveexec_b64 s[56:57], vcc
	s_cbranch_execz .LBB2_1385
; %bb.1382:                             ;   in Loop: Header=BB2_124 Depth=2
	v_and_b32_e32 v26, 0x7f, v19
	v_cmp_ne_u32_e32 vcc, s74, v26
	v_mov_b32_e32 v2, 0x7f800001
	s_and_saveexec_b64 s[58:59], vcc
	s_cbranch_execz .LBB2_1384
; %bb.1383:                             ;   in Loop: Header=BB2_124 Depth=2
	v_and_b32_e32 v2, 7, v19
	v_ffbh_u32_e32 v2, v2
	v_min_u32_e32 v2, 32, v2
	v_lshrrev_b32_e32 v19, 3, v26
	v_subrev_u32_e32 v22, 28, v2
	v_sub_u32_e32 v2, 29, v2
	v_cmp_gt_u32_e32 vcc, 8, v26
	v_cndmask_b32_e32 v2, v19, v2, vcc
	v_cndmask_b32_e32 v19, 0, v22, vcc
	v_lshlrev_b64 v[22:23], v19, v[38:39]
	v_lshlrev_b32_e32 v19, 20, v22
	v_lshlrev_b32_e32 v22, 24, v38
	v_and_b32_e32 v19, 0x700000, v19
	v_and_b32_e32 v22, 0x80000000, v22
	v_lshl_add_u32 v2, v2, 23, v20
	v_or3_b32 v2, v22, v2, v19
.LBB2_1384:                             ;   in Loop: Header=BB2_124 Depth=2
	s_or_b64 exec, exec, s[58:59]
.LBB2_1385:                             ;   in Loop: Header=BB2_124 Depth=2
	s_or_b64 exec, exec, s[56:57]
.LBB2_1386:                             ;   in Loop: Header=BB2_124 Depth=2
	s_or_b64 exec, exec, s[22:23]
	v_cmp_ne_u16_sdwa vcc, v13, v39 src0_sel:BYTE_0 src1_sel:DWORD
	s_and_saveexec_b64 s[22:23], vcc
	s_cbranch_execz .LBB2_1392
; %bb.1387:                             ;   in Loop: Header=BB2_124 Depth=2
	v_cmp_ne_u16_sdwa vcc, v13, s75 src0_sel:BYTE_0 src1_sel:DWORD
	v_bfrev_b32_e32 v3, 1
	s_and_saveexec_b64 s[56:57], vcc
	s_cbranch_execz .LBB2_1391
; %bb.1388:                             ;   in Loop: Header=BB2_124 Depth=2
	v_and_b32_e32 v19, 0x7f, v13
	v_cmp_ne_u32_e32 vcc, s74, v19
	v_mov_b32_e32 v3, 0x7f800001
	s_and_saveexec_b64 s[58:59], vcc
	s_cbranch_execz .LBB2_1390
; %bb.1389:                             ;   in Loop: Header=BB2_124 Depth=2
	v_and_b32_e32 v3, 7, v13
	v_ffbh_u32_e32 v3, v3
	v_min_u32_e32 v3, 32, v3
	v_subrev_u32_e32 v49, 28, v3
	v_cmp_gt_u32_e32 vcc, 8, v19
	v_mov_b32_e32 v22, v13
	v_mov_b32_e32 v23, v39
	v_lshrrev_b32_e32 v26, 3, v19
	v_cndmask_b32_e32 v19, 0, v49, vcc
	v_sub_u32_e32 v3, 29, v3
	v_lshlrev_b64 v[50:51], v19, v[22:23]
	v_cndmask_b32_e32 v3, v26, v3, vcc
	v_lshlrev_b32_e32 v19, 20, v50
	v_lshlrev_b32_e32 v22, 24, v22
	v_and_b32_e32 v19, 0x700000, v19
	v_and_b32_e32 v22, 0x80000000, v22
	v_lshl_add_u32 v3, v3, 23, v20
	v_or3_b32 v3, v22, v3, v19
.LBB2_1390:                             ;   in Loop: Header=BB2_124 Depth=2
	s_or_b64 exec, exec, s[58:59]
.LBB2_1391:                             ;   in Loop: Header=BB2_124 Depth=2
	s_or_b64 exec, exec, s[56:57]
.LBB2_1392:                             ;   in Loop: Header=BB2_124 Depth=2
	s_or_b64 exec, exec, s[22:23]
	v_add_f32_e32 v49, v2, v3
	v_and_b32_sdwa v26, v49, s75 dst_sel:DWORD dst_unused:UNUSED_PAD src0_sel:BYTE_3 src1_sel:DWORD
	v_and_b32_e32 v22, 0x7f800000, v49
	v_mov_b32_e32 v23, v39
	v_and_b32_e32 v2, 0x7fffff, v49
	v_mov_b32_e32 v3, v39
	v_or_b32_e32 v19, 0x7e, v26
	v_cmp_ne_u64_e32 vcc, s[42:43], v[22:23]
	s_and_saveexec_b64 s[22:23], vcc
	s_xor_b64 s[56:57], exec, s[22:23]
	s_cbranch_execz .LBB2_1402
; %bb.1393:                             ;   in Loop: Header=BB2_124 Depth=2
	v_and_b32_e32 v22, 0x7fffffff, v49
	v_mov_b32_e32 v23, v39
	v_cmp_gt_u64_e32 vcc, s[44:45], v[22:23]
	s_and_saveexec_b64 s[58:59], vcc
	s_cbranch_execz .LBB2_1401
; %bb.1394:                             ;   in Loop: Header=BB2_124 Depth=2
	v_cmp_ne_u32_e32 vcc, 0, v49
	v_mov_b32_e32 v19, 0
	s_and_saveexec_b64 s[60:61], vcc
	s_cbranch_execz .LBB2_1400
; %bb.1395:                             ;   in Loop: Header=BB2_124 Depth=2
	v_bfe_u32 v19, v49, 23, 8
	v_sub_u32_e32 v23, 0x79, v19
	v_cmp_gt_u32_e32 vcc, s76, v19
	v_cndmask_b32_e32 v23, 0, v23, vcc
	v_cmp_eq_u32_e32 vcc, 0, v19
	v_add_u32_e32 v22, 0xffffff81, v19
	v_mov_b32_e32 v19, 0xffffff82
	v_cndmask_b32_e32 v50, v23, v18, vcc
	v_cndmask_b32_e32 v19, v22, v19, vcc
	v_add_u32_e32 v22, 20, v50
	v_or_b32_e32 v49, 0x800000, v2
	v_lshlrev_b64 v[22:23], v22, -1
	v_cndmask_b32_e32 v2, v49, v2, vcc
	v_not_b32_e32 v22, v22
	v_and_b32_e32 v22, v2, v22
	v_add_u32_e32 v49, 19, v50
	v_lshrrev_b64 v[2:3], v50, v[2:3]
	v_not_b32_e32 v23, v23
	v_lshlrev_b64 v[52:53], v49, 1
	v_lshrrev_b32_e32 v49, 23, v2
	v_and_b32_e32 v23, 0, v23
	v_add3_u32 v50, v50, v19, v49
	v_bfe_u32 v19, v2, 20, 1
	v_add_u32_e32 v19, -1, v19
	v_cmp_eq_u64_e32 vcc, v[22:23], v[52:53]
	v_cndmask_b32_e32 v19, 0, v19, vcc
	v_add_u32_e32 v19, v19, v2
	v_and_b32_e32 v19, 0xfffff, v19
	v_add_co_u32_e32 v2, vcc, v19, v2
	v_add_u32_e32 v49, 6, v50
	v_addc_co_u32_e32 v3, vcc, 0, v3, vcc
	v_cmp_ne_u32_e32 vcc, 0, v49
                                        ; implicit-def: $vgpr19
	s_and_saveexec_b64 s[22:23], vcc
	s_xor_b64 s[22:23], exec, s[22:23]
; %bb.1396:                             ;   in Loop: Header=BB2_124 Depth=2
	v_cmp_lt_u64_e32 vcc, s[48:49], v[2:3]
	v_add_u32_e32 v19, 7, v50
	v_cndmask_b32_e64 v22, 0, 1, vcc
	v_cndmask_b32_e32 v19, v49, v19, vcc
	v_lshrrev_b64 v[2:3], v22, v[2:3]
; %bb.1397:                             ;   in Loop: Header=BB2_124 Depth=2
	s_andn2_saveexec_b64 s[22:23], s[22:23]
; %bb.1398:                             ;   in Loop: Header=BB2_124 Depth=2
	v_bfe_u32 v19, v2, 23, 1
; %bb.1399:                             ;   in Loop: Header=BB2_124 Depth=2
	s_or_b64 exec, exec, s[22:23]
	v_lshrrev_b64 v[2:3], 20, v[2:3]
	v_cmp_gt_i32_e32 vcc, 16, v19
	v_cndmask_b32_e32 v3, 0, v3, vcc
	v_cndmask_b32_e32 v2, 7, v2, vcc
	v_cmp_eq_u64_e64 s[22:23], 0, v[2:3]
	v_min_i32_e32 v3, 15, v19
	v_cmp_eq_u32_e32 vcc, 0, v19
	v_lshlrev_b32_e32 v3, 3, v3
	v_and_or_b32 v2, v2, 7, v3
	s_and_b64 s[22:23], vcc, s[22:23]
	v_cndmask_b32_e64 v2, v2, 0, s[22:23]
	v_or_b32_e32 v19, v2, v26
.LBB2_1400:                             ;   in Loop: Header=BB2_124 Depth=2
	s_or_b64 exec, exec, s[60:61]
.LBB2_1401:                             ;   in Loop: Header=BB2_124 Depth=2
	s_or_b64 exec, exec, s[58:59]
                                        ; implicit-def: $vgpr49
                                        ; implicit-def: $vgpr2_vgpr3
.LBB2_1402:                             ;   in Loop: Header=BB2_124 Depth=2
	s_andn2_saveexec_b64 s[22:23], s[56:57]
; %bb.1403:                             ;   in Loop: Header=BB2_124 Depth=2
	v_or_b32_sdwa v22, v49, s74 dst_sel:DWORD dst_unused:UNUSED_PAD src0_sel:BYTE_3 src1_sel:DWORD
	v_cmp_eq_u64_e32 vcc, 0, v[2:3]
	v_cndmask_b32_e32 v19, v22, v19, vcc
; %bb.1404:                             ;   in Loop: Header=BB2_124 Depth=2
	s_or_b64 exec, exec, s[22:23]
	v_lshrrev_b16_e32 v2, 8, v10
	v_cmp_ne_u16_e32 vcc, 0, v2
	v_mov_b32_e32 v3, 0
	v_mov_b32_e32 v26, 0
	s_and_saveexec_b64 s[22:23], vcc
	s_cbranch_execz .LBB2_1410
; %bb.1405:                             ;   in Loop: Header=BB2_124 Depth=2
	v_cmp_ne_u16_e32 vcc, s75, v2
	v_bfrev_b32_e32 v26, 1
	s_and_saveexec_b64 s[56:57], vcc
	s_cbranch_execz .LBB2_1409
; %bb.1406:                             ;   in Loop: Header=BB2_124 Depth=2
	v_and_b32_e32 v49, 0x7f, v2
	v_cmp_ne_u32_e32 vcc, s74, v49
	v_mov_b32_e32 v26, 0x7f800001
	s_and_saveexec_b64 s[58:59], vcc
	s_cbranch_execz .LBB2_1408
; %bb.1407:                             ;   in Loop: Header=BB2_124 Depth=2
	v_and_b32_e32 v26, 7, v2
	v_ffbh_u32_e32 v22, v26
	v_min_u32_e32 v51, 32, v22
	v_subrev_u32_e32 v22, 28, v51
	v_lshlrev_b64 v[22:23], v22, v[2:3]
	v_lshrrev_b32_e32 v50, 3, v49
	v_sub_u32_e32 v2, 29, v51
	v_and_b32_e32 v22, 7, v22
	v_cmp_gt_u32_e32 vcc, 8, v49
	v_cndmask_b32_e32 v2, v50, v2, vcc
	v_cndmask_b32_e32 v22, v26, v22, vcc
	v_lshlrev_b32_e32 v10, 16, v10
	v_lshlrev_b32_e32 v22, 20, v22
	v_and_b32_e32 v10, 0x80000000, v10
	v_lshl_add_u32 v2, v2, 23, v20
	v_or3_b32 v26, v10, v2, v22
.LBB2_1408:                             ;   in Loop: Header=BB2_124 Depth=2
	s_or_b64 exec, exec, s[58:59]
.LBB2_1409:                             ;   in Loop: Header=BB2_124 Depth=2
	s_or_b64 exec, exec, s[56:57]
.LBB2_1410:                             ;   in Loop: Header=BB2_124 Depth=2
	s_or_b64 exec, exec, s[22:23]
	v_mov_b32_e32 v2, v13
	v_lshrrev_b16_e32 v10, 8, v2
	v_cmp_ne_u16_e32 vcc, 0, v10
	s_and_saveexec_b64 s[22:23], vcc
	s_cbranch_execz .LBB2_1416
; %bb.1411:                             ;   in Loop: Header=BB2_124 Depth=2
	v_cmp_ne_u16_e32 vcc, s75, v10
	v_bfrev_b32_e32 v3, 1
	s_and_saveexec_b64 s[56:57], vcc
	s_cbranch_execz .LBB2_1415
; %bb.1412:                             ;   in Loop: Header=BB2_124 Depth=2
	v_and_b32_e32 v49, 0x7f, v10
	v_cmp_ne_u32_e32 vcc, s74, v49
	v_mov_b32_e32 v3, 0x7f800001
	s_and_saveexec_b64 s[58:59], vcc
	s_cbranch_execz .LBB2_1414
; %bb.1413:                             ;   in Loop: Header=BB2_124 Depth=2
	v_and_b32_e32 v3, 7, v10
	v_ffbh_u32_e32 v22, v3
	v_min_u32_e32 v51, 32, v22
	v_subrev_u32_e32 v22, 28, v51
	v_lshlrev_b64 v[22:23], v22, v[10:11]
	v_lshrrev_b32_e32 v50, 3, v49
	v_sub_u32_e32 v10, 29, v51
	v_and_b32_e32 v22, 7, v22
	v_cmp_gt_u32_e32 vcc, 8, v49
	v_cndmask_b32_e32 v10, v50, v10, vcc
	v_cndmask_b32_e32 v3, v3, v22, vcc
	v_lshlrev_b32_e32 v2, 16, v2
	v_lshlrev_b32_e32 v3, 20, v3
	v_and_b32_e32 v2, 0x80000000, v2
	v_lshl_add_u32 v10, v10, 23, v20
	v_or3_b32 v3, v2, v10, v3
.LBB2_1414:                             ;   in Loop: Header=BB2_124 Depth=2
	s_or_b64 exec, exec, s[58:59]
.LBB2_1415:                             ;   in Loop: Header=BB2_124 Depth=2
	s_or_b64 exec, exec, s[56:57]
.LBB2_1416:                             ;   in Loop: Header=BB2_124 Depth=2
	s_or_b64 exec, exec, s[22:23]
	v_add_f32_e32 v49, v26, v3
	v_and_b32_sdwa v26, v49, s75 dst_sel:DWORD dst_unused:UNUSED_PAD src0_sel:BYTE_3 src1_sel:DWORD
	v_and_b32_e32 v22, 0x7f800000, v49
	v_mov_b32_e32 v23, v39
	v_and_b32_e32 v2, 0x7fffff, v49
	v_mov_b32_e32 v3, v39
	v_or_b32_e32 v10, 0x7e, v26
	v_cmp_ne_u64_e32 vcc, s[42:43], v[22:23]
	s_and_saveexec_b64 s[22:23], vcc
	s_xor_b64 s[56:57], exec, s[22:23]
	s_cbranch_execz .LBB2_1426
; %bb.1417:                             ;   in Loop: Header=BB2_124 Depth=2
	v_and_b32_e32 v22, 0x7fffffff, v49
	v_mov_b32_e32 v23, v39
	v_cmp_gt_u64_e32 vcc, s[44:45], v[22:23]
	s_and_saveexec_b64 s[58:59], vcc
	s_cbranch_execz .LBB2_1425
; %bb.1418:                             ;   in Loop: Header=BB2_124 Depth=2
	v_cmp_ne_u32_e32 vcc, 0, v49
	v_mov_b32_e32 v10, 0
	s_and_saveexec_b64 s[60:61], vcc
	s_cbranch_execz .LBB2_1424
; %bb.1419:                             ;   in Loop: Header=BB2_124 Depth=2
	v_bfe_u32 v10, v49, 23, 8
	v_sub_u32_e32 v23, 0x79, v10
	v_cmp_gt_u32_e32 vcc, s76, v10
	v_cndmask_b32_e32 v23, 0, v23, vcc
	v_cmp_eq_u32_e32 vcc, 0, v10
	v_add_u32_e32 v22, 0xffffff81, v10
	v_mov_b32_e32 v10, 0xffffff82
	v_cndmask_b32_e32 v50, v23, v18, vcc
	v_cndmask_b32_e32 v10, v22, v10, vcc
	v_add_u32_e32 v22, 20, v50
	v_or_b32_e32 v49, 0x800000, v2
	v_lshlrev_b64 v[22:23], v22, -1
	v_cndmask_b32_e32 v2, v49, v2, vcc
	v_not_b32_e32 v22, v22
	v_and_b32_e32 v22, v2, v22
	v_add_u32_e32 v49, 19, v50
	v_lshrrev_b64 v[2:3], v50, v[2:3]
	v_not_b32_e32 v23, v23
	v_lshlrev_b64 v[52:53], v49, 1
	v_lshrrev_b32_e32 v49, 23, v2
	v_and_b32_e32 v23, 0, v23
	v_add3_u32 v50, v50, v10, v49
	v_bfe_u32 v10, v2, 20, 1
	v_add_u32_e32 v10, -1, v10
	v_cmp_eq_u64_e32 vcc, v[22:23], v[52:53]
	v_cndmask_b32_e32 v10, 0, v10, vcc
	v_add_u32_e32 v10, v10, v2
	v_and_b32_e32 v10, 0xfffff, v10
	v_add_co_u32_e32 v2, vcc, v10, v2
	v_add_u32_e32 v49, 6, v50
	v_addc_co_u32_e32 v3, vcc, 0, v3, vcc
	v_cmp_ne_u32_e32 vcc, 0, v49
                                        ; implicit-def: $vgpr10
	s_and_saveexec_b64 s[22:23], vcc
	s_xor_b64 s[22:23], exec, s[22:23]
; %bb.1420:                             ;   in Loop: Header=BB2_124 Depth=2
	v_cmp_lt_u64_e32 vcc, s[48:49], v[2:3]
	v_add_u32_e32 v10, 7, v50
	v_cndmask_b32_e64 v22, 0, 1, vcc
	v_cndmask_b32_e32 v10, v49, v10, vcc
	v_lshrrev_b64 v[2:3], v22, v[2:3]
; %bb.1421:                             ;   in Loop: Header=BB2_124 Depth=2
	s_andn2_saveexec_b64 s[22:23], s[22:23]
; %bb.1422:                             ;   in Loop: Header=BB2_124 Depth=2
	v_bfe_u32 v10, v2, 23, 1
; %bb.1423:                             ;   in Loop: Header=BB2_124 Depth=2
	s_or_b64 exec, exec, s[22:23]
	v_lshrrev_b64 v[2:3], 20, v[2:3]
	v_cmp_gt_i32_e32 vcc, 16, v10
	v_cndmask_b32_e32 v3, 0, v3, vcc
	v_cndmask_b32_e32 v2, 7, v2, vcc
	v_cmp_eq_u64_e64 s[22:23], 0, v[2:3]
	v_min_i32_e32 v3, 15, v10
	v_cmp_eq_u32_e32 vcc, 0, v10
	v_lshlrev_b32_e32 v3, 3, v3
	v_and_or_b32 v2, v2, 7, v3
	s_and_b64 s[22:23], vcc, s[22:23]
	v_cndmask_b32_e64 v2, v2, 0, s[22:23]
	v_or_b32_e32 v10, v2, v26
.LBB2_1424:                             ;   in Loop: Header=BB2_124 Depth=2
	s_or_b64 exec, exec, s[60:61]
.LBB2_1425:                             ;   in Loop: Header=BB2_124 Depth=2
	s_or_b64 exec, exec, s[58:59]
                                        ; implicit-def: $vgpr49
                                        ; implicit-def: $vgpr2_vgpr3
.LBB2_1426:                             ;   in Loop: Header=BB2_124 Depth=2
	s_andn2_saveexec_b64 s[22:23], s[56:57]
; %bb.1427:                             ;   in Loop: Header=BB2_124 Depth=2
	v_or_b32_sdwa v22, v49, s74 dst_sel:DWORD dst_unused:UNUSED_PAD src0_sel:BYTE_3 src1_sel:DWORD
	v_cmp_eq_u64_e32 vcc, 0, v[2:3]
	v_cndmask_b32_e32 v10, v22, v10, vcc
; %bb.1428:                             ;   in Loop: Header=BB2_124 Depth=2
	s_or_b64 exec, exec, s[22:23]
	v_lshrrev_b32_e32 v2, 16, v38
	v_cmp_ne_u16_sdwa vcc, v2, v39 src0_sel:BYTE_0 src1_sel:DWORD
	v_mov_b32_e32 v3, 0
	v_mov_b32_e32 v26, 0
	s_and_saveexec_b64 s[22:23], vcc
	s_cbranch_execz .LBB2_1434
; %bb.1429:                             ;   in Loop: Header=BB2_124 Depth=2
	v_cmp_ne_u16_sdwa vcc, v2, s75 src0_sel:BYTE_0 src1_sel:DWORD
	v_bfrev_b32_e32 v26, 1
	s_and_saveexec_b64 s[56:57], vcc
	s_cbranch_execz .LBB2_1433
; %bb.1430:                             ;   in Loop: Header=BB2_124 Depth=2
	v_bfe_u32 v49, v38, 16, 7
	v_cmp_ne_u32_e32 vcc, s74, v49
	v_mov_b32_e32 v26, 0x7f800001
	s_and_saveexec_b64 s[58:59], vcc
	s_cbranch_execz .LBB2_1432
; %bb.1431:                             ;   in Loop: Header=BB2_124 Depth=2
	v_and_b32_e32 v26, 7, v2
	v_ffbh_u32_e32 v22, v26
	v_min_u32_e32 v51, 32, v22
	v_subrev_u32_e32 v22, 28, v51
	v_lshlrev_b64 v[22:23], v22, v[2:3]
	v_lshrrev_b32_e32 v50, 3, v49
	v_sub_u32_e32 v23, 29, v51
	v_and_b32_e32 v22, 7, v22
	v_cmp_gt_u32_e32 vcc, 8, v49
	v_cndmask_b32_e32 v23, v50, v23, vcc
	v_cndmask_b32_e32 v22, v26, v22, vcc
	v_lshlrev_b32_e32 v2, 24, v2
	v_lshlrev_b32_e32 v22, 20, v22
	v_and_b32_e32 v2, 0x80000000, v2
	v_lshl_add_u32 v23, v23, 23, v20
	v_or3_b32 v26, v2, v23, v22
.LBB2_1432:                             ;   in Loop: Header=BB2_124 Depth=2
	s_or_b64 exec, exec, s[58:59]
.LBB2_1433:                             ;   in Loop: Header=BB2_124 Depth=2
	s_or_b64 exec, exec, s[56:57]
.LBB2_1434:                             ;   in Loop: Header=BB2_124 Depth=2
	s_or_b64 exec, exec, s[22:23]
	v_lshrrev_b32_e32 v2, 16, v13
	v_cmp_ne_u16_sdwa vcc, v2, v39 src0_sel:BYTE_0 src1_sel:DWORD
	s_and_saveexec_b64 s[22:23], vcc
	s_cbranch_execz .LBB2_1440
; %bb.1435:                             ;   in Loop: Header=BB2_124 Depth=2
	v_cmp_ne_u16_sdwa vcc, v2, s75 src0_sel:BYTE_0 src1_sel:DWORD
	v_bfrev_b32_e32 v3, 1
	s_and_saveexec_b64 s[56:57], vcc
	s_cbranch_execz .LBB2_1439
; %bb.1436:                             ;   in Loop: Header=BB2_124 Depth=2
	v_bfe_u32 v49, v13, 16, 7
	v_cmp_ne_u32_e32 vcc, s74, v49
	v_mov_b32_e32 v3, 0x7f800001
	s_and_saveexec_b64 s[58:59], vcc
	s_cbranch_execz .LBB2_1438
; %bb.1437:                             ;   in Loop: Header=BB2_124 Depth=2
	v_and_b32_e32 v22, 7, v2
	v_ffbh_u32_e32 v3, v22
	v_min_u32_e32 v50, 32, v3
	v_subrev_u32_e32 v3, 28, v50
	v_lshlrev_b64 v[2:3], v3, v[2:3]
	v_lshrrev_b32_e32 v23, 3, v49
	v_sub_u32_e32 v3, 29, v50
	v_and_b32_e32 v2, 7, v2
	v_cmp_gt_u32_e32 vcc, 8, v49
	v_cndmask_b32_e32 v3, v23, v3, vcc
	v_cndmask_b32_e32 v2, v22, v2, vcc
	v_lshlrev_b32_e32 v22, 8, v13
	v_lshlrev_b32_e32 v2, 20, v2
	v_and_b32_e32 v22, 0x80000000, v22
	v_lshl_add_u32 v3, v3, 23, v20
	v_or3_b32 v3, v22, v3, v2
.LBB2_1438:                             ;   in Loop: Header=BB2_124 Depth=2
	s_or_b64 exec, exec, s[58:59]
.LBB2_1439:                             ;   in Loop: Header=BB2_124 Depth=2
	s_or_b64 exec, exec, s[56:57]
.LBB2_1440:                             ;   in Loop: Header=BB2_124 Depth=2
	s_or_b64 exec, exec, s[22:23]
	v_add_f32_e32 v50, v26, v3
	v_and_b32_sdwa v49, v50, s75 dst_sel:DWORD dst_unused:UNUSED_PAD src0_sel:BYTE_3 src1_sel:DWORD
	v_and_b32_e32 v22, 0x7f800000, v50
	v_mov_b32_e32 v23, v39
	v_and_b32_e32 v2, 0x7fffff, v50
	v_mov_b32_e32 v3, v39
	v_or_b32_e32 v26, 0x7e, v49
	v_cmp_ne_u64_e32 vcc, s[42:43], v[22:23]
	s_and_saveexec_b64 s[22:23], vcc
	s_xor_b64 s[56:57], exec, s[22:23]
	s_cbranch_execz .LBB2_1450
; %bb.1441:                             ;   in Loop: Header=BB2_124 Depth=2
	v_and_b32_e32 v22, 0x7fffffff, v50
	v_mov_b32_e32 v23, v39
	v_cmp_gt_u64_e32 vcc, s[44:45], v[22:23]
	s_and_saveexec_b64 s[58:59], vcc
	s_cbranch_execz .LBB2_1449
; %bb.1442:                             ;   in Loop: Header=BB2_124 Depth=2
	v_cmp_ne_u32_e32 vcc, 0, v50
	v_mov_b32_e32 v26, 0
	s_and_saveexec_b64 s[60:61], vcc
	s_cbranch_execz .LBB2_1448
; %bb.1443:                             ;   in Loop: Header=BB2_124 Depth=2
	v_bfe_u32 v22, v50, 23, 8
	v_sub_u32_e32 v26, 0x79, v22
	v_cmp_gt_u32_e32 vcc, s76, v22
	v_cndmask_b32_e32 v26, 0, v26, vcc
	v_cmp_eq_u32_e32 vcc, 0, v22
	v_add_u32_e32 v23, 0xffffff81, v22
	v_mov_b32_e32 v22, 0xffffff82
	v_cndmask_b32_e32 v26, v26, v18, vcc
	v_cndmask_b32_e32 v51, v23, v22, vcc
	v_add_u32_e32 v22, 20, v26
	v_or_b32_e32 v50, 0x800000, v2
	v_lshlrev_b64 v[22:23], v22, -1
	v_cndmask_b32_e32 v2, v50, v2, vcc
	v_not_b32_e32 v22, v22
	v_and_b32_e32 v22, v2, v22
	v_add_u32_e32 v50, 19, v26
	v_lshrrev_b64 v[2:3], v26, v[2:3]
	v_not_b32_e32 v23, v23
	v_lshlrev_b64 v[52:53], v50, 1
	v_lshrrev_b32_e32 v50, 23, v2
	v_and_b32_e32 v23, 0, v23
	v_add3_u32 v51, v26, v51, v50
	v_bfe_u32 v26, v2, 20, 1
	v_add_u32_e32 v26, -1, v26
	v_cmp_eq_u64_e32 vcc, v[22:23], v[52:53]
	v_cndmask_b32_e32 v22, 0, v26, vcc
	v_add_u32_e32 v22, v22, v2
	v_and_b32_e32 v22, 0xfffff, v22
	v_add_co_u32_e32 v2, vcc, v22, v2
	v_add_u32_e32 v50, 6, v51
	v_addc_co_u32_e32 v3, vcc, 0, v3, vcc
	v_cmp_ne_u32_e32 vcc, 0, v50
                                        ; implicit-def: $vgpr26
	s_and_saveexec_b64 s[22:23], vcc
	s_xor_b64 s[22:23], exec, s[22:23]
; %bb.1444:                             ;   in Loop: Header=BB2_124 Depth=2
	v_add_u32_e32 v22, 7, v51
	v_cmp_lt_u64_e32 vcc, s[48:49], v[2:3]
	v_cndmask_b32_e32 v26, v50, v22, vcc
	v_cndmask_b32_e64 v22, 0, 1, vcc
	v_lshrrev_b64 v[2:3], v22, v[2:3]
; %bb.1445:                             ;   in Loop: Header=BB2_124 Depth=2
	s_andn2_saveexec_b64 s[22:23], s[22:23]
; %bb.1446:                             ;   in Loop: Header=BB2_124 Depth=2
	v_bfe_u32 v26, v2, 23, 1
; %bb.1447:                             ;   in Loop: Header=BB2_124 Depth=2
	s_or_b64 exec, exec, s[22:23]
	v_lshrrev_b64 v[2:3], 20, v[2:3]
	v_cmp_gt_i32_e32 vcc, 16, v26
	v_cndmask_b32_e32 v3, 0, v3, vcc
	v_cndmask_b32_e32 v2, 7, v2, vcc
	v_cmp_eq_u64_e64 s[22:23], 0, v[2:3]
	v_min_i32_e32 v3, 15, v26
	v_lshlrev_b32_e32 v3, 3, v3
	v_cmp_eq_u32_e32 vcc, 0, v26
	v_and_b32_e32 v3, 0xf8, v3
	v_and_or_b32 v2, v2, 7, v3
	s_and_b64 s[22:23], vcc, s[22:23]
	v_cndmask_b32_e64 v2, v2, 0, s[22:23]
	v_or_b32_e32 v26, v2, v49
.LBB2_1448:                             ;   in Loop: Header=BB2_124 Depth=2
	s_or_b64 exec, exec, s[60:61]
.LBB2_1449:                             ;   in Loop: Header=BB2_124 Depth=2
	s_or_b64 exec, exec, s[58:59]
                                        ; implicit-def: $vgpr50
                                        ; implicit-def: $vgpr2_vgpr3
.LBB2_1450:                             ;   in Loop: Header=BB2_124 Depth=2
	s_andn2_saveexec_b64 s[22:23], s[56:57]
; %bb.1451:                             ;   in Loop: Header=BB2_124 Depth=2
	v_or_b32_sdwa v22, v50, s74 dst_sel:DWORD dst_unused:UNUSED_PAD src0_sel:BYTE_3 src1_sel:DWORD
	v_cmp_eq_u64_e32 vcc, 0, v[2:3]
	v_cndmask_b32_e32 v26, v22, v26, vcc
; %bb.1452:                             ;   in Loop: Header=BB2_124 Depth=2
	s_or_b64 exec, exec, s[22:23]
	v_cmp_lt_u32_e32 vcc, s47, v38
	v_mov_b32_e32 v3, 0
	v_mov_b32_e32 v49, 0
	s_and_saveexec_b64 s[22:23], vcc
	s_cbranch_execz .LBB2_1458
; %bb.1453:                             ;   in Loop: Header=BB2_124 Depth=2
	v_lshrrev_b32_e32 v2, 24, v38
	v_cmp_ne_u32_sdwa vcc, v38, s75 src0_sel:BYTE_3 src1_sel:DWORD
	v_bfrev_b32_e32 v49, 1
	s_and_saveexec_b64 s[56:57], vcc
	s_cbranch_execz .LBB2_1457
; %bb.1454:                             ;   in Loop: Header=BB2_124 Depth=2
	v_bfe_u32 v50, v38, 24, 7
	v_cmp_ne_u32_e32 vcc, s74, v50
	v_mov_b32_e32 v49, 0x7f800001
	s_and_saveexec_b64 s[58:59], vcc
	s_cbranch_execz .LBB2_1456
; %bb.1455:                             ;   in Loop: Header=BB2_124 Depth=2
	v_and_b32_e32 v49, 7, v2
	v_ffbh_u32_e32 v22, v49
	v_min_u32_e32 v52, 32, v22
	v_subrev_u32_e32 v22, 28, v52
	v_lshlrev_b64 v[22:23], v22, v[2:3]
	v_lshrrev_b32_e32 v51, 3, v50
	v_sub_u32_e32 v2, 29, v52
	v_and_b32_e32 v22, 7, v22
	v_cmp_gt_u32_e32 vcc, 8, v50
	v_mov_b32_e32 v23, 24
	v_cndmask_b32_e32 v2, v51, v2, vcc
	v_cndmask_b32_e32 v22, v49, v22, vcc
	v_lshlrev_b32_sdwa v23, v23, v38 dst_sel:DWORD dst_unused:UNUSED_PAD src0_sel:DWORD src1_sel:BYTE_3
	v_lshlrev_b32_e32 v22, 20, v22
	v_and_b32_e32 v23, 0x80000000, v23
	v_lshl_add_u32 v2, v2, 23, v20
	v_or3_b32 v49, v23, v2, v22
.LBB2_1456:                             ;   in Loop: Header=BB2_124 Depth=2
	s_or_b64 exec, exec, s[58:59]
.LBB2_1457:                             ;   in Loop: Header=BB2_124 Depth=2
	s_or_b64 exec, exec, s[56:57]
.LBB2_1458:                             ;   in Loop: Header=BB2_124 Depth=2
	s_or_b64 exec, exec, s[22:23]
	v_cmp_lt_u64_e32 vcc, s[46:47], v[12:13]
	s_and_saveexec_b64 s[22:23], vcc
	s_cbranch_execz .LBB2_1464
; %bb.1459:                             ;   in Loop: Header=BB2_124 Depth=2
	v_lshrrev_b32_e32 v2, 24, v13
	v_cmp_ne_u32_e32 vcc, s75, v2
	v_bfrev_b32_e32 v3, 1
	s_and_saveexec_b64 s[56:57], vcc
	s_cbranch_execz .LBB2_1463
; %bb.1460:                             ;   in Loop: Header=BB2_124 Depth=2
	v_bfe_u32 v12, v13, 24, 7
	v_cmp_ne_u32_e32 vcc, s74, v12
	v_mov_b32_e32 v3, 0x7f800001
	s_and_saveexec_b64 s[58:59], vcc
	s_cbranch_execz .LBB2_1462
; %bb.1461:                             ;   in Loop: Header=BB2_124 Depth=2
	v_and_b32_e32 v3, 7, v2
	v_ffbh_u32_e32 v22, v3
	v_min_u32_e32 v38, 32, v22
	v_subrev_u32_e32 v22, 28, v38
	v_lshlrev_b64 v[22:23], v22, v[2:3]
	v_lshrrev_b32_e32 v13, 3, v12
	v_sub_u32_e32 v23, 29, v38
	v_and_b32_e32 v22, 7, v22
	v_cmp_gt_u32_e32 vcc, 8, v12
	v_cndmask_b32_e32 v12, v13, v23, vcc
	v_cndmask_b32_e32 v3, v3, v22, vcc
	v_lshlrev_b32_e32 v2, 24, v2
	v_lshlrev_b32_e32 v3, 20, v3
	v_and_b32_e32 v2, 0x80000000, v2
	v_lshl_add_u32 v12, v12, 23, v20
	v_or3_b32 v3, v2, v12, v3
.LBB2_1462:                             ;   in Loop: Header=BB2_124 Depth=2
	s_or_b64 exec, exec, s[58:59]
.LBB2_1463:                             ;   in Loop: Header=BB2_124 Depth=2
	s_or_b64 exec, exec, s[56:57]
.LBB2_1464:                             ;   in Loop: Header=BB2_124 Depth=2
	s_or_b64 exec, exec, s[22:23]
	v_add_f32_e32 v3, v49, v3
	v_and_b32_sdwa v12, v3, s75 dst_sel:DWORD dst_unused:UNUSED_PAD src0_sel:BYTE_3 src1_sel:DWORD
	v_and_b32_e32 v22, 0x7f800000, v3
	v_mov_b32_e32 v23, v39
	v_and_b32_e32 v38, 0x7fffff, v3
	v_or_b32_e32 v2, 0x7e, v12
	v_cmp_ne_u64_e32 vcc, s[42:43], v[22:23]
	s_and_saveexec_b64 s[22:23], vcc
	s_xor_b64 s[56:57], exec, s[22:23]
	s_cbranch_execz .LBB2_1474
; %bb.1465:                             ;   in Loop: Header=BB2_124 Depth=2
	v_and_b32_e32 v22, 0x7fffffff, v3
	v_mov_b32_e32 v23, v39
	v_cmp_gt_u64_e32 vcc, s[44:45], v[22:23]
	s_and_saveexec_b64 s[58:59], vcc
	s_cbranch_execz .LBB2_1473
; %bb.1466:                             ;   in Loop: Header=BB2_124 Depth=2
	v_cmp_ne_u32_e32 vcc, 0, v3
	v_mov_b32_e32 v2, 0
	s_and_saveexec_b64 s[60:61], vcc
	s_cbranch_execz .LBB2_1472
; %bb.1467:                             ;   in Loop: Header=BB2_124 Depth=2
	v_bfe_u32 v2, v3, 23, 8
	v_sub_u32_e32 v13, 0x79, v2
	v_cmp_gt_u32_e32 vcc, s76, v2
	v_cndmask_b32_e32 v13, 0, v13, vcc
	v_cmp_eq_u32_e32 vcc, 0, v2
	v_add_u32_e32 v3, 0xffffff81, v2
	v_mov_b32_e32 v2, 0xffffff82
	v_cndmask_b32_e32 v13, v13, v18, vcc
	v_or_b32_e32 v22, 0x800000, v38
	v_cndmask_b32_e32 v49, v3, v2, vcc
	v_add_u32_e32 v2, 20, v13
	v_cndmask_b32_e32 v38, v22, v38, vcc
	v_lshlrev_b64 v[2:3], v2, -1
	v_not_b32_e32 v2, v2
	v_lshrrev_b64 v[50:51], v13, v[38:39]
	v_not_b32_e32 v3, v3
	v_and_b32_e32 v2, v38, v2
	v_add_u32_e32 v22, 19, v13
	v_lshrrev_b32_e32 v38, 23, v50
	v_and_b32_e32 v3, 0, v3
	v_lshlrev_b64 v[22:23], v22, 1
	v_add3_u32 v49, v13, v49, v38
	v_bfe_u32 v13, v50, 20, 1
	v_add_u32_e32 v13, -1, v13
	v_cmp_eq_u64_e32 vcc, v[2:3], v[22:23]
	v_cndmask_b32_e32 v2, 0, v13, vcc
	v_add_u32_e32 v2, v2, v50
	v_and_b32_e32 v2, 0xfffff, v2
	v_add_co_u32_e32 v2, vcc, v2, v50
	v_add_u32_e32 v38, 6, v49
	v_addc_co_u32_e32 v3, vcc, 0, v51, vcc
	v_cmp_ne_u32_e32 vcc, 0, v38
                                        ; implicit-def: $vgpr13
	s_and_saveexec_b64 s[22:23], vcc
	s_xor_b64 s[22:23], exec, s[22:23]
; %bb.1468:                             ;   in Loop: Header=BB2_124 Depth=2
	v_cmp_lt_u64_e32 vcc, s[48:49], v[2:3]
	v_add_u32_e32 v13, 7, v49
	v_cndmask_b32_e64 v22, 0, 1, vcc
	v_cndmask_b32_e32 v13, v38, v13, vcc
	v_lshrrev_b64 v[2:3], v22, v[2:3]
; %bb.1469:                             ;   in Loop: Header=BB2_124 Depth=2
	s_andn2_saveexec_b64 s[22:23], s[22:23]
; %bb.1470:                             ;   in Loop: Header=BB2_124 Depth=2
	v_bfe_u32 v13, v2, 23, 1
; %bb.1471:                             ;   in Loop: Header=BB2_124 Depth=2
	s_or_b64 exec, exec, s[22:23]
	v_lshrrev_b64 v[2:3], 20, v[2:3]
	v_cmp_gt_i32_e32 vcc, 16, v13
	v_cndmask_b32_e32 v3, 0, v3, vcc
	v_cndmask_b32_e32 v2, 7, v2, vcc
	v_cmp_eq_u64_e64 s[22:23], 0, v[2:3]
	v_min_i32_e32 v3, 15, v13
	v_lshlrev_b32_e32 v3, 3, v3
	v_cmp_eq_u32_e32 vcc, 0, v13
	v_and_b32_e32 v3, 0xf8, v3
	v_and_or_b32 v2, v2, 7, v3
	s_and_b64 s[22:23], vcc, s[22:23]
	v_cndmask_b32_e64 v2, v2, 0, s[22:23]
	v_or_b32_e32 v2, v2, v12
.LBB2_1472:                             ;   in Loop: Header=BB2_124 Depth=2
	s_or_b64 exec, exec, s[60:61]
.LBB2_1473:                             ;   in Loop: Header=BB2_124 Depth=2
	s_or_b64 exec, exec, s[58:59]
                                        ; implicit-def: $vgpr3
.LBB2_1474:                             ;   in Loop: Header=BB2_124 Depth=2
	s_andn2_saveexec_b64 s[22:23], s[56:57]
	s_cbranch_execz .LBB2_123
; %bb.1475:                             ;   in Loop: Header=BB2_124 Depth=2
	v_or_b32_sdwa v3, v3, s74 dst_sel:DWORD dst_unused:UNUSED_PAD src0_sel:BYTE_3 src1_sel:DWORD
	v_cmp_eq_u64_e32 vcc, 0, v[38:39]
	v_cndmask_b32_e32 v2, v3, v2, vcc
	s_branch .LBB2_123
.LBB2_1476:                             ;   in Loop: Header=BB2_49 Depth=1
	s_or_b64 exec, exec, s[54:55]
	v_accvgpr_read_b32 v61, a43
	v_accvgpr_read_b32 v53, a19
	;; [unrolled: 1-line block ×12, first 2 shown]
	v_mov_b32_e32 v35, 1
	v_accvgpr_read_b32 v36, a44
	v_accvgpr_read_b32 v48, a46
	;; [unrolled: 1-line block ×3, first 2 shown]
.LBB2_1477:                             ;   in Loop: Header=BB2_49 Depth=1
	s_or_b64 exec, exec, s[24:25]
	v_and_b32_e32 v3, 0x3ffff800, v37
	v_cmp_ne_u32_e32 vcc, v3, v37
	s_mov_b64 s[22:23], 0
	v_mov_b32_e32 v4, 0
                                        ; implicit-def: $vgpr5
                                        ; implicit-def: $vgpr6
                                        ; implicit-def: $vgpr2
	s_and_saveexec_b64 s[54:55], vcc
	s_cbranch_execz .LBB2_2165
; %bb.1478:                             ;   in Loop: Header=BB2_49 Depth=1
	v_lshlrev_b32_e32 v0, 6, v41
	v_accvgpr_read_b32 v2, a29
	v_sub_u32_e32 v0, v2, v0
	v_ashrrev_i32_e32 v2, 31, v0
	v_lshrrev_b32_e32 v2, 26, v2
	v_add_u32_e32 v2, v0, v2
	v_ashrrev_i32_e32 v4, 6, v2
	v_and_b32_e32 v2, 0xffffffc0, v2
	v_and_b32_e32 v1, 0x7ff, v37
	v_sub_u32_e32 v0, v0, v2
	v_and_b32_e32 v6, 0x400, v37
	v_lshlrev_b32_e32 v2, 4, v0
	v_sub_u32_e32 v19, v1, v6
	v_lshl_add_u32 v2, v4, 10, v2
	v_bfe_u32 v5, v37, 10, 1
	v_cmp_lt_i32_e64 s[22:23], 15, v19
	v_sub_u32_e32 v26, v1, v2
	v_addc_co_u32_e64 v1, vcc, 0, v5, s[22:23]
	v_sub_u32_e32 v1, v1, v4
	v_cmp_lt_i32_e32 vcc, 15, v26
	s_and_saveexec_b64 s[56:57], vcc
	s_cbranch_execz .LBB2_2162
; %bb.1479:                             ;   in Loop: Header=BB2_49 Depth=1
	s_trap 2
	ds_read_b128 v[4:7], v0
	ds_read_b64 v[14:15], v0
	v_add_u32_e32 v2, v2, v3
	v_ashrrev_i32_e32 v3, 31, v2
	v_mov_b32_e32 v62, v37
	s_waitcnt lgkmcnt(0)
	v_add_co_u32_e32 v16, vcc, v4, v2
	v_addc_co_u32_e32 v17, vcc, v5, v3, vcc
	v_add_co_u32_e32 v42, vcc, v6, v2
	v_readfirstlane_b32 s24, v14
	v_addc_co_u32_e32 v43, vcc, v7, v3, vcc
	s_and_b32 s25, s24, 7
	v_add_co_u32_e32 v44, vcc, v14, v2
	s_flbit_i32_b32 s25, s25
	v_addc_co_u32_e32 v45, vcc, v15, v3, vcc
	s_min_u32 s25, s25, 32
	s_and_b32 vcc_lo, s24, 0x7f
	s_bfe_u32 vcc_hi, s24, 0x40003
	s_sub_i32 s58, s25, 28
	s_sub_i32 s25, 29, s25
	s_cmp_lt_u32 vcc_lo, 8
	s_cselect_b32 s25, s25, vcc_hi
	s_cselect_b32 vcc_hi, s58, 0
	s_lshl_b32 s24, s24, 24
	s_lshl_b32 s25, s25, 23
	v_lshlrev_b64 v[2:3], vcc_hi, v[14:15]
	s_and_b32 s24, s24, 0x80000000
	s_add_i32 s25, s25, 0x3c000000
	v_lshlrev_b32_e32 v2, 20, v2
	s_or_b32 s24, s24, s25
	v_and_b32_e32 v2, 0x700000, v2
	s_cmpk_lg_i32 vcc_lo, 0x7f
	v_or_b32_e32 v2, s24, v2
	s_cselect_b64 vcc, -1, 0
	v_mov_b32_e32 v3, 0x7f800001
	v_mov_b32_e32 v58, v48
	v_accvgpr_write_b32 a30, v36
	v_mov_b32_e32 v41, v33
	v_accvgpr_write_b32 a28, v34
	v_accvgpr_write_b32 a19, v32
	v_cndmask_b32_e32 v15, v3, v2, vcc
	s_mov_b64 s[58:59], 0
	s_branch .LBB2_1481
.LBB2_1480:                             ;   in Loop: Header=BB2_1481 Depth=2
	s_or_b64 exec, exec, s[24:25]
	v_lshlrev_b32_e32 v3, 8, v34
	v_perm_b32 v3, v3, v27, s77
	v_lshl_or_b32 v3, v25, 16, v3
	v_lshl_or_b32 v33, v24, 24, v3
	v_and_b32_e32 v3, 0xff, v21
	v_lshlrev_b32_e32 v7, 8, v7
	v_lshlrev_b32_e32 v12, 24, v32
	;; [unrolled: 1-line block ×3, first 2 shown]
	v_perm_b32 v4, v7, v4, s77
	v_or3_b32 v32, v12, v3, v4
	v_and_b32_e32 v3, 0xff, v31
	v_lshlrev_b32_e32 v4, 24, v6
	v_lshlrev_b32_e32 v6, 8, v11
	;; [unrolled: 1-line block ×3, first 2 shown]
	v_perm_b32 v6, v6, v8, s77
	v_or3_b32 v34, v4, v3, v6
	v_lshlrev_b32_e32 v3, 8, v9
	v_add_co_u32_e32 v16, vcc, v16, v40
	v_perm_b32 v3, v3, v5, s77
	v_addc_co_u32_e32 v17, vcc, v17, v56, vcc
	v_lshl_or_b32 v3, v10, 16, v3
	v_add_co_u32_e32 v42, vcc, v42, v40
	v_lshl_or_b32 v35, v2, 24, v3
	v_addc_co_u32_e32 v43, vcc, v43, v56, vcc
	global_store_dwordx4 v[44:45], v[32:35], off glc slc
	v_add_co_u32_e32 v44, vcc, v44, v40
	v_addc_co_u32_e32 v45, vcc, v45, v56, vcc
	v_sub_u32_e32 v26, v26, v55
	v_cmp_gt_i32_e32 vcc, 16, v26
	s_or_b64 s[58:59], vcc, s[58:59]
	v_sub_u32_e32 v1, v1, v52
	s_andn2_b64 exec, exec, s[58:59]
	s_cbranch_execz .LBB2_2161
.LBB2_1481:                             ;   Parent Loop BB2_49 Depth=1
                                        ; =>  This Inner Loop Header: Depth=2
	v_cmp_lt_i16_sdwa s[24:25], v14, s75 src0_sel:BYTE_0 src1_sel:DWORD
	s_and_b64 vcc, exec, s[24:25]
	s_cbranch_vccnz .LBB2_1485
; %bb.1482:                             ;   in Loop: Header=BB2_1481 Depth=2
	v_cmp_eq_u16_sdwa vcc, v14, s75 src0_sel:BYTE_0 src1_sel:DWORD
	s_mov_b64 s[24:25], -1
	s_and_b64 vcc, exec, vcc
                                        ; implicit-def: $sgpr60
	s_cbranch_vccz .LBB2_1484
; %bb.1483:                             ;   in Loop: Header=BB2_1481 Depth=2
	s_mov_b64 s[24:25], 0
	s_brev_b32 s60, 1
.LBB2_1484:                             ;   in Loop: Header=BB2_1481 Depth=2
	s_branch .LBB2_1487
.LBB2_1485:                             ;   in Loop: Header=BB2_1481 Depth=2
	s_mov_b64 s[24:25], 0
                                        ; implicit-def: $sgpr60
	s_cbranch_execz .LBB2_1487
; %bb.1486:                             ;   in Loop: Header=BB2_1481 Depth=2
	v_cmp_ne_u16_sdwa s[24:25], v14, v39 src0_sel:BYTE_0 src1_sel:DWORD
	s_mov_b32 s60, 0
.LBB2_1487:                             ;   in Loop: Header=BB2_1481 Depth=2
	s_andn2_b64 vcc, exec, s[24:25]
	v_mov_b32_e32 v7, s60
	s_cbranch_vccnz .LBB2_1489
; %bb.1488:                             ;   in Loop: Header=BB2_1481 Depth=2
	v_mov_b32_e32 v7, v15
.LBB2_1489:                             ;   in Loop: Header=BB2_1481 Depth=2
	global_load_dwordx4 v[10:13], v[16:17], off glc slc
	v_mov_b32_e32 v2, 0
	s_waitcnt vmcnt(0)
	v_cmp_ne_u16_sdwa vcc, v10, v39 src0_sel:BYTE_0 src1_sel:DWORD
	s_and_saveexec_b64 s[24:25], vcc
	s_cbranch_execz .LBB2_1495
; %bb.1490:                             ;   in Loop: Header=BB2_1481 Depth=2
	v_cmp_ne_u16_sdwa vcc, v10, s75 src0_sel:BYTE_0 src1_sel:DWORD
	v_bfrev_b32_e32 v2, 1
	s_and_saveexec_b64 s[60:61], vcc
	s_cbranch_execz .LBB2_1494
; %bb.1491:                             ;   in Loop: Header=BB2_1481 Depth=2
	v_and_b32_e32 v3, 0x7f, v10
	v_cmp_ne_u32_e32 vcc, s74, v3
	v_mov_b32_e32 v2, 0x7f800001
	s_and_saveexec_b64 s[62:63], vcc
	s_cbranch_execz .LBB2_1493
; %bb.1492:                             ;   in Loop: Header=BB2_1481 Depth=2
	v_and_b32_e32 v2, 7, v10
	v_ffbh_u32_e32 v2, v2
	v_min_u32_e32 v2, 32, v2
	v_lshrrev_b32_e32 v4, 3, v3
	v_subrev_u32_e32 v5, 28, v2
	v_sub_u32_e32 v2, 29, v2
	v_cmp_gt_u32_e32 vcc, 8, v3
	v_cndmask_b32_e32 v4, v4, v2, vcc
	v_cndmask_b32_e32 v2, 0, v5, vcc
	v_lshlrev_b64 v[2:3], v2, v[10:11]
	v_lshlrev_b32_e32 v2, 20, v2
	v_lshlrev_b32_e32 v3, 24, v10
	v_and_b32_e32 v2, 0x700000, v2
	v_and_b32_e32 v3, 0x80000000, v3
	v_lshl_add_u32 v4, v4, 23, v20
	v_or3_b32 v2, v3, v4, v2
.LBB2_1493:                             ;   in Loop: Header=BB2_1481 Depth=2
	s_or_b64 exec, exec, s[62:63]
.LBB2_1494:                             ;   in Loop: Header=BB2_1481 Depth=2
	s_or_b64 exec, exec, s[60:61]
.LBB2_1495:                             ;   in Loop: Header=BB2_1481 Depth=2
	s_or_b64 exec, exec, s[24:25]
	v_mul_f32_e32 v2, v7, v2
	v_and_b32_sdwa v5, v2, s75 dst_sel:DWORD dst_unused:UNUSED_PAD src0_sel:BYTE_3 src1_sel:DWORD
	v_and_b32_e32 v8, 0x7f800000, v2
	v_mov_b32_e32 v9, v39
	v_and_b32_e32 v38, 0x7fffff, v2
	v_or_b32_e32 v4, 0x7e, v5
	v_cmp_ne_u64_e32 vcc, s[42:43], v[8:9]
	s_and_saveexec_b64 s[24:25], vcc
	s_xor_b64 s[60:61], exec, s[24:25]
	s_cbranch_execz .LBB2_1505
; %bb.1496:                             ;   in Loop: Header=BB2_1481 Depth=2
	v_and_b32_e32 v8, 0x7fffffff, v2
	v_mov_b32_e32 v9, v39
	v_cmp_gt_u64_e32 vcc, s[44:45], v[8:9]
	s_and_saveexec_b64 s[62:63], vcc
	s_cbranch_execz .LBB2_1504
; %bb.1497:                             ;   in Loop: Header=BB2_1481 Depth=2
	v_cmp_ne_u32_e32 vcc, 0, v2
	v_mov_b32_e32 v4, 0
	s_and_saveexec_b64 s[64:65], vcc
	s_cbranch_execz .LBB2_1503
; %bb.1498:                             ;   in Loop: Header=BB2_1481 Depth=2
	v_bfe_u32 v2, v2, 23, 8
	v_sub_u32_e32 v4, 0x79, v2
	v_cmp_gt_u32_e32 vcc, s76, v2
	v_cndmask_b32_e32 v4, 0, v4, vcc
	v_cmp_eq_u32_e32 vcc, 0, v2
	v_add_u32_e32 v3, 0xffffff81, v2
	v_or_b32_e32 v6, 0x800000, v38
	v_mov_b32_e32 v2, 0xffffff82
	v_cndmask_b32_e32 v4, v4, v18, vcc
	v_cndmask_b32_e32 v8, v3, v2, vcc
	;; [unrolled: 1-line block ×3, first 2 shown]
	v_add_u32_e32 v2, 20, v4
	v_lshlrev_b64 v[2:3], v2, -1
	v_add_u32_e32 v6, 19, v4
	v_lshrrev_b64 v[24:25], v4, v[38:39]
	v_not_b32_e32 v3, v3
	v_not_b32_e32 v2, v2
	v_lshlrev_b64 v[22:23], v6, 1
	v_lshrrev_b32_e32 v6, 23, v24
	v_and_b32_e32 v3, 0, v3
	v_and_b32_e32 v2, v38, v2
	v_add3_u32 v8, v4, v8, v6
	v_bfe_u32 v4, v24, 20, 1
	v_add_u32_e32 v4, -1, v4
	v_cmp_eq_u64_e32 vcc, v[2:3], v[22:23]
	v_cndmask_b32_e32 v2, 0, v4, vcc
	v_add_u32_e32 v2, v2, v24
	v_and_b32_e32 v2, 0xfffff, v2
	v_add_co_u32_e32 v2, vcc, v2, v24
	v_add_u32_e32 v6, 6, v8
	v_addc_co_u32_e32 v3, vcc, 0, v25, vcc
	v_cmp_ne_u32_e32 vcc, 0, v6
                                        ; implicit-def: $vgpr4
	s_and_saveexec_b64 s[24:25], vcc
	s_xor_b64 s[24:25], exec, s[24:25]
; %bb.1499:                             ;   in Loop: Header=BB2_1481 Depth=2
	v_add_u32_e32 v4, 7, v8
	v_cmp_lt_u64_e32 vcc, s[48:49], v[2:3]
	v_cndmask_b32_e32 v4, v6, v4, vcc
	v_cndmask_b32_e64 v6, 0, 1, vcc
	v_lshrrev_b64 v[2:3], v6, v[2:3]
; %bb.1500:                             ;   in Loop: Header=BB2_1481 Depth=2
	s_andn2_saveexec_b64 s[24:25], s[24:25]
; %bb.1501:                             ;   in Loop: Header=BB2_1481 Depth=2
	v_bfe_u32 v4, v2, 23, 1
; %bb.1502:                             ;   in Loop: Header=BB2_1481 Depth=2
	s_or_b64 exec, exec, s[24:25]
	v_lshrrev_b64 v[2:3], 20, v[2:3]
	v_cmp_gt_i32_e32 vcc, 16, v4
	v_cndmask_b32_e32 v3, 0, v3, vcc
	v_cndmask_b32_e32 v2, 7, v2, vcc
	v_cmp_eq_u64_e64 s[24:25], 0, v[2:3]
	v_min_i32_e32 v3, 15, v4
	v_cmp_eq_u32_e32 vcc, 0, v4
	v_lshlrev_b32_e32 v3, 3, v3
	v_and_or_b32 v2, v2, 7, v3
	s_and_b64 s[24:25], vcc, s[24:25]
	v_cndmask_b32_e64 v2, v2, 0, s[24:25]
	v_or_b32_e32 v4, v2, v5
.LBB2_1503:                             ;   in Loop: Header=BB2_1481 Depth=2
	s_or_b64 exec, exec, s[64:65]
.LBB2_1504:                             ;   in Loop: Header=BB2_1481 Depth=2
	s_or_b64 exec, exec, s[62:63]
                                        ; implicit-def: $vgpr2
.LBB2_1505:                             ;   in Loop: Header=BB2_1481 Depth=2
	s_andn2_saveexec_b64 s[24:25], s[60:61]
; %bb.1506:                             ;   in Loop: Header=BB2_1481 Depth=2
	v_or_b32_sdwa v2, v2, s74 dst_sel:DWORD dst_unused:UNUSED_PAD src0_sel:BYTE_3 src1_sel:DWORD
	v_cmp_eq_u64_e32 vcc, 0, v[38:39]
	v_cndmask_b32_e32 v4, v2, v4, vcc
; %bb.1507:                             ;   in Loop: Header=BB2_1481 Depth=2
	s_or_b64 exec, exec, s[24:25]
	v_lshrrev_b16_e32 v2, 8, v10
	v_cmp_ne_u16_e32 vcc, 0, v2
	v_mov_b32_e32 v3, 0
	s_and_saveexec_b64 s[24:25], vcc
	s_cbranch_execz .LBB2_1513
; %bb.1508:                             ;   in Loop: Header=BB2_1481 Depth=2
	v_cmp_ne_u16_e32 vcc, s75, v2
	v_bfrev_b32_e32 v3, 1
	s_and_saveexec_b64 s[60:61], vcc
	s_cbranch_execz .LBB2_1512
; %bb.1509:                             ;   in Loop: Header=BB2_1481 Depth=2
	v_and_b32_e32 v5, 0x7f, v2
	v_cmp_ne_u32_e32 vcc, s74, v5
	v_mov_b32_e32 v3, 0x7f800001
	s_and_saveexec_b64 s[62:63], vcc
	s_cbranch_execz .LBB2_1511
; %bb.1510:                             ;   in Loop: Header=BB2_1481 Depth=2
	v_and_b32_e32 v6, 7, v2
	v_ffbh_u32_e32 v3, v6
	v_min_u32_e32 v9, 32, v3
	v_subrev_u32_e32 v3, 28, v9
	v_lshlrev_b64 v[2:3], v3, v[2:3]
	v_lshrrev_b32_e32 v8, 3, v5
	v_sub_u32_e32 v3, 29, v9
	v_and_b32_e32 v2, 7, v2
	v_cmp_gt_u32_e32 vcc, 8, v5
	v_cndmask_b32_e32 v3, v8, v3, vcc
	v_cndmask_b32_e32 v2, v6, v2, vcc
	v_lshlrev_b32_e32 v5, 16, v10
	v_lshlrev_b32_e32 v2, 20, v2
	v_and_b32_e32 v5, 0x80000000, v5
	v_lshl_add_u32 v3, v3, 23, v20
	v_or3_b32 v3, v5, v3, v2
.LBB2_1511:                             ;   in Loop: Header=BB2_1481 Depth=2
	s_or_b64 exec, exec, s[62:63]
.LBB2_1512:                             ;   in Loop: Header=BB2_1481 Depth=2
	s_or_b64 exec, exec, s[60:61]
.LBB2_1513:                             ;   in Loop: Header=BB2_1481 Depth=2
	s_or_b64 exec, exec, s[24:25]
	v_mul_f32_e32 v2, v7, v3
	v_and_b32_sdwa v5, v2, s75 dst_sel:DWORD dst_unused:UNUSED_PAD src0_sel:BYTE_3 src1_sel:DWORD
	v_and_b32_e32 v8, 0x7f800000, v2
	v_mov_b32_e32 v9, v39
	v_and_b32_e32 v38, 0x7fffff, v2
	v_or_b32_e32 v21, 0x7e, v5
	v_cmp_ne_u64_e32 vcc, s[42:43], v[8:9]
	s_and_saveexec_b64 s[24:25], vcc
	s_xor_b64 s[60:61], exec, s[24:25]
	s_cbranch_execz .LBB2_1523
; %bb.1514:                             ;   in Loop: Header=BB2_1481 Depth=2
	v_and_b32_e32 v8, 0x7fffffff, v2
	v_mov_b32_e32 v9, v39
	v_cmp_gt_u64_e32 vcc, s[44:45], v[8:9]
	s_and_saveexec_b64 s[62:63], vcc
	s_cbranch_execz .LBB2_1522
; %bb.1515:                             ;   in Loop: Header=BB2_1481 Depth=2
	v_cmp_ne_u32_e32 vcc, 0, v2
	v_mov_b32_e32 v21, 0
	s_and_saveexec_b64 s[64:65], vcc
	s_cbranch_execz .LBB2_1521
; %bb.1516:                             ;   in Loop: Header=BB2_1481 Depth=2
	v_bfe_u32 v2, v2, 23, 8
	v_sub_u32_e32 v6, 0x79, v2
	v_cmp_gt_u32_e32 vcc, s76, v2
	v_cndmask_b32_e32 v6, 0, v6, vcc
	v_cmp_eq_u32_e32 vcc, 0, v2
	v_add_u32_e32 v3, 0xffffff81, v2
	v_or_b32_e32 v8, 0x800000, v38
	v_mov_b32_e32 v2, 0xffffff82
	v_cndmask_b32_e32 v6, v6, v18, vcc
	v_cndmask_b32_e32 v9, v3, v2, vcc
	;; [unrolled: 1-line block ×3, first 2 shown]
	v_add_u32_e32 v2, 20, v6
	v_lshlrev_b64 v[2:3], v2, -1
	v_add_u32_e32 v8, 19, v6
	v_lshrrev_b64 v[24:25], v6, v[38:39]
	v_not_b32_e32 v3, v3
	v_not_b32_e32 v2, v2
	v_lshlrev_b64 v[22:23], v8, 1
	v_lshrrev_b32_e32 v8, 23, v24
	v_and_b32_e32 v3, 0, v3
	v_and_b32_e32 v2, v38, v2
	v_add3_u32 v9, v6, v9, v8
	v_bfe_u32 v6, v24, 20, 1
	v_add_u32_e32 v6, -1, v6
	v_cmp_eq_u64_e32 vcc, v[2:3], v[22:23]
	v_cndmask_b32_e32 v2, 0, v6, vcc
	v_add_u32_e32 v2, v2, v24
	v_and_b32_e32 v2, 0xfffff, v2
	v_add_co_u32_e32 v2, vcc, v2, v24
	v_add_u32_e32 v8, 6, v9
	v_addc_co_u32_e32 v3, vcc, 0, v25, vcc
	v_cmp_ne_u32_e32 vcc, 0, v8
                                        ; implicit-def: $vgpr6
	s_and_saveexec_b64 s[24:25], vcc
	s_xor_b64 s[24:25], exec, s[24:25]
; %bb.1517:                             ;   in Loop: Header=BB2_1481 Depth=2
	v_add_u32_e32 v6, 7, v9
	v_cmp_lt_u64_e32 vcc, s[48:49], v[2:3]
	v_cndmask_b32_e32 v6, v8, v6, vcc
	v_cndmask_b32_e64 v8, 0, 1, vcc
	v_lshrrev_b64 v[2:3], v8, v[2:3]
; %bb.1518:                             ;   in Loop: Header=BB2_1481 Depth=2
	s_andn2_saveexec_b64 s[24:25], s[24:25]
; %bb.1519:                             ;   in Loop: Header=BB2_1481 Depth=2
	v_bfe_u32 v6, v2, 23, 1
; %bb.1520:                             ;   in Loop: Header=BB2_1481 Depth=2
	s_or_b64 exec, exec, s[24:25]
	v_lshrrev_b64 v[2:3], 20, v[2:3]
	v_cmp_gt_i32_e32 vcc, 16, v6
	v_cndmask_b32_e32 v3, 0, v3, vcc
	v_cndmask_b32_e32 v2, 7, v2, vcc
	v_cmp_eq_u64_e64 s[24:25], 0, v[2:3]
	v_min_i32_e32 v3, 15, v6
	v_cmp_eq_u32_e32 vcc, 0, v6
	v_lshlrev_b32_e32 v3, 3, v3
	v_and_or_b32 v2, v2, 7, v3
	s_and_b64 s[24:25], vcc, s[24:25]
	v_cndmask_b32_e64 v2, v2, 0, s[24:25]
	v_or_b32_e32 v21, v2, v5
.LBB2_1521:                             ;   in Loop: Header=BB2_1481 Depth=2
	s_or_b64 exec, exec, s[64:65]
.LBB2_1522:                             ;   in Loop: Header=BB2_1481 Depth=2
	s_or_b64 exec, exec, s[62:63]
                                        ; implicit-def: $vgpr2
.LBB2_1523:                             ;   in Loop: Header=BB2_1481 Depth=2
	s_andn2_saveexec_b64 s[24:25], s[60:61]
; %bb.1524:                             ;   in Loop: Header=BB2_1481 Depth=2
	v_or_b32_sdwa v2, v2, s74 dst_sel:DWORD dst_unused:UNUSED_PAD src0_sel:BYTE_3 src1_sel:DWORD
	v_cmp_eq_u64_e32 vcc, 0, v[38:39]
	v_cndmask_b32_e32 v21, v2, v21, vcc
; %bb.1525:                             ;   in Loop: Header=BB2_1481 Depth=2
	s_or_b64 exec, exec, s[24:25]
	v_lshrrev_b32_e32 v2, 16, v10
	v_cmp_ne_u16_sdwa vcc, v2, v39 src0_sel:BYTE_0 src1_sel:DWORD
	v_mov_b32_e32 v3, 0
	s_and_saveexec_b64 s[24:25], vcc
	s_cbranch_execz .LBB2_1531
; %bb.1526:                             ;   in Loop: Header=BB2_1481 Depth=2
	v_cmp_ne_u16_sdwa vcc, v2, s75 src0_sel:BYTE_0 src1_sel:DWORD
	v_bfrev_b32_e32 v3, 1
	s_and_saveexec_b64 s[60:61], vcc
	s_cbranch_execz .LBB2_1530
; %bb.1527:                             ;   in Loop: Header=BB2_1481 Depth=2
	v_bfe_u32 v5, v10, 16, 7
	v_cmp_ne_u32_e32 vcc, s74, v5
	v_mov_b32_e32 v3, 0x7f800001
	s_and_saveexec_b64 s[62:63], vcc
	s_cbranch_execz .LBB2_1529
; %bb.1528:                             ;   in Loop: Header=BB2_1481 Depth=2
	v_and_b32_e32 v3, 7, v2
	v_ffbh_u32_e32 v8, v3
	v_min_u32_e32 v22, 32, v8
	v_subrev_u32_e32 v8, 28, v22
	v_lshlrev_b64 v[8:9], v8, v[2:3]
	v_lshrrev_b32_e32 v6, 3, v5
	v_sub_u32_e32 v9, 29, v22
	v_and_b32_e32 v8, 7, v8
	v_cmp_gt_u32_e32 vcc, 8, v5
	v_cndmask_b32_e32 v5, v6, v9, vcc
	v_cndmask_b32_e32 v3, v3, v8, vcc
	v_lshlrev_b32_e32 v2, 24, v2
	v_lshlrev_b32_e32 v3, 20, v3
	v_and_b32_e32 v2, 0x80000000, v2
	v_lshl_add_u32 v5, v5, 23, v20
	v_or3_b32 v3, v2, v5, v3
.LBB2_1529:                             ;   in Loop: Header=BB2_1481 Depth=2
	s_or_b64 exec, exec, s[62:63]
.LBB2_1530:                             ;   in Loop: Header=BB2_1481 Depth=2
	s_or_b64 exec, exec, s[60:61]
.LBB2_1531:                             ;   in Loop: Header=BB2_1481 Depth=2
	s_or_b64 exec, exec, s[24:25]
	v_mul_f32_e32 v2, v7, v3
	v_and_b32_sdwa v5, v2, s75 dst_sel:DWORD dst_unused:UNUSED_PAD src0_sel:BYTE_3 src1_sel:DWORD
	v_and_b32_e32 v8, 0x7f800000, v2
	v_mov_b32_e32 v9, v39
	v_and_b32_e32 v38, 0x7fffff, v2
	v_or_b32_e32 v48, 0x7e, v5
	v_cmp_ne_u64_e32 vcc, s[42:43], v[8:9]
	s_and_saveexec_b64 s[24:25], vcc
	s_xor_b64 s[60:61], exec, s[24:25]
	s_cbranch_execz .LBB2_1541
; %bb.1532:                             ;   in Loop: Header=BB2_1481 Depth=2
	v_and_b32_e32 v8, 0x7fffffff, v2
	v_mov_b32_e32 v9, v39
	v_cmp_gt_u64_e32 vcc, s[44:45], v[8:9]
	s_and_saveexec_b64 s[62:63], vcc
	s_cbranch_execz .LBB2_1540
; %bb.1533:                             ;   in Loop: Header=BB2_1481 Depth=2
	v_cmp_ne_u32_e32 vcc, 0, v2
	v_mov_b32_e32 v48, 0
	s_and_saveexec_b64 s[64:65], vcc
	s_cbranch_execz .LBB2_1539
; %bb.1534:                             ;   in Loop: Header=BB2_1481 Depth=2
	v_bfe_u32 v2, v2, 23, 8
	v_sub_u32_e32 v6, 0x79, v2
	v_cmp_gt_u32_e32 vcc, s76, v2
	v_cndmask_b32_e32 v6, 0, v6, vcc
	v_cmp_eq_u32_e32 vcc, 0, v2
	v_add_u32_e32 v3, 0xffffff81, v2
	v_or_b32_e32 v8, 0x800000, v38
	v_mov_b32_e32 v2, 0xffffff82
	v_cndmask_b32_e32 v6, v6, v18, vcc
	v_cndmask_b32_e32 v9, v3, v2, vcc
	;; [unrolled: 1-line block ×3, first 2 shown]
	v_add_u32_e32 v2, 20, v6
	v_lshlrev_b64 v[2:3], v2, -1
	v_add_u32_e32 v8, 19, v6
	v_lshrrev_b64 v[24:25], v6, v[38:39]
	v_not_b32_e32 v3, v3
	v_not_b32_e32 v2, v2
	v_lshlrev_b64 v[22:23], v8, 1
	v_lshrrev_b32_e32 v8, 23, v24
	v_and_b32_e32 v3, 0, v3
	v_and_b32_e32 v2, v38, v2
	v_add3_u32 v9, v6, v9, v8
	v_bfe_u32 v6, v24, 20, 1
	v_add_u32_e32 v6, -1, v6
	v_cmp_eq_u64_e32 vcc, v[2:3], v[22:23]
	v_cndmask_b32_e32 v2, 0, v6, vcc
	v_add_u32_e32 v2, v2, v24
	v_and_b32_e32 v2, 0xfffff, v2
	v_add_co_u32_e32 v2, vcc, v2, v24
	v_add_u32_e32 v8, 6, v9
	v_addc_co_u32_e32 v3, vcc, 0, v25, vcc
	v_cmp_ne_u32_e32 vcc, 0, v8
                                        ; implicit-def: $vgpr6
	s_and_saveexec_b64 s[24:25], vcc
	s_xor_b64 s[24:25], exec, s[24:25]
; %bb.1535:                             ;   in Loop: Header=BB2_1481 Depth=2
	v_add_u32_e32 v6, 7, v9
	v_cmp_lt_u64_e32 vcc, s[48:49], v[2:3]
	v_cndmask_b32_e32 v6, v8, v6, vcc
	v_cndmask_b32_e64 v8, 0, 1, vcc
	v_lshrrev_b64 v[2:3], v8, v[2:3]
; %bb.1536:                             ;   in Loop: Header=BB2_1481 Depth=2
	s_andn2_saveexec_b64 s[24:25], s[24:25]
; %bb.1537:                             ;   in Loop: Header=BB2_1481 Depth=2
	v_bfe_u32 v6, v2, 23, 1
; %bb.1538:                             ;   in Loop: Header=BB2_1481 Depth=2
	s_or_b64 exec, exec, s[24:25]
	v_lshrrev_b64 v[2:3], 20, v[2:3]
	v_cmp_gt_i32_e32 vcc, 16, v6
	v_cndmask_b32_e32 v3, 0, v3, vcc
	v_cndmask_b32_e32 v2, 7, v2, vcc
	v_cmp_eq_u64_e64 s[24:25], 0, v[2:3]
	v_min_i32_e32 v3, 15, v6
	v_cmp_eq_u32_e32 vcc, 0, v6
	v_lshlrev_b32_e32 v3, 3, v3
	v_and_or_b32 v2, v2, 7, v3
	s_and_b64 s[24:25], vcc, s[24:25]
	v_cndmask_b32_e64 v2, v2, 0, s[24:25]
	v_or_b32_e32 v48, v2, v5
.LBB2_1539:                             ;   in Loop: Header=BB2_1481 Depth=2
	s_or_b64 exec, exec, s[64:65]
.LBB2_1540:                             ;   in Loop: Header=BB2_1481 Depth=2
	s_or_b64 exec, exec, s[62:63]
                                        ; implicit-def: $vgpr2
.LBB2_1541:                             ;   in Loop: Header=BB2_1481 Depth=2
	s_andn2_saveexec_b64 s[24:25], s[60:61]
; %bb.1542:                             ;   in Loop: Header=BB2_1481 Depth=2
	v_or_b32_sdwa v2, v2, s74 dst_sel:DWORD dst_unused:UNUSED_PAD src0_sel:BYTE_3 src1_sel:DWORD
	v_cmp_eq_u64_e32 vcc, 0, v[38:39]
	v_cndmask_b32_e32 v48, v2, v48, vcc
; %bb.1543:                             ;   in Loop: Header=BB2_1481 Depth=2
	s_or_b64 exec, exec, s[24:25]
	v_cmp_lt_u32_e32 vcc, s47, v10
	v_mov_b32_e32 v3, 0
	s_and_saveexec_b64 s[24:25], vcc
	s_cbranch_execz .LBB2_1549
; %bb.1544:                             ;   in Loop: Header=BB2_1481 Depth=2
	v_lshrrev_b32_e32 v2, 24, v10
	v_cmp_ne_u32_e32 vcc, s75, v2
	v_bfrev_b32_e32 v3, 1
	s_and_saveexec_b64 s[60:61], vcc
	s_cbranch_execz .LBB2_1548
; %bb.1545:                             ;   in Loop: Header=BB2_1481 Depth=2
	v_bfe_u32 v5, v10, 24, 7
	v_cmp_ne_u32_e32 vcc, s74, v5
	v_mov_b32_e32 v3, 0x7f800001
	s_and_saveexec_b64 s[62:63], vcc
	s_cbranch_execz .LBB2_1547
; %bb.1546:                             ;   in Loop: Header=BB2_1481 Depth=2
	v_and_b32_e32 v3, 7, v2
	v_ffbh_u32_e32 v8, v3
	v_min_u32_e32 v22, 32, v8
	v_subrev_u32_e32 v8, 28, v22
	v_lshlrev_b64 v[8:9], v8, v[2:3]
	v_lshrrev_b32_e32 v6, 3, v5
	v_sub_u32_e32 v9, 29, v22
	v_and_b32_e32 v8, 7, v8
	v_cmp_gt_u32_e32 vcc, 8, v5
	v_cndmask_b32_e32 v5, v6, v9, vcc
	v_cndmask_b32_e32 v3, v3, v8, vcc
	v_lshlrev_b32_e32 v2, 24, v2
	v_lshlrev_b32_e32 v3, 20, v3
	v_and_b32_e32 v2, 0x80000000, v2
	v_lshl_add_u32 v5, v5, 23, v20
	v_or3_b32 v3, v2, v5, v3
.LBB2_1547:                             ;   in Loop: Header=BB2_1481 Depth=2
	s_or_b64 exec, exec, s[62:63]
.LBB2_1548:                             ;   in Loop: Header=BB2_1481 Depth=2
	s_or_b64 exec, exec, s[60:61]
.LBB2_1549:                             ;   in Loop: Header=BB2_1481 Depth=2
	s_or_b64 exec, exec, s[24:25]
	v_mul_f32_e32 v2, v7, v3
	v_and_b32_sdwa v5, v2, s75 dst_sel:DWORD dst_unused:UNUSED_PAD src0_sel:BYTE_3 src1_sel:DWORD
	v_and_b32_e32 v8, 0x7f800000, v2
	v_mov_b32_e32 v9, v39
	v_and_b32_e32 v38, 0x7fffff, v2
	v_or_b32_e32 v32, 0x7e, v5
	v_cmp_ne_u64_e32 vcc, s[42:43], v[8:9]
	s_and_saveexec_b64 s[24:25], vcc
	s_xor_b64 s[60:61], exec, s[24:25]
	s_cbranch_execz .LBB2_1559
; %bb.1550:                             ;   in Loop: Header=BB2_1481 Depth=2
	v_and_b32_e32 v8, 0x7fffffff, v2
	v_mov_b32_e32 v9, v39
	v_cmp_gt_u64_e32 vcc, s[44:45], v[8:9]
	s_and_saveexec_b64 s[62:63], vcc
	s_cbranch_execz .LBB2_1558
; %bb.1551:                             ;   in Loop: Header=BB2_1481 Depth=2
	v_cmp_ne_u32_e32 vcc, 0, v2
	v_mov_b32_e32 v32, 0
	s_and_saveexec_b64 s[64:65], vcc
	s_cbranch_execz .LBB2_1557
; %bb.1552:                             ;   in Loop: Header=BB2_1481 Depth=2
	v_bfe_u32 v2, v2, 23, 8
	v_sub_u32_e32 v6, 0x79, v2
	v_cmp_gt_u32_e32 vcc, s76, v2
	v_cndmask_b32_e32 v6, 0, v6, vcc
	v_cmp_eq_u32_e32 vcc, 0, v2
	v_add_u32_e32 v3, 0xffffff81, v2
	v_or_b32_e32 v8, 0x800000, v38
	v_mov_b32_e32 v2, 0xffffff82
	v_cndmask_b32_e32 v6, v6, v18, vcc
	v_cndmask_b32_e32 v9, v3, v2, vcc
	v_cndmask_b32_e32 v38, v8, v38, vcc
	v_add_u32_e32 v2, 20, v6
	v_lshlrev_b64 v[2:3], v2, -1
	v_add_u32_e32 v8, 19, v6
	v_lshrrev_b64 v[24:25], v6, v[38:39]
	v_not_b32_e32 v3, v3
	v_not_b32_e32 v2, v2
	v_lshlrev_b64 v[22:23], v8, 1
	v_lshrrev_b32_e32 v8, 23, v24
	v_and_b32_e32 v3, 0, v3
	v_and_b32_e32 v2, v38, v2
	v_add3_u32 v9, v6, v9, v8
	v_bfe_u32 v6, v24, 20, 1
	v_add_u32_e32 v6, -1, v6
	v_cmp_eq_u64_e32 vcc, v[2:3], v[22:23]
	v_cndmask_b32_e32 v2, 0, v6, vcc
	v_add_u32_e32 v2, v2, v24
	v_and_b32_e32 v2, 0xfffff, v2
	v_add_co_u32_e32 v2, vcc, v2, v24
	v_add_u32_e32 v8, 6, v9
	v_addc_co_u32_e32 v3, vcc, 0, v25, vcc
	v_cmp_ne_u32_e32 vcc, 0, v8
                                        ; implicit-def: $vgpr6
	s_and_saveexec_b64 s[24:25], vcc
	s_xor_b64 s[24:25], exec, s[24:25]
; %bb.1553:                             ;   in Loop: Header=BB2_1481 Depth=2
	v_add_u32_e32 v6, 7, v9
	v_cmp_lt_u64_e32 vcc, s[48:49], v[2:3]
	v_cndmask_b32_e32 v6, v8, v6, vcc
	v_cndmask_b32_e64 v8, 0, 1, vcc
	v_lshrrev_b64 v[2:3], v8, v[2:3]
; %bb.1554:                             ;   in Loop: Header=BB2_1481 Depth=2
	s_andn2_saveexec_b64 s[24:25], s[24:25]
; %bb.1555:                             ;   in Loop: Header=BB2_1481 Depth=2
	v_bfe_u32 v6, v2, 23, 1
; %bb.1556:                             ;   in Loop: Header=BB2_1481 Depth=2
	s_or_b64 exec, exec, s[24:25]
	v_lshrrev_b64 v[2:3], 20, v[2:3]
	v_cmp_gt_i32_e32 vcc, 16, v6
	v_cndmask_b32_e32 v3, 0, v3, vcc
	v_cndmask_b32_e32 v2, 7, v2, vcc
	v_cmp_eq_u64_e64 s[24:25], 0, v[2:3]
	v_min_i32_e32 v3, 15, v6
	v_cmp_eq_u32_e32 vcc, 0, v6
	v_lshlrev_b32_e32 v3, 3, v3
	v_and_or_b32 v2, v2, 7, v3
	s_and_b64 s[24:25], vcc, s[24:25]
	v_cndmask_b32_e64 v2, v2, 0, s[24:25]
	v_or_b32_e32 v32, v2, v5
.LBB2_1557:                             ;   in Loop: Header=BB2_1481 Depth=2
	s_or_b64 exec, exec, s[64:65]
.LBB2_1558:                             ;   in Loop: Header=BB2_1481 Depth=2
	s_or_b64 exec, exec, s[62:63]
                                        ; implicit-def: $vgpr2
.LBB2_1559:                             ;   in Loop: Header=BB2_1481 Depth=2
	s_andn2_saveexec_b64 s[24:25], s[60:61]
; %bb.1560:                             ;   in Loop: Header=BB2_1481 Depth=2
	v_or_b32_sdwa v2, v2, s74 dst_sel:DWORD dst_unused:UNUSED_PAD src0_sel:BYTE_3 src1_sel:DWORD
	v_cmp_eq_u64_e32 vcc, 0, v[38:39]
	v_cndmask_b32_e32 v32, v2, v32, vcc
; %bb.1561:                             ;   in Loop: Header=BB2_1481 Depth=2
	s_or_b64 exec, exec, s[24:25]
	v_mov_b32_e32 v38, v11
	v_cmp_ne_u16_sdwa vcc, v11, v39 src0_sel:BYTE_0 src1_sel:DWORD
	v_mov_b32_e32 v2, 0
	s_and_saveexec_b64 s[24:25], vcc
	s_cbranch_execz .LBB2_1567
; %bb.1562:                             ;   in Loop: Header=BB2_1481 Depth=2
	v_cmp_ne_u16_sdwa vcc, v11, s75 src0_sel:BYTE_0 src1_sel:DWORD
	v_bfrev_b32_e32 v2, 1
	s_and_saveexec_b64 s[60:61], vcc
	s_cbranch_execz .LBB2_1566
; %bb.1563:                             ;   in Loop: Header=BB2_1481 Depth=2
	v_and_b32_e32 v3, 0x7f, v11
	v_cmp_ne_u32_e32 vcc, s74, v3
	v_mov_b32_e32 v2, 0x7f800001
	s_and_saveexec_b64 s[62:63], vcc
	s_cbranch_execz .LBB2_1565
; %bb.1564:                             ;   in Loop: Header=BB2_1481 Depth=2
	v_and_b32_e32 v2, 7, v11
	v_ffbh_u32_e32 v2, v2
	v_min_u32_e32 v2, 32, v2
	v_lshrrev_b32_e32 v5, 3, v3
	v_subrev_u32_e32 v6, 28, v2
	v_sub_u32_e32 v2, 29, v2
	v_cmp_gt_u32_e32 vcc, 8, v3
	v_cndmask_b32_e32 v5, v5, v2, vcc
	v_cndmask_b32_e32 v2, 0, v6, vcc
	v_lshlrev_b64 v[2:3], v2, v[38:39]
	v_lshlrev_b32_e32 v2, 20, v2
	v_lshlrev_b32_e32 v3, 24, v38
	v_and_b32_e32 v2, 0x700000, v2
	v_and_b32_e32 v3, 0x80000000, v3
	v_lshl_add_u32 v5, v5, 23, v20
	v_or3_b32 v2, v3, v5, v2
.LBB2_1565:                             ;   in Loop: Header=BB2_1481 Depth=2
	s_or_b64 exec, exec, s[62:63]
.LBB2_1566:                             ;   in Loop: Header=BB2_1481 Depth=2
	s_or_b64 exec, exec, s[60:61]
.LBB2_1567:                             ;   in Loop: Header=BB2_1481 Depth=2
	s_or_b64 exec, exec, s[24:25]
	v_mul_f32_e32 v6, v7, v2
	v_and_b32_sdwa v5, v6, s75 dst_sel:DWORD dst_unused:UNUSED_PAD src0_sel:BYTE_3 src1_sel:DWORD
	v_and_b32_e32 v8, 0x7f800000, v6
	v_mov_b32_e32 v9, v39
	v_and_b32_e32 v2, 0x7fffff, v6
	v_mov_b32_e32 v3, v39
	v_or_b32_e32 v27, 0x7e, v5
	v_cmp_ne_u64_e32 vcc, s[42:43], v[8:9]
	s_and_saveexec_b64 s[24:25], vcc
	s_xor_b64 s[60:61], exec, s[24:25]
	s_cbranch_execz .LBB2_1577
; %bb.1568:                             ;   in Loop: Header=BB2_1481 Depth=2
	v_and_b32_e32 v8, 0x7fffffff, v6
	v_mov_b32_e32 v9, v39
	v_cmp_gt_u64_e32 vcc, s[44:45], v[8:9]
	s_and_saveexec_b64 s[62:63], vcc
	s_cbranch_execz .LBB2_1576
; %bb.1569:                             ;   in Loop: Header=BB2_1481 Depth=2
	v_cmp_ne_u32_e32 vcc, 0, v6
	v_mov_b32_e32 v27, 0
	s_and_saveexec_b64 s[64:65], vcc
	s_cbranch_execz .LBB2_1575
; %bb.1570:                             ;   in Loop: Header=BB2_1481 Depth=2
	v_bfe_u32 v6, v6, 23, 8
	v_sub_u32_e32 v9, 0x79, v6
	v_cmp_gt_u32_e32 vcc, s76, v6
	v_cndmask_b32_e32 v9, 0, v9, vcc
	v_cmp_eq_u32_e32 vcc, 0, v6
	v_add_u32_e32 v8, 0xffffff81, v6
	v_mov_b32_e32 v6, 0xffffff82
	v_cndmask_b32_e32 v27, v9, v18, vcc
	v_cndmask_b32_e32 v6, v8, v6, vcc
	v_add_u32_e32 v8, 20, v27
	v_or_b32_e32 v22, 0x800000, v2
	v_lshlrev_b64 v[8:9], v8, -1
	v_cndmask_b32_e32 v2, v22, v2, vcc
	v_not_b32_e32 v8, v8
	v_and_b32_e32 v22, v2, v8
	v_add_u32_e32 v8, 19, v27
	v_lshrrev_b64 v[2:3], v27, v[2:3]
	v_not_b32_e32 v9, v9
	v_lshlrev_b64 v[24:25], v8, 1
	v_lshrrev_b32_e32 v8, 23, v2
	v_and_b32_e32 v23, 0, v9
	v_add3_u32 v9, v27, v6, v8
	v_bfe_u32 v6, v2, 20, 1
	v_add_u32_e32 v6, -1, v6
	v_cmp_eq_u64_e32 vcc, v[22:23], v[24:25]
	v_cndmask_b32_e32 v6, 0, v6, vcc
	v_add_u32_e32 v6, v6, v2
	v_and_b32_e32 v6, 0xfffff, v6
	v_add_co_u32_e32 v2, vcc, v6, v2
	v_add_u32_e32 v8, 6, v9
	v_addc_co_u32_e32 v3, vcc, 0, v3, vcc
	v_cmp_ne_u32_e32 vcc, 0, v8
                                        ; implicit-def: $vgpr6
	s_and_saveexec_b64 s[24:25], vcc
	s_xor_b64 s[24:25], exec, s[24:25]
; %bb.1571:                             ;   in Loop: Header=BB2_1481 Depth=2
	v_add_u32_e32 v6, 7, v9
	v_cmp_lt_u64_e32 vcc, s[48:49], v[2:3]
	v_cndmask_b32_e32 v6, v8, v6, vcc
	v_cndmask_b32_e64 v8, 0, 1, vcc
	v_lshrrev_b64 v[2:3], v8, v[2:3]
; %bb.1572:                             ;   in Loop: Header=BB2_1481 Depth=2
	s_andn2_saveexec_b64 s[24:25], s[24:25]
; %bb.1573:                             ;   in Loop: Header=BB2_1481 Depth=2
	v_bfe_u32 v6, v2, 23, 1
; %bb.1574:                             ;   in Loop: Header=BB2_1481 Depth=2
	s_or_b64 exec, exec, s[24:25]
	v_lshrrev_b64 v[2:3], 20, v[2:3]
	v_cmp_gt_i32_e32 vcc, 16, v6
	v_cndmask_b32_e32 v3, 0, v3, vcc
	v_cndmask_b32_e32 v2, 7, v2, vcc
	v_cmp_eq_u64_e64 s[24:25], 0, v[2:3]
	v_min_i32_e32 v3, 15, v6
	v_cmp_eq_u32_e32 vcc, 0, v6
	v_lshlrev_b32_e32 v3, 3, v3
	v_and_or_b32 v2, v2, 7, v3
	s_and_b64 s[24:25], vcc, s[24:25]
	v_cndmask_b32_e64 v2, v2, 0, s[24:25]
	v_or_b32_e32 v27, v2, v5
.LBB2_1575:                             ;   in Loop: Header=BB2_1481 Depth=2
	s_or_b64 exec, exec, s[64:65]
.LBB2_1576:                             ;   in Loop: Header=BB2_1481 Depth=2
	s_or_b64 exec, exec, s[62:63]
                                        ; implicit-def: $vgpr6
                                        ; implicit-def: $vgpr2_vgpr3
.LBB2_1577:                             ;   in Loop: Header=BB2_1481 Depth=2
	s_andn2_saveexec_b64 s[24:25], s[60:61]
; %bb.1578:                             ;   in Loop: Header=BB2_1481 Depth=2
	v_or_b32_sdwa v5, v6, s74 dst_sel:DWORD dst_unused:UNUSED_PAD src0_sel:BYTE_3 src1_sel:DWORD
	v_cmp_eq_u64_e32 vcc, 0, v[2:3]
	v_cndmask_b32_e32 v27, v5, v27, vcc
; %bb.1579:                             ;   in Loop: Header=BB2_1481 Depth=2
	s_or_b64 exec, exec, s[24:25]
	v_lshrrev_b16_e32 v2, 8, v38
	v_cmp_ne_u16_e32 vcc, 0, v2
	v_mov_b32_e32 v3, 0
	s_and_saveexec_b64 s[24:25], vcc
	s_cbranch_execz .LBB2_1585
; %bb.1580:                             ;   in Loop: Header=BB2_1481 Depth=2
	v_cmp_ne_u16_e32 vcc, s75, v2
	v_bfrev_b32_e32 v3, 1
	s_and_saveexec_b64 s[60:61], vcc
	s_cbranch_execz .LBB2_1584
; %bb.1581:                             ;   in Loop: Header=BB2_1481 Depth=2
	v_and_b32_e32 v5, 0x7f, v2
	v_cmp_ne_u32_e32 vcc, s74, v5
	v_mov_b32_e32 v3, 0x7f800001
	s_and_saveexec_b64 s[62:63], vcc
	s_cbranch_execz .LBB2_1583
; %bb.1582:                             ;   in Loop: Header=BB2_1481 Depth=2
	v_and_b32_e32 v6, 7, v2
	v_ffbh_u32_e32 v3, v6
	v_min_u32_e32 v9, 32, v3
	v_subrev_u32_e32 v3, 28, v9
	v_lshlrev_b64 v[2:3], v3, v[2:3]
	v_lshrrev_b32_e32 v8, 3, v5
	v_sub_u32_e32 v3, 29, v9
	v_and_b32_e32 v2, 7, v2
	v_cmp_gt_u32_e32 vcc, 8, v5
	v_cndmask_b32_e32 v3, v8, v3, vcc
	v_cndmask_b32_e32 v2, v6, v2, vcc
	v_lshlrev_b32_e32 v5, 16, v38
	v_lshlrev_b32_e32 v2, 20, v2
	v_and_b32_e32 v5, 0x80000000, v5
	v_lshl_add_u32 v3, v3, 23, v20
	v_or3_b32 v3, v5, v3, v2
.LBB2_1583:                             ;   in Loop: Header=BB2_1481 Depth=2
	s_or_b64 exec, exec, s[62:63]
.LBB2_1584:                             ;   in Loop: Header=BB2_1481 Depth=2
	s_or_b64 exec, exec, s[60:61]
.LBB2_1585:                             ;   in Loop: Header=BB2_1481 Depth=2
	s_or_b64 exec, exec, s[24:25]
	v_mul_f32_e32 v2, v7, v3
	v_and_b32_sdwa v5, v2, s75 dst_sel:DWORD dst_unused:UNUSED_PAD src0_sel:BYTE_3 src1_sel:DWORD
	v_and_b32_e32 v8, 0x7f800000, v2
	v_mov_b32_e32 v9, v39
	v_and_b32_e32 v38, 0x7fffff, v2
	v_or_b32_e32 v34, 0x7e, v5
	v_cmp_ne_u64_e32 vcc, s[42:43], v[8:9]
	s_and_saveexec_b64 s[24:25], vcc
	s_xor_b64 s[60:61], exec, s[24:25]
	s_cbranch_execz .LBB2_1595
; %bb.1586:                             ;   in Loop: Header=BB2_1481 Depth=2
	v_and_b32_e32 v8, 0x7fffffff, v2
	v_mov_b32_e32 v9, v39
	v_cmp_gt_u64_e32 vcc, s[44:45], v[8:9]
	s_and_saveexec_b64 s[62:63], vcc
	s_cbranch_execz .LBB2_1594
; %bb.1587:                             ;   in Loop: Header=BB2_1481 Depth=2
	v_cmp_ne_u32_e32 vcc, 0, v2
	v_mov_b32_e32 v34, 0
	s_and_saveexec_b64 s[64:65], vcc
	s_cbranch_execz .LBB2_1593
; %bb.1588:                             ;   in Loop: Header=BB2_1481 Depth=2
	v_bfe_u32 v2, v2, 23, 8
	v_sub_u32_e32 v6, 0x79, v2
	v_cmp_gt_u32_e32 vcc, s76, v2
	v_cndmask_b32_e32 v6, 0, v6, vcc
	v_cmp_eq_u32_e32 vcc, 0, v2
	v_add_u32_e32 v3, 0xffffff81, v2
	v_or_b32_e32 v8, 0x800000, v38
	v_mov_b32_e32 v2, 0xffffff82
	v_cndmask_b32_e32 v6, v6, v18, vcc
	v_cndmask_b32_e32 v9, v3, v2, vcc
	;; [unrolled: 1-line block ×3, first 2 shown]
	v_add_u32_e32 v2, 20, v6
	v_lshlrev_b64 v[2:3], v2, -1
	v_add_u32_e32 v8, 19, v6
	v_lshrrev_b64 v[24:25], v6, v[38:39]
	v_not_b32_e32 v3, v3
	v_not_b32_e32 v2, v2
	v_lshlrev_b64 v[22:23], v8, 1
	v_lshrrev_b32_e32 v8, 23, v24
	v_and_b32_e32 v3, 0, v3
	v_and_b32_e32 v2, v38, v2
	v_add3_u32 v9, v6, v9, v8
	v_bfe_u32 v6, v24, 20, 1
	v_add_u32_e32 v6, -1, v6
	v_cmp_eq_u64_e32 vcc, v[2:3], v[22:23]
	v_cndmask_b32_e32 v2, 0, v6, vcc
	v_add_u32_e32 v2, v2, v24
	v_and_b32_e32 v2, 0xfffff, v2
	v_add_co_u32_e32 v2, vcc, v2, v24
	v_add_u32_e32 v8, 6, v9
	v_addc_co_u32_e32 v3, vcc, 0, v25, vcc
	v_cmp_ne_u32_e32 vcc, 0, v8
                                        ; implicit-def: $vgpr6
	s_and_saveexec_b64 s[24:25], vcc
	s_xor_b64 s[24:25], exec, s[24:25]
; %bb.1589:                             ;   in Loop: Header=BB2_1481 Depth=2
	v_add_u32_e32 v6, 7, v9
	v_cmp_lt_u64_e32 vcc, s[48:49], v[2:3]
	v_cndmask_b32_e32 v6, v8, v6, vcc
	v_cndmask_b32_e64 v8, 0, 1, vcc
	v_lshrrev_b64 v[2:3], v8, v[2:3]
; %bb.1590:                             ;   in Loop: Header=BB2_1481 Depth=2
	s_andn2_saveexec_b64 s[24:25], s[24:25]
; %bb.1591:                             ;   in Loop: Header=BB2_1481 Depth=2
	v_bfe_u32 v6, v2, 23, 1
; %bb.1592:                             ;   in Loop: Header=BB2_1481 Depth=2
	s_or_b64 exec, exec, s[24:25]
	v_lshrrev_b64 v[2:3], 20, v[2:3]
	v_cmp_gt_i32_e32 vcc, 16, v6
	v_cndmask_b32_e32 v3, 0, v3, vcc
	v_cndmask_b32_e32 v2, 7, v2, vcc
	v_cmp_eq_u64_e64 s[24:25], 0, v[2:3]
	v_min_i32_e32 v3, 15, v6
	v_lshlrev_b32_e32 v3, 3, v3
	v_cmp_eq_u32_e32 vcc, 0, v6
	v_and_b32_e32 v3, 0xf8, v3
	v_and_or_b32 v2, v2, 7, v3
	s_and_b64 s[24:25], vcc, s[24:25]
	v_cndmask_b32_e64 v2, v2, 0, s[24:25]
	v_or_b32_e32 v34, v2, v5
.LBB2_1593:                             ;   in Loop: Header=BB2_1481 Depth=2
	s_or_b64 exec, exec, s[64:65]
.LBB2_1594:                             ;   in Loop: Header=BB2_1481 Depth=2
	s_or_b64 exec, exec, s[62:63]
                                        ; implicit-def: $vgpr2
.LBB2_1595:                             ;   in Loop: Header=BB2_1481 Depth=2
	s_andn2_saveexec_b64 s[24:25], s[60:61]
; %bb.1596:                             ;   in Loop: Header=BB2_1481 Depth=2
	v_or_b32_sdwa v2, v2, s74 dst_sel:DWORD dst_unused:UNUSED_PAD src0_sel:BYTE_3 src1_sel:DWORD
	v_cmp_eq_u64_e32 vcc, 0, v[38:39]
	v_cndmask_b32_e32 v34, v2, v34, vcc
; %bb.1597:                             ;   in Loop: Header=BB2_1481 Depth=2
	s_or_b64 exec, exec, s[24:25]
	v_lshrrev_b32_e32 v2, 16, v11
	v_cmp_ne_u16_sdwa vcc, v2, v39 src0_sel:BYTE_0 src1_sel:DWORD
	v_mov_b32_e32 v3, 0
	s_and_saveexec_b64 s[24:25], vcc
	s_cbranch_execz .LBB2_1603
; %bb.1598:                             ;   in Loop: Header=BB2_1481 Depth=2
	v_cmp_ne_u16_sdwa vcc, v2, s75 src0_sel:BYTE_0 src1_sel:DWORD
	v_bfrev_b32_e32 v3, 1
	s_and_saveexec_b64 s[60:61], vcc
	s_cbranch_execz .LBB2_1602
; %bb.1599:                             ;   in Loop: Header=BB2_1481 Depth=2
	v_bfe_u32 v5, v11, 16, 7
	v_cmp_ne_u32_e32 vcc, s74, v5
	v_mov_b32_e32 v3, 0x7f800001
	s_and_saveexec_b64 s[62:63], vcc
	s_cbranch_execz .LBB2_1601
; %bb.1600:                             ;   in Loop: Header=BB2_1481 Depth=2
	v_and_b32_e32 v3, 7, v2
	v_ffbh_u32_e32 v8, v3
	v_min_u32_e32 v22, 32, v8
	v_subrev_u32_e32 v8, 28, v22
	v_lshlrev_b64 v[8:9], v8, v[2:3]
	v_lshrrev_b32_e32 v6, 3, v5
	v_sub_u32_e32 v9, 29, v22
	v_and_b32_e32 v8, 7, v8
	v_cmp_gt_u32_e32 vcc, 8, v5
	v_cndmask_b32_e32 v5, v6, v9, vcc
	v_cndmask_b32_e32 v3, v3, v8, vcc
	v_lshlrev_b32_e32 v2, 24, v2
	v_lshlrev_b32_e32 v3, 20, v3
	v_and_b32_e32 v2, 0x80000000, v2
	v_lshl_add_u32 v5, v5, 23, v20
	v_or3_b32 v3, v2, v5, v3
.LBB2_1601:                             ;   in Loop: Header=BB2_1481 Depth=2
	s_or_b64 exec, exec, s[62:63]
.LBB2_1602:                             ;   in Loop: Header=BB2_1481 Depth=2
	s_or_b64 exec, exec, s[60:61]
.LBB2_1603:                             ;   in Loop: Header=BB2_1481 Depth=2
	s_or_b64 exec, exec, s[24:25]
	v_mul_f32_e32 v2, v7, v3
	v_and_b32_sdwa v5, v2, s75 dst_sel:DWORD dst_unused:UNUSED_PAD src0_sel:BYTE_3 src1_sel:DWORD
	v_and_b32_e32 v8, 0x7f800000, v2
	v_mov_b32_e32 v9, v39
	v_and_b32_e32 v38, 0x7fffff, v2
	v_or_b32_e32 v35, 0x7e, v5
	v_cmp_ne_u64_e32 vcc, s[42:43], v[8:9]
	s_and_saveexec_b64 s[24:25], vcc
	s_xor_b64 s[60:61], exec, s[24:25]
	s_cbranch_execz .LBB2_1613
; %bb.1604:                             ;   in Loop: Header=BB2_1481 Depth=2
	v_and_b32_e32 v8, 0x7fffffff, v2
	v_mov_b32_e32 v9, v39
	v_cmp_gt_u64_e32 vcc, s[44:45], v[8:9]
	s_and_saveexec_b64 s[62:63], vcc
	s_cbranch_execz .LBB2_1612
; %bb.1605:                             ;   in Loop: Header=BB2_1481 Depth=2
	v_cmp_ne_u32_e32 vcc, 0, v2
	v_mov_b32_e32 v35, 0
	s_and_saveexec_b64 s[64:65], vcc
	s_cbranch_execz .LBB2_1611
; %bb.1606:                             ;   in Loop: Header=BB2_1481 Depth=2
	v_bfe_u32 v2, v2, 23, 8
	v_sub_u32_e32 v6, 0x79, v2
	v_cmp_gt_u32_e32 vcc, s76, v2
	v_cndmask_b32_e32 v6, 0, v6, vcc
	v_cmp_eq_u32_e32 vcc, 0, v2
	v_add_u32_e32 v3, 0xffffff81, v2
	v_or_b32_e32 v8, 0x800000, v38
	v_mov_b32_e32 v2, 0xffffff82
	v_cndmask_b32_e32 v6, v6, v18, vcc
	v_cndmask_b32_e32 v9, v3, v2, vcc
	;; [unrolled: 1-line block ×3, first 2 shown]
	v_add_u32_e32 v2, 20, v6
	v_lshlrev_b64 v[2:3], v2, -1
	v_add_u32_e32 v8, 19, v6
	v_lshrrev_b64 v[24:25], v6, v[38:39]
	v_not_b32_e32 v3, v3
	v_not_b32_e32 v2, v2
	v_lshlrev_b64 v[22:23], v8, 1
	v_lshrrev_b32_e32 v8, 23, v24
	v_and_b32_e32 v3, 0, v3
	v_and_b32_e32 v2, v38, v2
	v_add3_u32 v9, v6, v9, v8
	v_bfe_u32 v6, v24, 20, 1
	v_add_u32_e32 v6, -1, v6
	v_cmp_eq_u64_e32 vcc, v[2:3], v[22:23]
	v_cndmask_b32_e32 v2, 0, v6, vcc
	v_add_u32_e32 v2, v2, v24
	v_and_b32_e32 v2, 0xfffff, v2
	v_add_co_u32_e32 v2, vcc, v2, v24
	v_add_u32_e32 v8, 6, v9
	v_addc_co_u32_e32 v3, vcc, 0, v25, vcc
	v_cmp_ne_u32_e32 vcc, 0, v8
                                        ; implicit-def: $vgpr6
	s_and_saveexec_b64 s[24:25], vcc
	s_xor_b64 s[24:25], exec, s[24:25]
; %bb.1607:                             ;   in Loop: Header=BB2_1481 Depth=2
	v_add_u32_e32 v6, 7, v9
	v_cmp_lt_u64_e32 vcc, s[48:49], v[2:3]
	v_cndmask_b32_e32 v6, v8, v6, vcc
	v_cndmask_b32_e64 v8, 0, 1, vcc
	v_lshrrev_b64 v[2:3], v8, v[2:3]
; %bb.1608:                             ;   in Loop: Header=BB2_1481 Depth=2
	s_andn2_saveexec_b64 s[24:25], s[24:25]
; %bb.1609:                             ;   in Loop: Header=BB2_1481 Depth=2
	v_bfe_u32 v6, v2, 23, 1
; %bb.1610:                             ;   in Loop: Header=BB2_1481 Depth=2
	s_or_b64 exec, exec, s[24:25]
	v_lshrrev_b64 v[2:3], 20, v[2:3]
	v_cmp_gt_i32_e32 vcc, 16, v6
	v_cndmask_b32_e32 v3, 0, v3, vcc
	v_cndmask_b32_e32 v2, 7, v2, vcc
	v_cmp_eq_u64_e64 s[24:25], 0, v[2:3]
	v_min_i32_e32 v3, 15, v6
	v_lshlrev_b32_e32 v3, 3, v3
	v_cmp_eq_u32_e32 vcc, 0, v6
	v_and_b32_e32 v3, 0xf8, v3
	v_and_or_b32 v2, v2, 7, v3
	s_and_b64 s[24:25], vcc, s[24:25]
	v_cndmask_b32_e64 v2, v2, 0, s[24:25]
	v_or_b32_e32 v35, v2, v5
.LBB2_1611:                             ;   in Loop: Header=BB2_1481 Depth=2
	s_or_b64 exec, exec, s[64:65]
.LBB2_1612:                             ;   in Loop: Header=BB2_1481 Depth=2
	s_or_b64 exec, exec, s[62:63]
                                        ; implicit-def: $vgpr2
.LBB2_1613:                             ;   in Loop: Header=BB2_1481 Depth=2
	s_andn2_saveexec_b64 s[24:25], s[60:61]
; %bb.1614:                             ;   in Loop: Header=BB2_1481 Depth=2
	v_or_b32_sdwa v2, v2, s74 dst_sel:DWORD dst_unused:UNUSED_PAD src0_sel:BYTE_3 src1_sel:DWORD
	v_cmp_eq_u64_e32 vcc, 0, v[38:39]
	v_cndmask_b32_e32 v35, v2, v35, vcc
; %bb.1615:                             ;   in Loop: Header=BB2_1481 Depth=2
	s_or_b64 exec, exec, s[24:25]
	v_cmp_lt_u64_e32 vcc, s[46:47], v[10:11]
	v_mov_b32_e32 v3, 0
	s_and_saveexec_b64 s[24:25], vcc
	s_cbranch_execz .LBB2_1621
; %bb.1616:                             ;   in Loop: Header=BB2_1481 Depth=2
	v_lshrrev_b32_e32 v2, 24, v11
	v_cmp_ne_u32_e32 vcc, s75, v2
	v_bfrev_b32_e32 v3, 1
	s_and_saveexec_b64 s[60:61], vcc
	s_cbranch_execz .LBB2_1620
; %bb.1617:                             ;   in Loop: Header=BB2_1481 Depth=2
	v_bfe_u32 v5, v11, 24, 7
	v_cmp_ne_u32_e32 vcc, s74, v5
	v_mov_b32_e32 v3, 0x7f800001
	s_and_saveexec_b64 s[62:63], vcc
	s_cbranch_execz .LBB2_1619
; %bb.1618:                             ;   in Loop: Header=BB2_1481 Depth=2
	v_and_b32_e32 v3, 7, v2
	v_ffbh_u32_e32 v8, v3
	v_min_u32_e32 v10, 32, v8
	v_subrev_u32_e32 v8, 28, v10
	v_lshlrev_b64 v[8:9], v8, v[2:3]
	v_lshrrev_b32_e32 v6, 3, v5
	v_sub_u32_e32 v9, 29, v10
	v_and_b32_e32 v8, 7, v8
	v_cmp_gt_u32_e32 vcc, 8, v5
	v_cndmask_b32_e32 v5, v6, v9, vcc
	v_cndmask_b32_e32 v3, v3, v8, vcc
	v_lshlrev_b32_e32 v2, 24, v2
	v_lshlrev_b32_e32 v3, 20, v3
	v_and_b32_e32 v2, 0x80000000, v2
	v_lshl_add_u32 v5, v5, 23, v20
	v_or3_b32 v3, v2, v5, v3
.LBB2_1619:                             ;   in Loop: Header=BB2_1481 Depth=2
	s_or_b64 exec, exec, s[62:63]
.LBB2_1620:                             ;   in Loop: Header=BB2_1481 Depth=2
	s_or_b64 exec, exec, s[60:61]
.LBB2_1621:                             ;   in Loop: Header=BB2_1481 Depth=2
	s_or_b64 exec, exec, s[24:25]
	v_mul_f32_e32 v2, v7, v3
	v_and_b32_sdwa v5, v2, s75 dst_sel:DWORD dst_unused:UNUSED_PAD src0_sel:BYTE_3 src1_sel:DWORD
	v_and_b32_e32 v8, 0x7f800000, v2
	v_mov_b32_e32 v9, v39
	v_and_b32_e32 v38, 0x7fffff, v2
	v_or_b32_e32 v36, 0x7e, v5
	v_cmp_ne_u64_e32 vcc, s[42:43], v[8:9]
	s_and_saveexec_b64 s[24:25], vcc
	s_xor_b64 s[60:61], exec, s[24:25]
	s_cbranch_execz .LBB2_1631
; %bb.1622:                             ;   in Loop: Header=BB2_1481 Depth=2
	v_and_b32_e32 v8, 0x7fffffff, v2
	v_mov_b32_e32 v9, v39
	v_cmp_gt_u64_e32 vcc, s[44:45], v[8:9]
	s_and_saveexec_b64 s[62:63], vcc
	s_cbranch_execz .LBB2_1630
; %bb.1623:                             ;   in Loop: Header=BB2_1481 Depth=2
	v_cmp_ne_u32_e32 vcc, 0, v2
	v_mov_b32_e32 v36, 0
	s_and_saveexec_b64 s[64:65], vcc
	s_cbranch_execz .LBB2_1629
; %bb.1624:                             ;   in Loop: Header=BB2_1481 Depth=2
	v_bfe_u32 v2, v2, 23, 8
	v_sub_u32_e32 v6, 0x79, v2
	v_cmp_gt_u32_e32 vcc, s76, v2
	v_cndmask_b32_e32 v6, 0, v6, vcc
	v_cmp_eq_u32_e32 vcc, 0, v2
	v_add_u32_e32 v3, 0xffffff81, v2
	v_or_b32_e32 v8, 0x800000, v38
	v_mov_b32_e32 v2, 0xffffff82
	v_cndmask_b32_e32 v6, v6, v18, vcc
	v_cndmask_b32_e32 v9, v3, v2, vcc
	;; [unrolled: 1-line block ×3, first 2 shown]
	v_add_u32_e32 v2, 20, v6
	v_lshlrev_b64 v[2:3], v2, -1
	v_add_u32_e32 v8, 19, v6
	v_lshrrev_b64 v[22:23], v6, v[38:39]
	v_not_b32_e32 v3, v3
	v_not_b32_e32 v2, v2
	v_lshlrev_b64 v[10:11], v8, 1
	v_lshrrev_b32_e32 v8, 23, v22
	v_and_b32_e32 v3, 0, v3
	v_and_b32_e32 v2, v38, v2
	v_add3_u32 v9, v6, v9, v8
	v_bfe_u32 v6, v22, 20, 1
	v_add_u32_e32 v6, -1, v6
	v_cmp_eq_u64_e32 vcc, v[2:3], v[10:11]
	v_cndmask_b32_e32 v2, 0, v6, vcc
	v_add_u32_e32 v2, v2, v22
	v_and_b32_e32 v2, 0xfffff, v2
	v_add_co_u32_e32 v2, vcc, v2, v22
	v_add_u32_e32 v8, 6, v9
	v_addc_co_u32_e32 v3, vcc, 0, v23, vcc
	v_cmp_ne_u32_e32 vcc, 0, v8
                                        ; implicit-def: $vgpr6
	s_and_saveexec_b64 s[24:25], vcc
	s_xor_b64 s[24:25], exec, s[24:25]
; %bb.1625:                             ;   in Loop: Header=BB2_1481 Depth=2
	v_add_u32_e32 v6, 7, v9
	v_cmp_lt_u64_e32 vcc, s[48:49], v[2:3]
	v_cndmask_b32_e32 v6, v8, v6, vcc
	v_cndmask_b32_e64 v8, 0, 1, vcc
	v_lshrrev_b64 v[2:3], v8, v[2:3]
; %bb.1626:                             ;   in Loop: Header=BB2_1481 Depth=2
	s_andn2_saveexec_b64 s[24:25], s[24:25]
; %bb.1627:                             ;   in Loop: Header=BB2_1481 Depth=2
	v_bfe_u32 v6, v2, 23, 1
; %bb.1628:                             ;   in Loop: Header=BB2_1481 Depth=2
	s_or_b64 exec, exec, s[24:25]
	v_lshrrev_b64 v[2:3], 20, v[2:3]
	v_cmp_gt_i32_e32 vcc, 16, v6
	v_cndmask_b32_e32 v3, 0, v3, vcc
	v_cndmask_b32_e32 v2, 7, v2, vcc
	v_cmp_eq_u64_e64 s[24:25], 0, v[2:3]
	v_min_i32_e32 v3, 15, v6
	v_lshlrev_b32_e32 v3, 3, v3
	v_cmp_eq_u32_e32 vcc, 0, v6
	v_and_b32_e32 v3, 0xf8, v3
	v_and_or_b32 v2, v2, 7, v3
	s_and_b64 s[24:25], vcc, s[24:25]
	v_cndmask_b32_e64 v2, v2, 0, s[24:25]
	v_or_b32_e32 v36, v2, v5
.LBB2_1629:                             ;   in Loop: Header=BB2_1481 Depth=2
	s_or_b64 exec, exec, s[64:65]
.LBB2_1630:                             ;   in Loop: Header=BB2_1481 Depth=2
	s_or_b64 exec, exec, s[62:63]
                                        ; implicit-def: $vgpr2
.LBB2_1631:                             ;   in Loop: Header=BB2_1481 Depth=2
	s_andn2_saveexec_b64 s[24:25], s[60:61]
; %bb.1632:                             ;   in Loop: Header=BB2_1481 Depth=2
	v_or_b32_sdwa v2, v2, s74 dst_sel:DWORD dst_unused:UNUSED_PAD src0_sel:BYTE_3 src1_sel:DWORD
	v_cmp_eq_u64_e32 vcc, 0, v[38:39]
	v_cndmask_b32_e32 v36, v2, v36, vcc
; %bb.1633:                             ;   in Loop: Header=BB2_1481 Depth=2
	s_or_b64 exec, exec, s[24:25]
	v_cmp_ne_u16_sdwa vcc, v12, v39 src0_sel:BYTE_0 src1_sel:DWORD
	v_mov_b32_e32 v2, 0
	s_and_saveexec_b64 s[24:25], vcc
	s_cbranch_execz .LBB2_1639
; %bb.1634:                             ;   in Loop: Header=BB2_1481 Depth=2
	v_cmp_ne_u16_sdwa vcc, v12, s75 src0_sel:BYTE_0 src1_sel:DWORD
	v_bfrev_b32_e32 v2, 1
	s_and_saveexec_b64 s[60:61], vcc
	s_cbranch_execz .LBB2_1638
; %bb.1635:                             ;   in Loop: Header=BB2_1481 Depth=2
	v_and_b32_e32 v3, 0x7f, v12
	v_cmp_ne_u32_e32 vcc, s74, v3
	v_mov_b32_e32 v2, 0x7f800001
	s_and_saveexec_b64 s[62:63], vcc
	s_cbranch_execz .LBB2_1637
; %bb.1636:                             ;   in Loop: Header=BB2_1481 Depth=2
	v_and_b32_e32 v2, 7, v12
	v_ffbh_u32_e32 v2, v2
	v_min_u32_e32 v2, 32, v2
	v_lshrrev_b32_e32 v5, 3, v3
	v_subrev_u32_e32 v6, 28, v2
	v_sub_u32_e32 v2, 29, v2
	v_cmp_gt_u32_e32 vcc, 8, v3
	v_cndmask_b32_e32 v5, v5, v2, vcc
	v_cndmask_b32_e32 v2, 0, v6, vcc
	v_lshlrev_b64 v[2:3], v2, v[12:13]
	v_lshlrev_b32_e32 v2, 20, v2
	v_lshlrev_b32_e32 v3, 24, v12
	v_and_b32_e32 v2, 0x700000, v2
	v_and_b32_e32 v3, 0x80000000, v3
	v_lshl_add_u32 v5, v5, 23, v20
	v_or3_b32 v2, v3, v5, v2
.LBB2_1637:                             ;   in Loop: Header=BB2_1481 Depth=2
	s_or_b64 exec, exec, s[62:63]
.LBB2_1638:                             ;   in Loop: Header=BB2_1481 Depth=2
	s_or_b64 exec, exec, s[60:61]
.LBB2_1639:                             ;   in Loop: Header=BB2_1481 Depth=2
	s_or_b64 exec, exec, s[24:25]
	v_mul_f32_e32 v2, v7, v2
	v_and_b32_sdwa v5, v2, s75 dst_sel:DWORD dst_unused:UNUSED_PAD src0_sel:BYTE_3 src1_sel:DWORD
	v_and_b32_e32 v10, 0x7f800000, v2
	v_mov_b32_e32 v11, v39
	v_and_b32_e32 v38, 0x7fffff, v2
	v_or_b32_e32 v8, 0x7e, v5
	v_cmp_ne_u64_e32 vcc, s[42:43], v[10:11]
	s_and_saveexec_b64 s[24:25], vcc
	s_xor_b64 s[60:61], exec, s[24:25]
	s_cbranch_execz .LBB2_1649
; %bb.1640:                             ;   in Loop: Header=BB2_1481 Depth=2
	v_and_b32_e32 v10, 0x7fffffff, v2
	v_mov_b32_e32 v11, v39
	v_cmp_gt_u64_e32 vcc, s[44:45], v[10:11]
	s_and_saveexec_b64 s[62:63], vcc
	s_cbranch_execz .LBB2_1648
; %bb.1641:                             ;   in Loop: Header=BB2_1481 Depth=2
	v_cmp_ne_u32_e32 vcc, 0, v2
	v_mov_b32_e32 v8, 0
	s_and_saveexec_b64 s[64:65], vcc
	s_cbranch_execz .LBB2_1647
; %bb.1642:                             ;   in Loop: Header=BB2_1481 Depth=2
	v_bfe_u32 v2, v2, 23, 8
	v_sub_u32_e32 v6, 0x79, v2
	v_cmp_gt_u32_e32 vcc, s76, v2
	v_cndmask_b32_e32 v6, 0, v6, vcc
	v_cmp_eq_u32_e32 vcc, 0, v2
	v_add_u32_e32 v3, 0xffffff81, v2
	v_or_b32_e32 v8, 0x800000, v38
	v_mov_b32_e32 v2, 0xffffff82
	v_cndmask_b32_e32 v6, v6, v18, vcc
	v_cndmask_b32_e32 v9, v3, v2, vcc
	v_cndmask_b32_e32 v38, v8, v38, vcc
	v_add_u32_e32 v2, 20, v6
	v_lshlrev_b64 v[2:3], v2, -1
	v_add_u32_e32 v8, 19, v6
	v_lshrrev_b64 v[22:23], v6, v[38:39]
	v_not_b32_e32 v3, v3
	v_not_b32_e32 v2, v2
	v_lshlrev_b64 v[10:11], v8, 1
	v_lshrrev_b32_e32 v8, 23, v22
	v_and_b32_e32 v3, 0, v3
	v_and_b32_e32 v2, v38, v2
	v_add3_u32 v9, v6, v9, v8
	v_bfe_u32 v6, v22, 20, 1
	v_add_u32_e32 v6, -1, v6
	v_cmp_eq_u64_e32 vcc, v[2:3], v[10:11]
	v_cndmask_b32_e32 v2, 0, v6, vcc
	v_add_u32_e32 v2, v2, v22
	v_and_b32_e32 v2, 0xfffff, v2
	v_add_co_u32_e32 v2, vcc, v2, v22
	v_add_u32_e32 v8, 6, v9
	v_addc_co_u32_e32 v3, vcc, 0, v23, vcc
	v_cmp_ne_u32_e32 vcc, 0, v8
                                        ; implicit-def: $vgpr6
	s_and_saveexec_b64 s[24:25], vcc
	s_xor_b64 s[24:25], exec, s[24:25]
; %bb.1643:                             ;   in Loop: Header=BB2_1481 Depth=2
	v_add_u32_e32 v6, 7, v9
	v_cmp_lt_u64_e32 vcc, s[48:49], v[2:3]
	v_cndmask_b32_e32 v6, v8, v6, vcc
	v_cndmask_b32_e64 v8, 0, 1, vcc
	v_lshrrev_b64 v[2:3], v8, v[2:3]
; %bb.1644:                             ;   in Loop: Header=BB2_1481 Depth=2
	s_andn2_saveexec_b64 s[24:25], s[24:25]
; %bb.1645:                             ;   in Loop: Header=BB2_1481 Depth=2
	v_bfe_u32 v6, v2, 23, 1
; %bb.1646:                             ;   in Loop: Header=BB2_1481 Depth=2
	s_or_b64 exec, exec, s[24:25]
	v_lshrrev_b64 v[2:3], 20, v[2:3]
	v_cmp_gt_i32_e32 vcc, 16, v6
	v_cndmask_b32_e32 v3, 0, v3, vcc
	v_cndmask_b32_e32 v2, 7, v2, vcc
	v_cmp_eq_u64_e64 s[24:25], 0, v[2:3]
	v_min_i32_e32 v3, 15, v6
	v_cmp_eq_u32_e32 vcc, 0, v6
	v_lshlrev_b32_e32 v3, 3, v3
	v_and_or_b32 v2, v2, 7, v3
	s_and_b64 s[24:25], vcc, s[24:25]
	v_cndmask_b32_e64 v2, v2, 0, s[24:25]
	v_or_b32_e32 v8, v2, v5
.LBB2_1647:                             ;   in Loop: Header=BB2_1481 Depth=2
	s_or_b64 exec, exec, s[64:65]
.LBB2_1648:                             ;   in Loop: Header=BB2_1481 Depth=2
	s_or_b64 exec, exec, s[62:63]
                                        ; implicit-def: $vgpr2
.LBB2_1649:                             ;   in Loop: Header=BB2_1481 Depth=2
	s_andn2_saveexec_b64 s[24:25], s[60:61]
; %bb.1650:                             ;   in Loop: Header=BB2_1481 Depth=2
	v_or_b32_sdwa v2, v2, s74 dst_sel:DWORD dst_unused:UNUSED_PAD src0_sel:BYTE_3 src1_sel:DWORD
	v_cmp_eq_u64_e32 vcc, 0, v[38:39]
	v_cndmask_b32_e32 v8, v2, v8, vcc
; %bb.1651:                             ;   in Loop: Header=BB2_1481 Depth=2
	s_or_b64 exec, exec, s[24:25]
	v_lshrrev_b16_e32 v2, 8, v12
	v_cmp_ne_u16_e32 vcc, 0, v2
	v_mov_b32_e32 v3, 0
	s_and_saveexec_b64 s[24:25], vcc
	s_cbranch_execz .LBB2_1657
; %bb.1652:                             ;   in Loop: Header=BB2_1481 Depth=2
	v_cmp_ne_u16_e32 vcc, s75, v2
	v_bfrev_b32_e32 v3, 1
	s_and_saveexec_b64 s[60:61], vcc
	s_cbranch_execz .LBB2_1656
; %bb.1653:                             ;   in Loop: Header=BB2_1481 Depth=2
	v_and_b32_e32 v5, 0x7f, v2
	v_cmp_ne_u32_e32 vcc, s74, v5
	v_mov_b32_e32 v3, 0x7f800001
	s_and_saveexec_b64 s[62:63], vcc
	s_cbranch_execz .LBB2_1655
; %bb.1654:                             ;   in Loop: Header=BB2_1481 Depth=2
	v_and_b32_e32 v6, 7, v2
	v_ffbh_u32_e32 v3, v6
	v_min_u32_e32 v10, 32, v3
	v_subrev_u32_e32 v3, 28, v10
	v_lshlrev_b64 v[2:3], v3, v[2:3]
	v_lshrrev_b32_e32 v9, 3, v5
	v_sub_u32_e32 v3, 29, v10
	v_and_b32_e32 v2, 7, v2
	v_cmp_gt_u32_e32 vcc, 8, v5
	v_cndmask_b32_e32 v3, v9, v3, vcc
	v_cndmask_b32_e32 v2, v6, v2, vcc
	v_lshlrev_b32_e32 v5, 16, v12
	v_lshlrev_b32_e32 v2, 20, v2
	v_and_b32_e32 v5, 0x80000000, v5
	v_lshl_add_u32 v3, v3, 23, v20
	v_or3_b32 v3, v5, v3, v2
.LBB2_1655:                             ;   in Loop: Header=BB2_1481 Depth=2
	s_or_b64 exec, exec, s[62:63]
.LBB2_1656:                             ;   in Loop: Header=BB2_1481 Depth=2
	s_or_b64 exec, exec, s[60:61]
.LBB2_1657:                             ;   in Loop: Header=BB2_1481 Depth=2
	s_or_b64 exec, exec, s[24:25]
	v_mul_f32_e32 v2, v7, v3
	v_and_b32_sdwa v5, v2, s75 dst_sel:DWORD dst_unused:UNUSED_PAD src0_sel:BYTE_3 src1_sel:DWORD
	v_and_b32_e32 v10, 0x7f800000, v2
	v_mov_b32_e32 v11, v39
	v_and_b32_e32 v38, 0x7fffff, v2
	v_or_b32_e32 v31, 0x7e, v5
	v_cmp_ne_u64_e32 vcc, s[42:43], v[10:11]
	s_and_saveexec_b64 s[24:25], vcc
	s_xor_b64 s[60:61], exec, s[24:25]
	s_cbranch_execz .LBB2_1667
; %bb.1658:                             ;   in Loop: Header=BB2_1481 Depth=2
	v_and_b32_e32 v10, 0x7fffffff, v2
	v_mov_b32_e32 v11, v39
	v_cmp_gt_u64_e32 vcc, s[44:45], v[10:11]
	s_and_saveexec_b64 s[62:63], vcc
	s_cbranch_execz .LBB2_1666
; %bb.1659:                             ;   in Loop: Header=BB2_1481 Depth=2
	v_cmp_ne_u32_e32 vcc, 0, v2
	v_mov_b32_e32 v31, 0
	s_and_saveexec_b64 s[64:65], vcc
	s_cbranch_execz .LBB2_1665
; %bb.1660:                             ;   in Loop: Header=BB2_1481 Depth=2
	v_bfe_u32 v2, v2, 23, 8
	v_sub_u32_e32 v6, 0x79, v2
	v_cmp_gt_u32_e32 vcc, s76, v2
	v_cndmask_b32_e32 v6, 0, v6, vcc
	v_cmp_eq_u32_e32 vcc, 0, v2
	v_add_u32_e32 v3, 0xffffff81, v2
	v_or_b32_e32 v9, 0x800000, v38
	v_mov_b32_e32 v2, 0xffffff82
	v_cndmask_b32_e32 v6, v6, v18, vcc
	v_cndmask_b32_e32 v10, v3, v2, vcc
	;; [unrolled: 1-line block ×3, first 2 shown]
	v_add_u32_e32 v2, 20, v6
	v_lshlrev_b64 v[2:3], v2, -1
	v_add_u32_e32 v9, 19, v6
	v_lshrrev_b64 v[24:25], v6, v[38:39]
	v_not_b32_e32 v3, v3
	v_not_b32_e32 v2, v2
	v_lshlrev_b64 v[22:23], v9, 1
	v_lshrrev_b32_e32 v9, 23, v24
	v_and_b32_e32 v3, 0, v3
	v_and_b32_e32 v2, v38, v2
	v_add3_u32 v10, v6, v10, v9
	v_bfe_u32 v6, v24, 20, 1
	v_add_u32_e32 v6, -1, v6
	v_cmp_eq_u64_e32 vcc, v[2:3], v[22:23]
	v_cndmask_b32_e32 v2, 0, v6, vcc
	v_add_u32_e32 v2, v2, v24
	v_and_b32_e32 v2, 0xfffff, v2
	v_add_co_u32_e32 v2, vcc, v2, v24
	v_add_u32_e32 v9, 6, v10
	v_addc_co_u32_e32 v3, vcc, 0, v25, vcc
	v_cmp_ne_u32_e32 vcc, 0, v9
                                        ; implicit-def: $vgpr6
	s_and_saveexec_b64 s[24:25], vcc
	s_xor_b64 s[24:25], exec, s[24:25]
; %bb.1661:                             ;   in Loop: Header=BB2_1481 Depth=2
	v_add_u32_e32 v6, 7, v10
	v_cmp_lt_u64_e32 vcc, s[48:49], v[2:3]
	v_cndmask_b32_e32 v6, v9, v6, vcc
	v_cndmask_b32_e64 v9, 0, 1, vcc
	v_lshrrev_b64 v[2:3], v9, v[2:3]
; %bb.1662:                             ;   in Loop: Header=BB2_1481 Depth=2
	s_andn2_saveexec_b64 s[24:25], s[24:25]
; %bb.1663:                             ;   in Loop: Header=BB2_1481 Depth=2
	v_bfe_u32 v6, v2, 23, 1
; %bb.1664:                             ;   in Loop: Header=BB2_1481 Depth=2
	s_or_b64 exec, exec, s[24:25]
	v_lshrrev_b64 v[2:3], 20, v[2:3]
	v_cmp_gt_i32_e32 vcc, 16, v6
	v_cndmask_b32_e32 v3, 0, v3, vcc
	v_cndmask_b32_e32 v2, 7, v2, vcc
	v_cmp_eq_u64_e64 s[24:25], 0, v[2:3]
	v_min_i32_e32 v3, 15, v6
	v_cmp_eq_u32_e32 vcc, 0, v6
	v_lshlrev_b32_e32 v3, 3, v3
	v_and_or_b32 v2, v2, 7, v3
	s_and_b64 s[24:25], vcc, s[24:25]
	v_cndmask_b32_e64 v2, v2, 0, s[24:25]
	v_or_b32_e32 v31, v2, v5
.LBB2_1665:                             ;   in Loop: Header=BB2_1481 Depth=2
	s_or_b64 exec, exec, s[64:65]
.LBB2_1666:                             ;   in Loop: Header=BB2_1481 Depth=2
	s_or_b64 exec, exec, s[62:63]
                                        ; implicit-def: $vgpr2
.LBB2_1667:                             ;   in Loop: Header=BB2_1481 Depth=2
	s_andn2_saveexec_b64 s[24:25], s[60:61]
; %bb.1668:                             ;   in Loop: Header=BB2_1481 Depth=2
	v_or_b32_sdwa v2, v2, s74 dst_sel:DWORD dst_unused:UNUSED_PAD src0_sel:BYTE_3 src1_sel:DWORD
	v_cmp_eq_u64_e32 vcc, 0, v[38:39]
	v_cndmask_b32_e32 v31, v2, v31, vcc
; %bb.1669:                             ;   in Loop: Header=BB2_1481 Depth=2
	s_or_b64 exec, exec, s[24:25]
	v_lshrrev_b32_e32 v2, 16, v12
	v_cmp_ne_u16_sdwa vcc, v2, v39 src0_sel:BYTE_0 src1_sel:DWORD
	v_mov_b32_e32 v3, 0
	s_and_saveexec_b64 s[24:25], vcc
	s_cbranch_execz .LBB2_1675
; %bb.1670:                             ;   in Loop: Header=BB2_1481 Depth=2
	v_cmp_ne_u16_sdwa vcc, v2, s75 src0_sel:BYTE_0 src1_sel:DWORD
	v_bfrev_b32_e32 v3, 1
	s_and_saveexec_b64 s[60:61], vcc
	s_cbranch_execz .LBB2_1674
; %bb.1671:                             ;   in Loop: Header=BB2_1481 Depth=2
	v_bfe_u32 v5, v12, 16, 7
	v_cmp_ne_u32_e32 vcc, s74, v5
	v_mov_b32_e32 v3, 0x7f800001
	s_and_saveexec_b64 s[62:63], vcc
	s_cbranch_execz .LBB2_1673
; %bb.1672:                             ;   in Loop: Header=BB2_1481 Depth=2
	v_and_b32_e32 v3, 7, v2
	v_ffbh_u32_e32 v9, v3
	v_min_u32_e32 v9, 32, v9
	v_subrev_u32_e32 v10, 28, v9
	v_lshlrev_b64 v[10:11], v10, v[2:3]
	v_lshrrev_b32_e32 v6, 3, v5
	v_sub_u32_e32 v9, 29, v9
	v_and_b32_e32 v10, 7, v10
	v_cmp_gt_u32_e32 vcc, 8, v5
	v_cndmask_b32_e32 v5, v6, v9, vcc
	v_cndmask_b32_e32 v3, v3, v10, vcc
	v_lshlrev_b32_e32 v2, 24, v2
	v_lshlrev_b32_e32 v3, 20, v3
	v_and_b32_e32 v2, 0x80000000, v2
	v_lshl_add_u32 v5, v5, 23, v20
	v_or3_b32 v3, v2, v5, v3
.LBB2_1673:                             ;   in Loop: Header=BB2_1481 Depth=2
	s_or_b64 exec, exec, s[62:63]
.LBB2_1674:                             ;   in Loop: Header=BB2_1481 Depth=2
	s_or_b64 exec, exec, s[60:61]
.LBB2_1675:                             ;   in Loop: Header=BB2_1481 Depth=2
	s_or_b64 exec, exec, s[24:25]
	v_mul_f32_e32 v3, v7, v3
	v_and_b32_sdwa v5, v3, s75 dst_sel:DWORD dst_unused:UNUSED_PAD src0_sel:BYTE_3 src1_sel:DWORD
	v_and_b32_e32 v10, 0x7f800000, v3
	v_mov_b32_e32 v11, v39
	v_and_b32_e32 v38, 0x7fffff, v3
	v_or_b32_e32 v2, 0x7e, v5
	v_cmp_ne_u64_e32 vcc, s[42:43], v[10:11]
	s_and_saveexec_b64 s[24:25], vcc
	s_xor_b64 s[60:61], exec, s[24:25]
	s_cbranch_execz .LBB2_1685
; %bb.1676:                             ;   in Loop: Header=BB2_1481 Depth=2
	v_and_b32_e32 v10, 0x7fffffff, v3
	v_mov_b32_e32 v11, v39
	v_cmp_gt_u64_e32 vcc, s[44:45], v[10:11]
	s_and_saveexec_b64 s[62:63], vcc
	s_cbranch_execz .LBB2_1684
; %bb.1677:                             ;   in Loop: Header=BB2_1481 Depth=2
	v_cmp_ne_u32_e32 vcc, 0, v3
	v_mov_b32_e32 v2, 0
	s_and_saveexec_b64 s[64:65], vcc
	s_cbranch_execz .LBB2_1683
; %bb.1678:                             ;   in Loop: Header=BB2_1481 Depth=2
	v_bfe_u32 v2, v3, 23, 8
	v_sub_u32_e32 v6, 0x79, v2
	v_cmp_gt_u32_e32 vcc, s76, v2
	v_cndmask_b32_e32 v6, 0, v6, vcc
	v_cmp_eq_u32_e32 vcc, 0, v2
	v_add_u32_e32 v3, 0xffffff81, v2
	v_or_b32_e32 v9, 0x800000, v38
	v_mov_b32_e32 v2, 0xffffff82
	v_cndmask_b32_e32 v6, v6, v18, vcc
	v_cndmask_b32_e32 v10, v3, v2, vcc
	;; [unrolled: 1-line block ×3, first 2 shown]
	v_add_u32_e32 v2, 20, v6
	v_lshlrev_b64 v[2:3], v2, -1
	v_add_u32_e32 v9, 19, v6
	v_lshrrev_b64 v[24:25], v6, v[38:39]
	v_not_b32_e32 v3, v3
	v_not_b32_e32 v2, v2
	v_lshlrev_b64 v[22:23], v9, 1
	v_lshrrev_b32_e32 v9, 23, v24
	v_and_b32_e32 v3, 0, v3
	v_and_b32_e32 v2, v38, v2
	v_add3_u32 v10, v6, v10, v9
	v_bfe_u32 v6, v24, 20, 1
	v_add_u32_e32 v6, -1, v6
	v_cmp_eq_u64_e32 vcc, v[2:3], v[22:23]
	v_cndmask_b32_e32 v2, 0, v6, vcc
	v_add_u32_e32 v2, v2, v24
	v_and_b32_e32 v2, 0xfffff, v2
	v_add_co_u32_e32 v2, vcc, v2, v24
	v_add_u32_e32 v9, 6, v10
	v_addc_co_u32_e32 v3, vcc, 0, v25, vcc
	v_cmp_ne_u32_e32 vcc, 0, v9
                                        ; implicit-def: $vgpr6
	s_and_saveexec_b64 s[24:25], vcc
	s_xor_b64 s[24:25], exec, s[24:25]
; %bb.1679:                             ;   in Loop: Header=BB2_1481 Depth=2
	v_add_u32_e32 v6, 7, v10
	v_cmp_lt_u64_e32 vcc, s[48:49], v[2:3]
	v_cndmask_b32_e32 v6, v9, v6, vcc
	v_cndmask_b32_e64 v9, 0, 1, vcc
	v_lshrrev_b64 v[2:3], v9, v[2:3]
; %bb.1680:                             ;   in Loop: Header=BB2_1481 Depth=2
	s_andn2_saveexec_b64 s[24:25], s[24:25]
; %bb.1681:                             ;   in Loop: Header=BB2_1481 Depth=2
	v_bfe_u32 v6, v2, 23, 1
; %bb.1682:                             ;   in Loop: Header=BB2_1481 Depth=2
	s_or_b64 exec, exec, s[24:25]
	v_lshrrev_b64 v[2:3], 20, v[2:3]
	v_cmp_gt_i32_e32 vcc, 16, v6
	v_cndmask_b32_e32 v3, 0, v3, vcc
	v_cndmask_b32_e32 v2, 7, v2, vcc
	v_cmp_eq_u64_e64 s[24:25], 0, v[2:3]
	v_min_i32_e32 v3, 15, v6
	v_cmp_eq_u32_e32 vcc, 0, v6
	v_lshlrev_b32_e32 v3, 3, v3
	v_and_or_b32 v2, v2, 7, v3
	s_and_b64 s[24:25], vcc, s[24:25]
	v_cndmask_b32_e64 v2, v2, 0, s[24:25]
	v_or_b32_e32 v2, v2, v5
.LBB2_1683:                             ;   in Loop: Header=BB2_1481 Depth=2
	s_or_b64 exec, exec, s[64:65]
.LBB2_1684:                             ;   in Loop: Header=BB2_1481 Depth=2
	s_or_b64 exec, exec, s[62:63]
                                        ; implicit-def: $vgpr3
.LBB2_1685:                             ;   in Loop: Header=BB2_1481 Depth=2
	s_andn2_saveexec_b64 s[24:25], s[60:61]
; %bb.1686:                             ;   in Loop: Header=BB2_1481 Depth=2
	v_or_b32_sdwa v3, v3, s74 dst_sel:DWORD dst_unused:UNUSED_PAD src0_sel:BYTE_3 src1_sel:DWORD
	v_cmp_eq_u64_e32 vcc, 0, v[38:39]
	v_cndmask_b32_e32 v2, v3, v2, vcc
; %bb.1687:                             ;   in Loop: Header=BB2_1481 Depth=2
	s_or_b64 exec, exec, s[24:25]
	v_cmp_lt_u32_e32 vcc, s47, v12
	v_mov_b32_e32 v3, 0
	s_and_saveexec_b64 s[24:25], vcc
	s_cbranch_execz .LBB2_1693
; %bb.1688:                             ;   in Loop: Header=BB2_1481 Depth=2
	v_lshrrev_b32_e32 v10, 24, v12
	v_cmp_ne_u32_e32 vcc, s75, v10
	v_bfrev_b32_e32 v3, 1
	s_and_saveexec_b64 s[60:61], vcc
	s_cbranch_execz .LBB2_1692
; %bb.1689:                             ;   in Loop: Header=BB2_1481 Depth=2
	v_bfe_u32 v5, v12, 24, 7
	v_cmp_ne_u32_e32 vcc, s74, v5
	v_mov_b32_e32 v3, 0x7f800001
	s_and_saveexec_b64 s[62:63], vcc
	s_cbranch_execz .LBB2_1691
; %bb.1690:                             ;   in Loop: Header=BB2_1481 Depth=2
	v_and_b32_e32 v3, 7, v10
	v_ffbh_u32_e32 v9, v3
	v_min_u32_e32 v9, 32, v9
	v_subrev_u32_e32 v11, 28, v9
	v_lshlrev_b64 v[22:23], v11, v[10:11]
	v_lshrrev_b32_e32 v6, 3, v5
	v_sub_u32_e32 v9, 29, v9
	v_and_b32_e32 v11, 7, v22
	v_cmp_gt_u32_e32 vcc, 8, v5
	v_cndmask_b32_e32 v5, v6, v9, vcc
	v_cndmask_b32_e32 v3, v3, v11, vcc
	v_lshlrev_b32_e32 v6, 24, v10
	v_lshlrev_b32_e32 v3, 20, v3
	v_and_b32_e32 v6, 0x80000000, v6
	v_lshl_add_u32 v5, v5, 23, v20
	v_or3_b32 v3, v6, v5, v3
.LBB2_1691:                             ;   in Loop: Header=BB2_1481 Depth=2
	s_or_b64 exec, exec, s[62:63]
.LBB2_1692:                             ;   in Loop: Header=BB2_1481 Depth=2
	s_or_b64 exec, exec, s[60:61]
.LBB2_1693:                             ;   in Loop: Header=BB2_1481 Depth=2
	s_or_b64 exec, exec, s[24:25]
	v_mul_f32_e32 v5, v7, v3
	v_and_b32_sdwa v3, v5, s75 dst_sel:DWORD dst_unused:UNUSED_PAD src0_sel:BYTE_3 src1_sel:DWORD
	v_and_b32_e32 v10, 0x7f800000, v5
	v_mov_b32_e32 v11, v39
	v_and_b32_e32 v38, 0x7fffff, v5
	v_or_b32_e32 v6, 0x7e, v3
	v_cmp_ne_u64_e32 vcc, s[42:43], v[10:11]
	s_and_saveexec_b64 s[24:25], vcc
	s_xor_b64 s[60:61], exec, s[24:25]
	s_cbranch_execz .LBB2_1703
; %bb.1694:                             ;   in Loop: Header=BB2_1481 Depth=2
	v_and_b32_e32 v10, 0x7fffffff, v5
	v_mov_b32_e32 v11, v39
	v_cmp_gt_u64_e32 vcc, s[44:45], v[10:11]
	s_and_saveexec_b64 s[62:63], vcc
	s_cbranch_execz .LBB2_1702
; %bb.1695:                             ;   in Loop: Header=BB2_1481 Depth=2
	v_cmp_ne_u32_e32 vcc, 0, v5
	v_mov_b32_e32 v6, 0
	s_and_saveexec_b64 s[64:65], vcc
	s_cbranch_execz .LBB2_1701
; %bb.1696:                             ;   in Loop: Header=BB2_1481 Depth=2
	v_bfe_u32 v5, v5, 23, 8
	v_sub_u32_e32 v9, 0x79, v5
	v_cmp_gt_u32_e32 vcc, s76, v5
	v_add_u32_e32 v6, 0xffffff81, v5
	v_cndmask_b32_e32 v9, 0, v9, vcc
	v_cmp_eq_u32_e32 vcc, 0, v5
	v_mov_b32_e32 v5, 0xffffff82
	v_cndmask_b32_e32 v5, v6, v5, vcc
	v_cndmask_b32_e32 v6, v9, v18, vcc
	v_or_b32_e32 v10, 0x800000, v38
	v_add_u32_e32 v9, 20, v6
	v_cndmask_b32_e32 v38, v10, v38, vcc
	v_lshlrev_b64 v[10:11], v9, -1
	v_not_b32_e32 v9, v11
	v_and_b32_e32 v11, 0, v9
	v_add_u32_e32 v9, 19, v6
	v_lshrrev_b64 v[24:25], v6, v[38:39]
	v_not_b32_e32 v10, v10
	v_lshlrev_b64 v[22:23], v9, 1
	v_lshrrev_b32_e32 v9, 23, v24
	v_and_b32_e32 v10, v38, v10
	v_add3_u32 v9, v6, v5, v9
	v_bfe_u32 v5, v24, 20, 1
	v_add_u32_e32 v5, -1, v5
	v_cmp_eq_u64_e32 vcc, v[10:11], v[22:23]
	v_cndmask_b32_e32 v5, 0, v5, vcc
	v_add_u32_e32 v5, v5, v24
	v_and_b32_e32 v5, 0xfffff, v5
	v_add_co_u32_e32 v10, vcc, v5, v24
	v_add_u32_e32 v6, 6, v9
	v_addc_co_u32_e32 v11, vcc, 0, v25, vcc
	v_cmp_ne_u32_e32 vcc, 0, v6
                                        ; implicit-def: $vgpr5
	s_and_saveexec_b64 s[24:25], vcc
	s_xor_b64 s[24:25], exec, s[24:25]
; %bb.1697:                             ;   in Loop: Header=BB2_1481 Depth=2
	v_add_u32_e32 v5, 7, v9
	v_cmp_lt_u64_e32 vcc, s[48:49], v[10:11]
	v_cndmask_b32_e32 v5, v6, v5, vcc
	v_cndmask_b32_e64 v6, 0, 1, vcc
	v_lshrrev_b64 v[10:11], v6, v[10:11]
; %bb.1698:                             ;   in Loop: Header=BB2_1481 Depth=2
	s_andn2_saveexec_b64 s[24:25], s[24:25]
; %bb.1699:                             ;   in Loop: Header=BB2_1481 Depth=2
	v_bfe_u32 v5, v10, 23, 1
; %bb.1700:                             ;   in Loop: Header=BB2_1481 Depth=2
	s_or_b64 exec, exec, s[24:25]
	v_lshrrev_b64 v[10:11], 20, v[10:11]
	v_cmp_gt_i32_e32 vcc, 16, v5
	v_cndmask_b32_e32 v11, 0, v11, vcc
	v_cndmask_b32_e32 v10, 7, v10, vcc
	v_cmp_eq_u32_e32 vcc, 0, v5
	v_min_i32_e32 v5, 15, v5
	v_cmp_eq_u64_e64 s[24:25], 0, v[10:11]
	v_lshlrev_b32_e32 v5, 3, v5
	v_and_or_b32 v5, v10, 7, v5
	s_and_b64 s[24:25], vcc, s[24:25]
	v_cndmask_b32_e64 v5, v5, 0, s[24:25]
	v_or_b32_e32 v6, v5, v3
.LBB2_1701:                             ;   in Loop: Header=BB2_1481 Depth=2
	s_or_b64 exec, exec, s[64:65]
.LBB2_1702:                             ;   in Loop: Header=BB2_1481 Depth=2
	s_or_b64 exec, exec, s[62:63]
                                        ; implicit-def: $vgpr5
.LBB2_1703:                             ;   in Loop: Header=BB2_1481 Depth=2
	s_andn2_saveexec_b64 s[24:25], s[60:61]
; %bb.1704:                             ;   in Loop: Header=BB2_1481 Depth=2
	v_or_b32_sdwa v3, v5, s74 dst_sel:DWORD dst_unused:UNUSED_PAD src0_sel:BYTE_3 src1_sel:DWORD
	v_cmp_eq_u64_e32 vcc, 0, v[38:39]
	v_cndmask_b32_e32 v6, v3, v6, vcc
; %bb.1705:                             ;   in Loop: Header=BB2_1481 Depth=2
	s_or_b64 exec, exec, s[24:25]
	v_mov_b32_e32 v38, v13
	v_cmp_ne_u16_sdwa vcc, v13, v39 src0_sel:BYTE_0 src1_sel:DWORD
	v_mov_b32_e32 v3, 0
	s_and_saveexec_b64 s[24:25], vcc
	s_cbranch_execz .LBB2_1711
; %bb.1706:                             ;   in Loop: Header=BB2_1481 Depth=2
	v_cmp_ne_u16_sdwa vcc, v13, s75 src0_sel:BYTE_0 src1_sel:DWORD
	v_bfrev_b32_e32 v3, 1
	s_and_saveexec_b64 s[60:61], vcc
	s_cbranch_execz .LBB2_1710
; %bb.1707:                             ;   in Loop: Header=BB2_1481 Depth=2
	v_and_b32_e32 v5, 0x7f, v13
	v_cmp_ne_u32_e32 vcc, s74, v5
	v_mov_b32_e32 v3, 0x7f800001
	s_and_saveexec_b64 s[62:63], vcc
	s_cbranch_execz .LBB2_1709
; %bb.1708:                             ;   in Loop: Header=BB2_1481 Depth=2
	v_and_b32_e32 v3, 7, v13
	v_ffbh_u32_e32 v3, v3
	v_min_u32_e32 v3, 32, v3
	v_subrev_u32_e32 v10, 28, v3
	v_cmp_gt_u32_e32 vcc, 8, v5
	v_lshrrev_b32_e32 v9, 3, v5
	v_cndmask_b32_e32 v5, 0, v10, vcc
	v_sub_u32_e32 v3, 29, v3
	v_lshlrev_b64 v[10:11], v5, v[38:39]
	v_cndmask_b32_e32 v3, v9, v3, vcc
	v_lshlrev_b32_e32 v5, 20, v10
	v_lshlrev_b32_e32 v9, 24, v38
	v_and_b32_e32 v5, 0x700000, v5
	v_and_b32_e32 v9, 0x80000000, v9
	v_lshl_add_u32 v3, v3, 23, v20
	v_or3_b32 v3, v9, v3, v5
.LBB2_1709:                             ;   in Loop: Header=BB2_1481 Depth=2
	s_or_b64 exec, exec, s[62:63]
.LBB2_1710:                             ;   in Loop: Header=BB2_1481 Depth=2
	s_or_b64 exec, exec, s[60:61]
.LBB2_1711:                             ;   in Loop: Header=BB2_1481 Depth=2
	s_or_b64 exec, exec, s[24:25]
	v_mul_f32_e32 v9, v7, v3
	v_and_b32_sdwa v3, v9, s75 dst_sel:DWORD dst_unused:UNUSED_PAD src0_sel:BYTE_3 src1_sel:DWORD
	v_and_b32_e32 v22, 0x7f800000, v9
	v_mov_b32_e32 v23, v39
	v_and_b32_e32 v10, 0x7fffff, v9
	v_mov_b32_e32 v11, v39
	v_or_b32_e32 v5, 0x7e, v3
	v_cmp_ne_u64_e32 vcc, s[42:43], v[22:23]
	s_and_saveexec_b64 s[24:25], vcc
	s_xor_b64 s[60:61], exec, s[24:25]
	s_cbranch_execz .LBB2_1721
; %bb.1712:                             ;   in Loop: Header=BB2_1481 Depth=2
	v_and_b32_e32 v22, 0x7fffffff, v9
	v_mov_b32_e32 v23, v39
	v_cmp_gt_u64_e32 vcc, s[44:45], v[22:23]
	s_and_saveexec_b64 s[62:63], vcc
	s_cbranch_execz .LBB2_1720
; %bb.1713:                             ;   in Loop: Header=BB2_1481 Depth=2
	v_cmp_ne_u32_e32 vcc, 0, v9
	v_mov_b32_e32 v5, 0
	s_and_saveexec_b64 s[64:65], vcc
	s_cbranch_execz .LBB2_1719
; %bb.1714:                             ;   in Loop: Header=BB2_1481 Depth=2
	v_bfe_u32 v5, v9, 23, 8
	v_sub_u32_e32 v22, 0x79, v5
	v_cmp_gt_u32_e32 vcc, s76, v5
	v_add_u32_e32 v9, 0xffffff81, v5
	v_cndmask_b32_e32 v22, 0, v22, vcc
	v_cmp_eq_u32_e32 vcc, 0, v5
	v_mov_b32_e32 v5, 0xffffff82
	v_cndmask_b32_e32 v5, v9, v5, vcc
	v_cndmask_b32_e32 v9, v22, v18, vcc
	v_or_b32_e32 v23, 0x800000, v10
	v_add_u32_e32 v22, 20, v9
	v_cndmask_b32_e32 v10, v23, v10, vcc
	v_lshlrev_b64 v[22:23], v22, -1
	v_not_b32_e32 v22, v22
	v_and_b32_e32 v22, v10, v22
	v_add_u32_e32 v24, 19, v9
	v_lshrrev_b64 v[10:11], v9, v[10:11]
	v_not_b32_e32 v23, v23
	v_lshlrev_b64 v[50:51], v24, 1
	v_lshrrev_b32_e32 v24, 23, v10
	v_and_b32_e32 v23, 0, v23
	v_add3_u32 v24, v9, v5, v24
	v_bfe_u32 v5, v10, 20, 1
	v_add_u32_e32 v5, -1, v5
	v_cmp_eq_u64_e32 vcc, v[22:23], v[50:51]
	v_cndmask_b32_e32 v5, 0, v5, vcc
	v_add_u32_e32 v5, v5, v10
	v_and_b32_e32 v5, 0xfffff, v5
	v_add_co_u32_e32 v10, vcc, v5, v10
	v_add_u32_e32 v9, 6, v24
	v_addc_co_u32_e32 v11, vcc, 0, v11, vcc
	v_cmp_ne_u32_e32 vcc, 0, v9
                                        ; implicit-def: $vgpr5
	s_and_saveexec_b64 s[24:25], vcc
	s_xor_b64 s[24:25], exec, s[24:25]
; %bb.1715:                             ;   in Loop: Header=BB2_1481 Depth=2
	v_add_u32_e32 v5, 7, v24
	v_cmp_lt_u64_e32 vcc, s[48:49], v[10:11]
	v_cndmask_b32_e32 v5, v9, v5, vcc
	v_cndmask_b32_e64 v9, 0, 1, vcc
	v_lshrrev_b64 v[10:11], v9, v[10:11]
; %bb.1716:                             ;   in Loop: Header=BB2_1481 Depth=2
	s_andn2_saveexec_b64 s[24:25], s[24:25]
; %bb.1717:                             ;   in Loop: Header=BB2_1481 Depth=2
	v_bfe_u32 v5, v10, 23, 1
; %bb.1718:                             ;   in Loop: Header=BB2_1481 Depth=2
	s_or_b64 exec, exec, s[24:25]
	v_lshrrev_b64 v[10:11], 20, v[10:11]
	v_cmp_gt_i32_e32 vcc, 16, v5
	v_cndmask_b32_e32 v11, 0, v11, vcc
	v_cndmask_b32_e32 v10, 7, v10, vcc
	v_cmp_eq_u32_e32 vcc, 0, v5
	v_min_i32_e32 v5, 15, v5
	v_cmp_eq_u64_e64 s[24:25], 0, v[10:11]
	v_lshlrev_b32_e32 v5, 3, v5
	v_and_or_b32 v5, v10, 7, v5
	s_and_b64 s[24:25], vcc, s[24:25]
	v_cndmask_b32_e64 v5, v5, 0, s[24:25]
	v_or_b32_e32 v5, v5, v3
.LBB2_1719:                             ;   in Loop: Header=BB2_1481 Depth=2
	s_or_b64 exec, exec, s[64:65]
.LBB2_1720:                             ;   in Loop: Header=BB2_1481 Depth=2
	s_or_b64 exec, exec, s[62:63]
                                        ; implicit-def: $vgpr9
                                        ; implicit-def: $vgpr10_vgpr11
.LBB2_1721:                             ;   in Loop: Header=BB2_1481 Depth=2
	s_andn2_saveexec_b64 s[24:25], s[60:61]
; %bb.1722:                             ;   in Loop: Header=BB2_1481 Depth=2
	v_or_b32_sdwa v3, v9, s74 dst_sel:DWORD dst_unused:UNUSED_PAD src0_sel:BYTE_3 src1_sel:DWORD
	v_cmp_eq_u64_e32 vcc, 0, v[10:11]
	v_cndmask_b32_e32 v5, v3, v5, vcc
; %bb.1723:                             ;   in Loop: Header=BB2_1481 Depth=2
	s_or_b64 exec, exec, s[24:25]
	v_lshrrev_b16_e32 v10, 8, v38
	v_cmp_ne_u16_e32 vcc, 0, v10
	v_mov_b32_e32 v3, 0
	s_and_saveexec_b64 s[24:25], vcc
	s_cbranch_execz .LBB2_1729
; %bb.1724:                             ;   in Loop: Header=BB2_1481 Depth=2
	v_cmp_ne_u16_e32 vcc, s75, v10
	v_bfrev_b32_e32 v3, 1
	s_and_saveexec_b64 s[60:61], vcc
	s_cbranch_execz .LBB2_1728
; %bb.1725:                             ;   in Loop: Header=BB2_1481 Depth=2
	v_and_b32_e32 v9, 0x7f, v10
	v_cmp_ne_u32_e32 vcc, s74, v9
	v_mov_b32_e32 v3, 0x7f800001
	s_and_saveexec_b64 s[62:63], vcc
	s_cbranch_execz .LBB2_1727
; %bb.1726:                             ;   in Loop: Header=BB2_1481 Depth=2
	v_and_b32_e32 v3, 7, v10
	v_ffbh_u32_e32 v11, v3
	v_min_u32_e32 v23, 32, v11
	v_subrev_u32_e32 v11, 28, v23
	v_lshlrev_b64 v[10:11], v11, v[10:11]
	v_lshrrev_b32_e32 v22, 3, v9
	v_sub_u32_e32 v11, 29, v23
	v_and_b32_e32 v10, 7, v10
	v_cmp_gt_u32_e32 vcc, 8, v9
	v_cndmask_b32_e32 v9, v22, v11, vcc
	v_cndmask_b32_e32 v3, v3, v10, vcc
	v_lshlrev_b32_e32 v10, 16, v38
	v_lshlrev_b32_e32 v3, 20, v3
	v_and_b32_e32 v10, 0x80000000, v10
	v_lshl_add_u32 v9, v9, 23, v20
	v_or3_b32 v3, v10, v9, v3
.LBB2_1727:                             ;   in Loop: Header=BB2_1481 Depth=2
	s_or_b64 exec, exec, s[62:63]
.LBB2_1728:                             ;   in Loop: Header=BB2_1481 Depth=2
	s_or_b64 exec, exec, s[60:61]
.LBB2_1729:                             ;   in Loop: Header=BB2_1481 Depth=2
	s_or_b64 exec, exec, s[24:25]
	v_mul_f32_e32 v10, v7, v3
	v_and_b32_sdwa v3, v10, s75 dst_sel:DWORD dst_unused:UNUSED_PAD src0_sel:BYTE_3 src1_sel:DWORD
	v_and_b32_e32 v22, 0x7f800000, v10
	v_mov_b32_e32 v23, v39
	v_and_b32_e32 v38, 0x7fffff, v10
	v_or_b32_e32 v9, 0x7e, v3
	v_cmp_ne_u64_e32 vcc, s[42:43], v[22:23]
	s_and_saveexec_b64 s[24:25], vcc
	s_xor_b64 s[60:61], exec, s[24:25]
	s_cbranch_execz .LBB2_1739
; %bb.1730:                             ;   in Loop: Header=BB2_1481 Depth=2
	v_and_b32_e32 v22, 0x7fffffff, v10
	v_mov_b32_e32 v23, v39
	v_cmp_gt_u64_e32 vcc, s[44:45], v[22:23]
	s_and_saveexec_b64 s[62:63], vcc
	s_cbranch_execz .LBB2_1738
; %bb.1731:                             ;   in Loop: Header=BB2_1481 Depth=2
	v_cmp_ne_u32_e32 vcc, 0, v10
	v_mov_b32_e32 v9, 0
	s_and_saveexec_b64 s[64:65], vcc
	s_cbranch_execz .LBB2_1737
; %bb.1732:                             ;   in Loop: Header=BB2_1481 Depth=2
	v_bfe_u32 v9, v10, 23, 8
	v_sub_u32_e32 v11, 0x79, v9
	v_cmp_gt_u32_e32 vcc, s76, v9
	v_cndmask_b32_e32 v11, 0, v11, vcc
	v_cmp_eq_u32_e32 vcc, 0, v9
	v_add_u32_e32 v10, 0xffffff81, v9
	v_or_b32_e32 v22, 0x800000, v38
	v_mov_b32_e32 v9, 0xffffff82
	v_cndmask_b32_e32 v24, v11, v18, vcc
	v_cndmask_b32_e32 v9, v10, v9, vcc
	;; [unrolled: 1-line block ×3, first 2 shown]
	v_add_u32_e32 v10, 20, v24
	v_lshlrev_b64 v[10:11], v10, -1
	v_lshrrev_b64 v[50:51], v24, v[38:39]
	v_not_b32_e32 v11, v11
	v_not_b32_e32 v10, v10
	v_add_u32_e32 v22, 19, v24
	v_lshrrev_b32_e32 v25, 23, v50
	v_and_b32_e32 v11, 0, v11
	v_and_b32_e32 v10, v38, v10
	v_lshlrev_b64 v[22:23], v22, 1
	v_add3_u32 v25, v24, v9, v25
	v_bfe_u32 v9, v50, 20, 1
	v_add_u32_e32 v9, -1, v9
	v_cmp_eq_u64_e32 vcc, v[10:11], v[22:23]
	v_cndmask_b32_e32 v9, 0, v9, vcc
	v_add_u32_e32 v9, v9, v50
	v_and_b32_e32 v9, 0xfffff, v9
	v_add_co_u32_e32 v10, vcc, v9, v50
	v_add_u32_e32 v24, 6, v25
	v_addc_co_u32_e32 v11, vcc, 0, v51, vcc
	v_cmp_ne_u32_e32 vcc, 0, v24
                                        ; implicit-def: $vgpr9
	s_and_saveexec_b64 s[24:25], vcc
	s_xor_b64 s[24:25], exec, s[24:25]
; %bb.1733:                             ;   in Loop: Header=BB2_1481 Depth=2
	v_cmp_lt_u64_e32 vcc, s[48:49], v[10:11]
	v_add_u32_e32 v9, 7, v25
	v_cndmask_b32_e64 v22, 0, 1, vcc
	v_cndmask_b32_e32 v9, v24, v9, vcc
	v_lshrrev_b64 v[10:11], v22, v[10:11]
; %bb.1734:                             ;   in Loop: Header=BB2_1481 Depth=2
	s_andn2_saveexec_b64 s[24:25], s[24:25]
; %bb.1735:                             ;   in Loop: Header=BB2_1481 Depth=2
	v_bfe_u32 v9, v10, 23, 1
; %bb.1736:                             ;   in Loop: Header=BB2_1481 Depth=2
	s_or_b64 exec, exec, s[24:25]
	v_lshrrev_b64 v[10:11], 20, v[10:11]
	v_cmp_gt_i32_e32 vcc, 16, v9
	v_cndmask_b32_e32 v11, 0, v11, vcc
	v_cndmask_b32_e32 v10, 7, v10, vcc
	v_cmp_eq_u32_e32 vcc, 0, v9
	v_min_i32_e32 v9, 15, v9
	v_lshlrev_b32_e32 v9, 3, v9
	v_cmp_eq_u64_e64 s[24:25], 0, v[10:11]
	v_and_b32_e32 v9, 0xf8, v9
	v_and_or_b32 v9, v10, 7, v9
	s_and_b64 s[24:25], vcc, s[24:25]
	v_cndmask_b32_e64 v9, v9, 0, s[24:25]
	v_or_b32_e32 v9, v9, v3
.LBB2_1737:                             ;   in Loop: Header=BB2_1481 Depth=2
	s_or_b64 exec, exec, s[64:65]
.LBB2_1738:                             ;   in Loop: Header=BB2_1481 Depth=2
	s_or_b64 exec, exec, s[62:63]
                                        ; implicit-def: $vgpr10
.LBB2_1739:                             ;   in Loop: Header=BB2_1481 Depth=2
	s_andn2_saveexec_b64 s[24:25], s[60:61]
; %bb.1740:                             ;   in Loop: Header=BB2_1481 Depth=2
	v_or_b32_sdwa v3, v10, s74 dst_sel:DWORD dst_unused:UNUSED_PAD src0_sel:BYTE_3 src1_sel:DWORD
	v_cmp_eq_u64_e32 vcc, 0, v[38:39]
	v_cndmask_b32_e32 v9, v3, v9, vcc
; %bb.1741:                             ;   in Loop: Header=BB2_1481 Depth=2
	s_or_b64 exec, exec, s[24:25]
	v_lshrrev_b32_e32 v10, 16, v13
	v_cmp_ne_u16_sdwa vcc, v10, v39 src0_sel:BYTE_0 src1_sel:DWORD
	v_mov_b32_e32 v3, 0
	s_and_saveexec_b64 s[24:25], vcc
	s_cbranch_execz .LBB2_1747
; %bb.1742:                             ;   in Loop: Header=BB2_1481 Depth=2
	v_cmp_ne_u16_sdwa vcc, v10, s75 src0_sel:BYTE_0 src1_sel:DWORD
	v_bfrev_b32_e32 v3, 1
	s_and_saveexec_b64 s[60:61], vcc
	s_cbranch_execz .LBB2_1746
; %bb.1743:                             ;   in Loop: Header=BB2_1481 Depth=2
	v_bfe_u32 v11, v13, 16, 7
	v_cmp_ne_u32_e32 vcc, s74, v11
	v_mov_b32_e32 v3, 0x7f800001
	s_and_saveexec_b64 s[62:63], vcc
	s_cbranch_execz .LBB2_1745
; %bb.1744:                             ;   in Loop: Header=BB2_1481 Depth=2
	v_and_b32_e32 v3, 7, v10
	v_ffbh_u32_e32 v22, v3
	v_min_u32_e32 v25, 32, v22
	v_subrev_u32_e32 v22, 28, v25
	v_lshlrev_b64 v[22:23], v22, v[10:11]
	v_lshrrev_b32_e32 v24, 3, v11
	v_sub_u32_e32 v23, 29, v25
	v_and_b32_e32 v22, 7, v22
	v_cmp_gt_u32_e32 vcc, 8, v11
	v_cndmask_b32_e32 v11, v24, v23, vcc
	v_cndmask_b32_e32 v3, v3, v22, vcc
	v_lshlrev_b32_e32 v10, 24, v10
	v_lshlrev_b32_e32 v3, 20, v3
	v_and_b32_e32 v10, 0x80000000, v10
	v_lshl_add_u32 v11, v11, 23, v20
	v_or3_b32 v3, v10, v11, v3
.LBB2_1745:                             ;   in Loop: Header=BB2_1481 Depth=2
	s_or_b64 exec, exec, s[62:63]
.LBB2_1746:                             ;   in Loop: Header=BB2_1481 Depth=2
	s_or_b64 exec, exec, s[60:61]
.LBB2_1747:                             ;   in Loop: Header=BB2_1481 Depth=2
	s_or_b64 exec, exec, s[24:25]
	v_mul_f32_e32 v10, v7, v3
	v_and_b32_sdwa v3, v10, s75 dst_sel:DWORD dst_unused:UNUSED_PAD src0_sel:BYTE_3 src1_sel:DWORD
	v_and_b32_e32 v22, 0x7f800000, v10
	v_mov_b32_e32 v23, v39
	v_and_b32_e32 v38, 0x7fffff, v10
	v_or_b32_e32 v30, 0x7e, v3
	v_cmp_ne_u64_e32 vcc, s[42:43], v[22:23]
	s_and_saveexec_b64 s[24:25], vcc
	s_xor_b64 s[60:61], exec, s[24:25]
	s_cbranch_execz .LBB2_1757
; %bb.1748:                             ;   in Loop: Header=BB2_1481 Depth=2
	v_and_b32_e32 v22, 0x7fffffff, v10
	v_mov_b32_e32 v23, v39
	v_cmp_gt_u64_e32 vcc, s[44:45], v[22:23]
	s_and_saveexec_b64 s[62:63], vcc
	s_cbranch_execz .LBB2_1756
; %bb.1749:                             ;   in Loop: Header=BB2_1481 Depth=2
	v_cmp_ne_u32_e32 vcc, 0, v10
	v_mov_b32_e32 v30, 0
	s_and_saveexec_b64 s[64:65], vcc
	s_cbranch_execz .LBB2_1755
; %bb.1750:                             ;   in Loop: Header=BB2_1481 Depth=2
	v_bfe_u32 v10, v10, 23, 8
	v_sub_u32_e32 v22, 0x79, v10
	v_cmp_gt_u32_e32 vcc, s76, v10
	v_cndmask_b32_e32 v22, 0, v22, vcc
	v_cmp_eq_u32_e32 vcc, 0, v10
	v_add_u32_e32 v11, 0xffffff81, v10
	v_or_b32_e32 v23, 0x800000, v38
	v_mov_b32_e32 v10, 0xffffff82
	v_cndmask_b32_e32 v25, v22, v18, vcc
	v_cndmask_b32_e32 v24, v11, v10, vcc
	;; [unrolled: 1-line block ×3, first 2 shown]
	v_add_u32_e32 v10, 20, v25
	v_lshlrev_b64 v[10:11], v10, -1
	v_lshrrev_b64 v[50:51], v25, v[38:39]
	v_not_b32_e32 v11, v11
	v_not_b32_e32 v10, v10
	v_add_u32_e32 v22, 19, v25
	v_lshrrev_b32_e32 v30, 23, v50
	v_and_b32_e32 v11, 0, v11
	v_and_b32_e32 v10, v38, v10
	v_lshlrev_b64 v[22:23], v22, 1
	v_add3_u32 v30, v25, v24, v30
	v_bfe_u32 v24, v50, 20, 1
	v_add_u32_e32 v24, -1, v24
	v_cmp_eq_u64_e32 vcc, v[10:11], v[22:23]
	v_cndmask_b32_e32 v10, 0, v24, vcc
	v_add_u32_e32 v10, v10, v50
	v_and_b32_e32 v10, 0xfffff, v10
	v_add_co_u32_e32 v10, vcc, v10, v50
	v_add_u32_e32 v25, 6, v30
	v_addc_co_u32_e32 v11, vcc, 0, v51, vcc
	v_cmp_ne_u32_e32 vcc, 0, v25
                                        ; implicit-def: $vgpr24
	s_and_saveexec_b64 s[24:25], vcc
	s_xor_b64 s[24:25], exec, s[24:25]
; %bb.1751:                             ;   in Loop: Header=BB2_1481 Depth=2
	v_add_u32_e32 v22, 7, v30
	v_cmp_lt_u64_e32 vcc, s[48:49], v[10:11]
	v_cndmask_b32_e32 v24, v25, v22, vcc
	v_cndmask_b32_e64 v22, 0, 1, vcc
	v_lshrrev_b64 v[10:11], v22, v[10:11]
; %bb.1752:                             ;   in Loop: Header=BB2_1481 Depth=2
	s_andn2_saveexec_b64 s[24:25], s[24:25]
; %bb.1753:                             ;   in Loop: Header=BB2_1481 Depth=2
	v_bfe_u32 v24, v10, 23, 1
; %bb.1754:                             ;   in Loop: Header=BB2_1481 Depth=2
	s_or_b64 exec, exec, s[24:25]
	v_lshrrev_b64 v[10:11], 20, v[10:11]
	v_cmp_gt_i32_e32 vcc, 16, v24
	v_cndmask_b32_e32 v11, 0, v11, vcc
	v_cndmask_b32_e32 v10, 7, v10, vcc
	v_cmp_eq_u64_e64 s[24:25], 0, v[10:11]
	v_min_i32_e32 v11, 15, v24
	v_lshlrev_b32_e32 v11, 3, v11
	v_cmp_eq_u32_e32 vcc, 0, v24
	v_and_b32_e32 v11, 0xf8, v11
	v_and_or_b32 v10, v10, 7, v11
	s_and_b64 s[24:25], vcc, s[24:25]
	v_cndmask_b32_e64 v10, v10, 0, s[24:25]
	v_or_b32_e32 v30, v10, v3
.LBB2_1755:                             ;   in Loop: Header=BB2_1481 Depth=2
	s_or_b64 exec, exec, s[64:65]
.LBB2_1756:                             ;   in Loop: Header=BB2_1481 Depth=2
	s_or_b64 exec, exec, s[62:63]
                                        ; implicit-def: $vgpr10
.LBB2_1757:                             ;   in Loop: Header=BB2_1481 Depth=2
	s_andn2_saveexec_b64 s[24:25], s[60:61]
; %bb.1758:                             ;   in Loop: Header=BB2_1481 Depth=2
	v_or_b32_sdwa v3, v10, s74 dst_sel:DWORD dst_unused:UNUSED_PAD src0_sel:BYTE_3 src1_sel:DWORD
	v_cmp_eq_u64_e32 vcc, 0, v[38:39]
	v_cndmask_b32_e32 v30, v3, v30, vcc
; %bb.1759:                             ;   in Loop: Header=BB2_1481 Depth=2
	s_or_b64 exec, exec, s[24:25]
	v_cmp_lt_u64_e32 vcc, s[46:47], v[12:13]
	v_mov_b32_e32 v3, 0
	s_and_saveexec_b64 s[24:25], vcc
	s_cbranch_execz .LBB2_1765
; %bb.1760:                             ;   in Loop: Header=BB2_1481 Depth=2
	v_lshrrev_b32_e32 v10, 24, v13
	v_cmp_ne_u32_e32 vcc, s75, v10
	v_bfrev_b32_e32 v3, 1
	s_and_saveexec_b64 s[60:61], vcc
	s_cbranch_execz .LBB2_1764
; %bb.1761:                             ;   in Loop: Header=BB2_1481 Depth=2
	v_bfe_u32 v11, v13, 24, 7
	v_cmp_ne_u32_e32 vcc, s74, v11
	v_mov_b32_e32 v3, 0x7f800001
	s_and_saveexec_b64 s[62:63], vcc
	s_cbranch_execz .LBB2_1763
; %bb.1762:                             ;   in Loop: Header=BB2_1481 Depth=2
	v_and_b32_e32 v3, 7, v10
	v_ffbh_u32_e32 v12, v3
	v_min_u32_e32 v23, 32, v12
	v_subrev_u32_e32 v12, 28, v23
	v_lshlrev_b64 v[12:13], v12, v[10:11]
	v_lshrrev_b32_e32 v22, 3, v11
	v_sub_u32_e32 v13, 29, v23
	v_and_b32_e32 v12, 7, v12
	v_cmp_gt_u32_e32 vcc, 8, v11
	v_cndmask_b32_e32 v11, v22, v13, vcc
	v_cndmask_b32_e32 v3, v3, v12, vcc
	v_lshlrev_b32_e32 v10, 24, v10
	v_lshlrev_b32_e32 v3, 20, v3
	v_and_b32_e32 v10, 0x80000000, v10
	v_lshl_add_u32 v11, v11, 23, v20
	v_or3_b32 v3, v10, v11, v3
.LBB2_1763:                             ;   in Loop: Header=BB2_1481 Depth=2
	s_or_b64 exec, exec, s[62:63]
.LBB2_1764:                             ;   in Loop: Header=BB2_1481 Depth=2
	s_or_b64 exec, exec, s[60:61]
.LBB2_1765:                             ;   in Loop: Header=BB2_1481 Depth=2
	s_or_b64 exec, exec, s[24:25]
	v_mul_f32_e32 v7, v7, v3
	v_and_b32_sdwa v3, v7, s75 dst_sel:DWORD dst_unused:UNUSED_PAD src0_sel:BYTE_3 src1_sel:DWORD
	v_and_b32_e32 v10, 0x7f800000, v7
	v_mov_b32_e32 v11, v39
	v_and_b32_e32 v38, 0x7fffff, v7
	v_or_b32_e32 v33, 0x7e, v3
	v_cmp_ne_u64_e32 vcc, s[42:43], v[10:11]
	s_and_saveexec_b64 s[24:25], vcc
	s_xor_b64 s[60:61], exec, s[24:25]
	s_cbranch_execz .LBB2_1775
; %bb.1766:                             ;   in Loop: Header=BB2_1481 Depth=2
	v_and_b32_e32 v10, 0x7fffffff, v7
	v_mov_b32_e32 v11, v39
	v_cmp_gt_u64_e32 vcc, s[44:45], v[10:11]
	s_and_saveexec_b64 s[62:63], vcc
	s_cbranch_execz .LBB2_1774
; %bb.1767:                             ;   in Loop: Header=BB2_1481 Depth=2
	v_cmp_ne_u32_e32 vcc, 0, v7
	v_mov_b32_e32 v33, 0
	s_and_saveexec_b64 s[64:65], vcc
	s_cbranch_execz .LBB2_1773
; %bb.1768:                             ;   in Loop: Header=BB2_1481 Depth=2
	v_bfe_u32 v7, v7, 23, 8
	v_sub_u32_e32 v11, 0x79, v7
	v_cmp_gt_u32_e32 vcc, s76, v7
	v_cndmask_b32_e32 v11, 0, v11, vcc
	v_cmp_eq_u32_e32 vcc, 0, v7
	v_add_u32_e32 v10, 0xffffff81, v7
	v_or_b32_e32 v12, 0x800000, v38
	v_mov_b32_e32 v7, 0xffffff82
	v_cndmask_b32_e32 v13, v11, v18, vcc
	v_cndmask_b32_e32 v7, v10, v7, vcc
	;; [unrolled: 1-line block ×3, first 2 shown]
	v_add_u32_e32 v10, 20, v13
	v_lshlrev_b64 v[10:11], v10, -1
	v_add_u32_e32 v12, 19, v13
	v_lshrrev_b64 v[24:25], v13, v[38:39]
	v_not_b32_e32 v11, v11
	v_not_b32_e32 v10, v10
	v_lshlrev_b64 v[22:23], v12, 1
	v_lshrrev_b32_e32 v12, 23, v24
	v_and_b32_e32 v11, 0, v11
	v_and_b32_e32 v10, v38, v10
	v_add3_u32 v13, v13, v7, v12
	v_bfe_u32 v7, v24, 20, 1
	v_add_u32_e32 v7, -1, v7
	v_cmp_eq_u64_e32 vcc, v[10:11], v[22:23]
	v_cndmask_b32_e32 v7, 0, v7, vcc
	v_add_u32_e32 v7, v7, v24
	v_and_b32_e32 v7, 0xfffff, v7
	v_add_co_u32_e32 v10, vcc, v7, v24
	v_add_u32_e32 v12, 6, v13
	v_addc_co_u32_e32 v11, vcc, 0, v25, vcc
	v_cmp_ne_u32_e32 vcc, 0, v12
                                        ; implicit-def: $vgpr7
	s_and_saveexec_b64 s[24:25], vcc
	s_xor_b64 s[24:25], exec, s[24:25]
; %bb.1769:                             ;   in Loop: Header=BB2_1481 Depth=2
	v_add_u32_e32 v7, 7, v13
	v_cmp_lt_u64_e32 vcc, s[48:49], v[10:11]
	v_cndmask_b32_e32 v7, v12, v7, vcc
	v_cndmask_b32_e64 v12, 0, 1, vcc
	v_lshrrev_b64 v[10:11], v12, v[10:11]
; %bb.1770:                             ;   in Loop: Header=BB2_1481 Depth=2
	s_andn2_saveexec_b64 s[24:25], s[24:25]
; %bb.1771:                             ;   in Loop: Header=BB2_1481 Depth=2
	v_bfe_u32 v7, v10, 23, 1
; %bb.1772:                             ;   in Loop: Header=BB2_1481 Depth=2
	s_or_b64 exec, exec, s[24:25]
	v_lshrrev_b64 v[10:11], 20, v[10:11]
	v_cmp_gt_i32_e32 vcc, 16, v7
	v_cndmask_b32_e32 v11, 0, v11, vcc
	v_cndmask_b32_e32 v10, 7, v10, vcc
	v_cmp_eq_u32_e32 vcc, 0, v7
	v_min_i32_e32 v7, 15, v7
	v_lshlrev_b32_e32 v7, 3, v7
	v_cmp_eq_u64_e64 s[24:25], 0, v[10:11]
	v_and_b32_e32 v7, 0xf8, v7
	v_and_or_b32 v7, v10, 7, v7
	s_and_b64 s[24:25], vcc, s[24:25]
	v_cndmask_b32_e64 v7, v7, 0, s[24:25]
	v_or_b32_e32 v33, v7, v3
.LBB2_1773:                             ;   in Loop: Header=BB2_1481 Depth=2
	s_or_b64 exec, exec, s[64:65]
.LBB2_1774:                             ;   in Loop: Header=BB2_1481 Depth=2
	s_or_b64 exec, exec, s[62:63]
                                        ; implicit-def: $vgpr7
.LBB2_1775:                             ;   in Loop: Header=BB2_1481 Depth=2
	s_andn2_saveexec_b64 s[24:25], s[60:61]
; %bb.1776:                             ;   in Loop: Header=BB2_1481 Depth=2
	v_or_b32_sdwa v3, v7, s74 dst_sel:DWORD dst_unused:UNUSED_PAD src0_sel:BYTE_3 src1_sel:DWORD
	v_cmp_eq_u64_e32 vcc, 0, v[38:39]
	v_cndmask_b32_e32 v33, v3, v33, vcc
; %bb.1777:                             ;   in Loop: Header=BB2_1481 Depth=2
	s_or_b64 exec, exec, s[24:25]
	global_load_dwordx4 v[10:13], v[42:43], off glc slc
	v_lshlrev_b32_e32 v3, 8, v21
	v_cmp_ne_u16_sdwa vcc, v4, v39 src0_sel:BYTE_0 src1_sel:DWORD
	v_mov_b32_e32 v7, 0
	v_mov_b32_e32 v21, 0
	s_and_saveexec_b64 s[24:25], vcc
	s_cbranch_execz .LBB2_1783
; %bb.1778:                             ;   in Loop: Header=BB2_1481 Depth=2
	v_cmp_ne_u16_sdwa vcc, v4, s75 src0_sel:BYTE_0 src1_sel:DWORD
	v_bfrev_b32_e32 v21, 1
	s_and_saveexec_b64 s[60:61], vcc
	s_cbranch_execz .LBB2_1782
; %bb.1779:                             ;   in Loop: Header=BB2_1481 Depth=2
	v_and_b32_e32 v24, 0x7f, v4
	v_cmp_ne_u32_e32 vcc, s74, v24
	v_mov_b32_e32 v21, 0x7f800001
	s_and_saveexec_b64 s[62:63], vcc
	s_cbranch_execz .LBB2_1781
; %bb.1780:                             ;   in Loop: Header=BB2_1481 Depth=2
	v_and_b32_e32 v21, 7, v4
	v_ffbh_u32_e32 v21, v21
	v_min_u32_e32 v21, 32, v21
	v_lshrrev_b32_e32 v23, 3, v24
	v_subrev_u32_e32 v25, 28, v21
	v_sub_u32_e32 v21, 29, v21
	v_cmp_gt_u32_e32 vcc, 8, v24
	v_perm_b32 v22, v3, v4, s77
	v_cndmask_b32_e32 v21, v23, v21, vcc
	v_cndmask_b32_e32 v23, 0, v25, vcc
	v_lshlrev_b64 v[22:23], v23, v[22:23]
	v_lshlrev_b32_e32 v22, 20, v22
	v_lshlrev_b32_e32 v4, 24, v4
	v_and_b32_e32 v22, 0x700000, v22
	v_and_b32_e32 v4, 0x80000000, v4
	v_lshl_add_u32 v21, v21, 23, v20
	v_or3_b32 v21, v4, v21, v22
.LBB2_1781:                             ;   in Loop: Header=BB2_1481 Depth=2
	s_or_b64 exec, exec, s[62:63]
.LBB2_1782:                             ;   in Loop: Header=BB2_1481 Depth=2
	s_or_b64 exec, exec, s[60:61]
.LBB2_1783:                             ;   in Loop: Header=BB2_1481 Depth=2
	s_or_b64 exec, exec, s[24:25]
	s_waitcnt vmcnt(0)
	v_cmp_ne_u16_sdwa vcc, v10, v39 src0_sel:BYTE_0 src1_sel:DWORD
	s_and_saveexec_b64 s[24:25], vcc
	s_cbranch_execz .LBB2_1789
; %bb.1784:                             ;   in Loop: Header=BB2_1481 Depth=2
	v_cmp_ne_u16_sdwa vcc, v10, s75 src0_sel:BYTE_0 src1_sel:DWORD
	v_bfrev_b32_e32 v7, 1
	s_and_saveexec_b64 s[60:61], vcc
	s_cbranch_execz .LBB2_1788
; %bb.1785:                             ;   in Loop: Header=BB2_1481 Depth=2
	v_and_b32_e32 v4, 0x7f, v10
	v_cmp_ne_u32_e32 vcc, s74, v4
	v_mov_b32_e32 v7, 0x7f800001
	s_and_saveexec_b64 s[62:63], vcc
	s_cbranch_execz .LBB2_1787
; %bb.1786:                             ;   in Loop: Header=BB2_1481 Depth=2
	v_and_b32_e32 v7, 7, v10
	v_ffbh_u32_e32 v7, v7
	v_min_u32_e32 v7, 32, v7
	v_lshrrev_b32_e32 v22, 3, v4
	v_subrev_u32_e32 v23, 28, v7
	v_sub_u32_e32 v7, 29, v7
	v_cmp_gt_u32_e32 vcc, 8, v4
	v_cndmask_b32_e32 v4, v22, v7, vcc
	v_cndmask_b32_e32 v7, 0, v23, vcc
	v_lshlrev_b64 v[22:23], v7, v[10:11]
	v_lshlrev_b32_e32 v7, 20, v22
	v_lshlrev_b32_e32 v22, 24, v10
	v_and_b32_e32 v7, 0x700000, v7
	v_and_b32_e32 v22, 0x80000000, v22
	v_lshl_add_u32 v4, v4, 23, v20
	v_or3_b32 v7, v22, v4, v7
.LBB2_1787:                             ;   in Loop: Header=BB2_1481 Depth=2
	s_or_b64 exec, exec, s[62:63]
.LBB2_1788:                             ;   in Loop: Header=BB2_1481 Depth=2
	s_or_b64 exec, exec, s[60:61]
.LBB2_1789:                             ;   in Loop: Header=BB2_1481 Depth=2
	s_or_b64 exec, exec, s[24:25]
	v_add_f32_e32 v21, v21, v7
	v_and_b32_sdwa v7, v21, s75 dst_sel:DWORD dst_unused:UNUSED_PAD src0_sel:BYTE_3 src1_sel:DWORD
	v_and_b32_e32 v22, 0x7f800000, v21
	v_mov_b32_e32 v23, v39
	v_and_b32_e32 v38, 0x7fffff, v21
	v_or_b32_e32 v4, 0x7e, v7
	v_cmp_ne_u64_e32 vcc, s[42:43], v[22:23]
	s_and_saveexec_b64 s[24:25], vcc
	s_xor_b64 s[60:61], exec, s[24:25]
	s_cbranch_execz .LBB2_1799
; %bb.1790:                             ;   in Loop: Header=BB2_1481 Depth=2
	v_and_b32_e32 v22, 0x7fffffff, v21
	v_mov_b32_e32 v23, v39
	v_cmp_gt_u64_e32 vcc, s[44:45], v[22:23]
	s_and_saveexec_b64 s[62:63], vcc
	s_cbranch_execz .LBB2_1798
; %bb.1791:                             ;   in Loop: Header=BB2_1481 Depth=2
	v_cmp_ne_u32_e32 vcc, 0, v21
	v_mov_b32_e32 v4, 0
	s_and_saveexec_b64 s[64:65], vcc
	s_cbranch_execz .LBB2_1797
; %bb.1792:                             ;   in Loop: Header=BB2_1481 Depth=2
	v_bfe_u32 v4, v21, 23, 8
	v_sub_u32_e32 v22, 0x79, v4
	v_cmp_gt_u32_e32 vcc, s76, v4
	v_add_u32_e32 v21, 0xffffff81, v4
	v_cndmask_b32_e32 v22, 0, v22, vcc
	v_cmp_eq_u32_e32 vcc, 0, v4
	v_mov_b32_e32 v4, 0xffffff82
	v_or_b32_e32 v23, 0x800000, v38
	v_cndmask_b32_e32 v4, v21, v4, vcc
	v_cndmask_b32_e32 v21, v22, v18, vcc
	v_cndmask_b32_e32 v38, v23, v38, vcc
	v_add_u32_e32 v22, 20, v21
	v_lshlrev_b64 v[22:23], v22, -1
	v_lshrrev_b64 v[50:51], v21, v[38:39]
	v_not_b32_e32 v23, v23
	v_not_b32_e32 v22, v22
	v_add_u32_e32 v24, 19, v21
	v_lshrrev_b32_e32 v37, 23, v50
	v_and_b32_e32 v23, 0, v23
	v_and_b32_e32 v22, v38, v22
	v_lshlrev_b64 v[24:25], v24, 1
	v_add3_u32 v37, v21, v4, v37
	v_bfe_u32 v4, v50, 20, 1
	v_add_u32_e32 v4, -1, v4
	v_cmp_eq_u64_e32 vcc, v[22:23], v[24:25]
	v_cndmask_b32_e32 v4, 0, v4, vcc
	v_add_u32_e32 v4, v4, v50
	v_and_b32_e32 v4, 0xfffff, v4
	v_add_co_u32_e32 v24, vcc, v4, v50
	v_add_u32_e32 v21, 6, v37
	v_addc_co_u32_e32 v25, vcc, 0, v51, vcc
	v_cmp_ne_u32_e32 vcc, 0, v21
                                        ; implicit-def: $vgpr4
	s_and_saveexec_b64 s[24:25], vcc
	s_xor_b64 s[24:25], exec, s[24:25]
; %bb.1793:                             ;   in Loop: Header=BB2_1481 Depth=2
	v_add_u32_e32 v4, 7, v37
	v_cmp_lt_u64_e32 vcc, s[48:49], v[24:25]
	v_cndmask_b32_e32 v4, v21, v4, vcc
	v_cndmask_b32_e64 v21, 0, 1, vcc
	v_lshrrev_b64 v[24:25], v21, v[24:25]
; %bb.1794:                             ;   in Loop: Header=BB2_1481 Depth=2
	s_andn2_saveexec_b64 s[24:25], s[24:25]
; %bb.1795:                             ;   in Loop: Header=BB2_1481 Depth=2
	v_bfe_u32 v4, v24, 23, 1
; %bb.1796:                             ;   in Loop: Header=BB2_1481 Depth=2
	s_or_b64 exec, exec, s[24:25]
	v_lshrrev_b64 v[22:23], 20, v[24:25]
	v_cmp_gt_i32_e32 vcc, 16, v4
	v_cndmask_b32_e32 v23, 0, v23, vcc
	v_cndmask_b32_e32 v22, 7, v22, vcc
	v_cmp_eq_u32_e32 vcc, 0, v4
	v_min_i32_e32 v4, 15, v4
	v_cmp_eq_u64_e64 s[24:25], 0, v[22:23]
	v_lshlrev_b32_e32 v4, 3, v4
	v_and_or_b32 v4, v22, 7, v4
	s_and_b64 s[24:25], vcc, s[24:25]
	v_cndmask_b32_e64 v4, v4, 0, s[24:25]
	v_or_b32_e32 v4, v4, v7
.LBB2_1797:                             ;   in Loop: Header=BB2_1481 Depth=2
	s_or_b64 exec, exec, s[64:65]
.LBB2_1798:                             ;   in Loop: Header=BB2_1481 Depth=2
	s_or_b64 exec, exec, s[62:63]
                                        ; implicit-def: $vgpr21
.LBB2_1799:                             ;   in Loop: Header=BB2_1481 Depth=2
	s_andn2_saveexec_b64 s[24:25], s[60:61]
; %bb.1800:                             ;   in Loop: Header=BB2_1481 Depth=2
	v_or_b32_sdwa v7, v21, s74 dst_sel:DWORD dst_unused:UNUSED_PAD src0_sel:BYTE_3 src1_sel:DWORD
	v_cmp_eq_u64_e32 vcc, 0, v[38:39]
	v_cndmask_b32_e32 v4, v7, v4, vcc
; %bb.1801:                             ;   in Loop: Header=BB2_1481 Depth=2
	s_or_b64 exec, exec, s[24:25]
	v_lshrrev_b16_e32 v24, 8, v3
	v_cmp_ne_u16_e32 vcc, 0, v24
	v_mov_b32_e32 v7, 0
	v_mov_b32_e32 v21, 0
	s_and_saveexec_b64 s[24:25], vcc
	s_cbranch_execz .LBB2_1807
; %bb.1802:                             ;   in Loop: Header=BB2_1481 Depth=2
	v_cmp_ne_u16_e32 vcc, s75, v24
	v_bfrev_b32_e32 v21, 1
	s_and_saveexec_b64 s[60:61], vcc
	s_cbranch_execz .LBB2_1806
; %bb.1803:                             ;   in Loop: Header=BB2_1481 Depth=2
	v_and_b32_e32 v25, 0x7f, v24
	v_cmp_ne_u32_e32 vcc, s74, v25
	v_mov_b32_e32 v21, 0x7f800001
	s_and_saveexec_b64 s[62:63], vcc
	s_cbranch_execz .LBB2_1805
; %bb.1804:                             ;   in Loop: Header=BB2_1481 Depth=2
	v_and_b32_e32 v21, 7, v24
	v_ffbh_u32_e32 v22, v21
	v_min_u32_e32 v38, 32, v22
	v_subrev_u32_e32 v22, 28, v38
	v_lshlrev_b64 v[22:23], v22, v[24:25]
	v_lshrrev_b32_e32 v37, 3, v25
	v_sub_u32_e32 v23, 29, v38
	v_and_b32_e32 v22, 7, v22
	v_cmp_gt_u32_e32 vcc, 8, v25
	v_cndmask_b32_e32 v23, v37, v23, vcc
	v_cndmask_b32_e32 v21, v21, v22, vcc
	v_lshlrev_b32_e32 v3, 16, v3
	v_lshlrev_b32_e32 v21, 20, v21
	v_and_b32_e32 v3, 0x80000000, v3
	v_lshl_add_u32 v22, v23, 23, v20
	v_or3_b32 v21, v3, v22, v21
.LBB2_1805:                             ;   in Loop: Header=BB2_1481 Depth=2
	s_or_b64 exec, exec, s[62:63]
.LBB2_1806:                             ;   in Loop: Header=BB2_1481 Depth=2
	s_or_b64 exec, exec, s[60:61]
.LBB2_1807:                             ;   in Loop: Header=BB2_1481 Depth=2
	s_or_b64 exec, exec, s[24:25]
	v_lshrrev_b16_e32 v24, 8, v10
	v_cmp_ne_u16_e32 vcc, 0, v24
	s_and_saveexec_b64 s[24:25], vcc
	s_cbranch_execz .LBB2_1813
; %bb.1808:                             ;   in Loop: Header=BB2_1481 Depth=2
	v_cmp_ne_u16_e32 vcc, s75, v24
	v_bfrev_b32_e32 v7, 1
	s_and_saveexec_b64 s[60:61], vcc
	s_cbranch_execz .LBB2_1812
; %bb.1809:                             ;   in Loop: Header=BB2_1481 Depth=2
	v_and_b32_e32 v3, 0x7f, v24
	v_cmp_ne_u32_e32 vcc, s74, v3
	v_mov_b32_e32 v7, 0x7f800001
	s_and_saveexec_b64 s[62:63], vcc
	s_cbranch_execz .LBB2_1811
; %bb.1810:                             ;   in Loop: Header=BB2_1481 Depth=2
	v_and_b32_e32 v7, 7, v24
	v_ffbh_u32_e32 v22, v7
	v_min_u32_e32 v37, 32, v22
	v_lshrrev_b32_e32 v25, 3, v3
	v_subrev_u32_e32 v22, 28, v37
	v_lshlrev_b64 v[22:23], v22, v[24:25]
	v_sub_u32_e32 v23, 29, v37
	v_and_b32_e32 v22, 7, v22
	v_cmp_gt_u32_e32 vcc, 8, v3
	v_cndmask_b32_e32 v3, v25, v23, vcc
	v_cndmask_b32_e32 v7, v7, v22, vcc
	v_lshlrev_b32_e32 v22, 16, v10
	v_lshlrev_b32_e32 v7, 20, v7
	v_and_b32_e32 v22, 0x80000000, v22
	v_lshl_add_u32 v3, v3, 23, v20
	v_or3_b32 v7, v22, v3, v7
.LBB2_1811:                             ;   in Loop: Header=BB2_1481 Depth=2
	s_or_b64 exec, exec, s[62:63]
.LBB2_1812:                             ;   in Loop: Header=BB2_1481 Depth=2
	s_or_b64 exec, exec, s[60:61]
.LBB2_1813:                             ;   in Loop: Header=BB2_1481 Depth=2
	s_or_b64 exec, exec, s[24:25]
	v_add_f32_e32 v21, v21, v7
	v_and_b32_sdwa v3, v21, s75 dst_sel:DWORD dst_unused:UNUSED_PAD src0_sel:BYTE_3 src1_sel:DWORD
	v_and_b32_e32 v22, 0x7f800000, v21
	v_mov_b32_e32 v23, v39
	v_and_b32_e32 v38, 0x7fffff, v21
	v_or_b32_e32 v7, 0x7e, v3
	v_cmp_ne_u64_e32 vcc, s[42:43], v[22:23]
	s_and_saveexec_b64 s[24:25], vcc
	s_xor_b64 s[60:61], exec, s[24:25]
	s_cbranch_execz .LBB2_1823
; %bb.1814:                             ;   in Loop: Header=BB2_1481 Depth=2
	v_and_b32_e32 v22, 0x7fffffff, v21
	v_mov_b32_e32 v23, v39
	v_cmp_gt_u64_e32 vcc, s[44:45], v[22:23]
	s_and_saveexec_b64 s[62:63], vcc
	s_cbranch_execz .LBB2_1822
; %bb.1815:                             ;   in Loop: Header=BB2_1481 Depth=2
	v_cmp_ne_u32_e32 vcc, 0, v21
	v_mov_b32_e32 v7, 0
	s_and_saveexec_b64 s[64:65], vcc
	s_cbranch_execz .LBB2_1821
; %bb.1816:                             ;   in Loop: Header=BB2_1481 Depth=2
	v_bfe_u32 v7, v21, 23, 8
	v_sub_u32_e32 v22, 0x79, v7
	v_cmp_gt_u32_e32 vcc, s76, v7
	v_add_u32_e32 v21, 0xffffff81, v7
	v_cndmask_b32_e32 v22, 0, v22, vcc
	v_cmp_eq_u32_e32 vcc, 0, v7
	v_mov_b32_e32 v7, 0xffffff82
	v_or_b32_e32 v23, 0x800000, v38
	v_cndmask_b32_e32 v7, v21, v7, vcc
	v_cndmask_b32_e32 v21, v22, v18, vcc
	;; [unrolled: 1-line block ×3, first 2 shown]
	v_add_u32_e32 v22, 20, v21
	v_lshlrev_b64 v[22:23], v22, -1
	v_lshrrev_b64 v[50:51], v21, v[38:39]
	v_not_b32_e32 v23, v23
	v_not_b32_e32 v22, v22
	v_add_u32_e32 v24, 19, v21
	v_lshrrev_b32_e32 v37, 23, v50
	v_and_b32_e32 v23, 0, v23
	v_and_b32_e32 v22, v38, v22
	v_lshlrev_b64 v[24:25], v24, 1
	v_add3_u32 v37, v21, v7, v37
	v_bfe_u32 v7, v50, 20, 1
	v_add_u32_e32 v7, -1, v7
	v_cmp_eq_u64_e32 vcc, v[22:23], v[24:25]
	v_cndmask_b32_e32 v7, 0, v7, vcc
	v_add_u32_e32 v7, v7, v50
	v_and_b32_e32 v7, 0xfffff, v7
	v_add_co_u32_e32 v24, vcc, v7, v50
	v_add_u32_e32 v21, 6, v37
	v_addc_co_u32_e32 v25, vcc, 0, v51, vcc
	v_cmp_ne_u32_e32 vcc, 0, v21
                                        ; implicit-def: $vgpr7
	s_and_saveexec_b64 s[24:25], vcc
	s_xor_b64 s[24:25], exec, s[24:25]
; %bb.1817:                             ;   in Loop: Header=BB2_1481 Depth=2
	v_add_u32_e32 v7, 7, v37
	v_cmp_lt_u64_e32 vcc, s[48:49], v[24:25]
	v_cndmask_b32_e32 v7, v21, v7, vcc
	v_cndmask_b32_e64 v21, 0, 1, vcc
	v_lshrrev_b64 v[24:25], v21, v[24:25]
; %bb.1818:                             ;   in Loop: Header=BB2_1481 Depth=2
	s_andn2_saveexec_b64 s[24:25], s[24:25]
; %bb.1819:                             ;   in Loop: Header=BB2_1481 Depth=2
	v_bfe_u32 v7, v24, 23, 1
; %bb.1820:                             ;   in Loop: Header=BB2_1481 Depth=2
	s_or_b64 exec, exec, s[24:25]
	v_lshrrev_b64 v[22:23], 20, v[24:25]
	v_cmp_gt_i32_e32 vcc, 16, v7
	v_cndmask_b32_e32 v23, 0, v23, vcc
	v_cndmask_b32_e32 v22, 7, v22, vcc
	v_cmp_eq_u32_e32 vcc, 0, v7
	v_min_i32_e32 v7, 15, v7
	v_cmp_eq_u64_e64 s[24:25], 0, v[22:23]
	v_lshlrev_b32_e32 v7, 3, v7
	v_and_or_b32 v7, v22, 7, v7
	s_and_b64 s[24:25], vcc, s[24:25]
	v_cndmask_b32_e64 v7, v7, 0, s[24:25]
	v_or_b32_e32 v7, v7, v3
.LBB2_1821:                             ;   in Loop: Header=BB2_1481 Depth=2
	s_or_b64 exec, exec, s[64:65]
.LBB2_1822:                             ;   in Loop: Header=BB2_1481 Depth=2
	s_or_b64 exec, exec, s[62:63]
                                        ; implicit-def: $vgpr21
.LBB2_1823:                             ;   in Loop: Header=BB2_1481 Depth=2
	s_andn2_saveexec_b64 s[24:25], s[60:61]
; %bb.1824:                             ;   in Loop: Header=BB2_1481 Depth=2
	v_or_b32_sdwa v3, v21, s74 dst_sel:DWORD dst_unused:UNUSED_PAD src0_sel:BYTE_3 src1_sel:DWORD
	v_cmp_eq_u64_e32 vcc, 0, v[38:39]
	v_cndmask_b32_e32 v7, v3, v7, vcc
; %bb.1825:                             ;   in Loop: Header=BB2_1481 Depth=2
	s_or_b64 exec, exec, s[24:25]
	v_cmp_ne_u16_sdwa vcc, v48, v39 src0_sel:BYTE_0 src1_sel:DWORD
	v_mov_b32_e32 v3, 0
	v_mov_b32_e32 v21, 0
	s_and_saveexec_b64 s[24:25], vcc
	s_cbranch_execz .LBB2_1831
; %bb.1826:                             ;   in Loop: Header=BB2_1481 Depth=2
	v_cmp_ne_u16_sdwa vcc, v48, s75 src0_sel:BYTE_0 src1_sel:DWORD
	v_bfrev_b32_e32 v21, 1
	s_and_saveexec_b64 s[60:61], vcc
	s_cbranch_execz .LBB2_1830
; %bb.1827:                             ;   in Loop: Header=BB2_1481 Depth=2
	v_and_b32_e32 v24, 0x7f, v48
	v_cmp_ne_u32_e32 vcc, s74, v24
	v_mov_b32_e32 v21, 0x7f800001
	s_and_saveexec_b64 s[62:63], vcc
	s_cbranch_execz .LBB2_1829
; %bb.1828:                             ;   in Loop: Header=BB2_1481 Depth=2
	v_and_b32_e32 v21, 7, v48
	v_ffbh_u32_e32 v22, v21
	v_min_u32_e32 v37, 32, v22
	v_subrev_u32_e32 v22, 28, v37
	v_lshlrev_b64 v[22:23], v22, v[48:49]
	v_lshrrev_b32_e32 v25, 3, v24
	v_sub_u32_e32 v23, 29, v37
	v_and_b32_e32 v22, 7, v22
	v_cmp_gt_u32_e32 vcc, 8, v24
	v_cndmask_b32_e32 v23, v25, v23, vcc
	v_cndmask_b32_e32 v21, v21, v22, vcc
	v_lshlrev_b32_e32 v22, 24, v48
	v_lshlrev_b32_e32 v21, 20, v21
	v_and_b32_e32 v22, 0x80000000, v22
	v_lshl_add_u32 v23, v23, 23, v20
	v_or3_b32 v21, v22, v23, v21
.LBB2_1829:                             ;   in Loop: Header=BB2_1481 Depth=2
	s_or_b64 exec, exec, s[62:63]
.LBB2_1830:                             ;   in Loop: Header=BB2_1481 Depth=2
	s_or_b64 exec, exec, s[60:61]
.LBB2_1831:                             ;   in Loop: Header=BB2_1481 Depth=2
	s_or_b64 exec, exec, s[24:25]
	v_lshrrev_b32_e32 v24, 16, v10
	v_cmp_ne_u16_sdwa vcc, v24, v39 src0_sel:BYTE_0 src1_sel:DWORD
	s_and_saveexec_b64 s[24:25], vcc
	s_cbranch_execz .LBB2_1837
; %bb.1832:                             ;   in Loop: Header=BB2_1481 Depth=2
	v_cmp_ne_u16_sdwa vcc, v24, s75 src0_sel:BYTE_0 src1_sel:DWORD
	v_bfrev_b32_e32 v3, 1
	s_and_saveexec_b64 s[60:61], vcc
	s_cbranch_execz .LBB2_1836
; %bb.1833:                             ;   in Loop: Header=BB2_1481 Depth=2
	v_bfe_u32 v25, v10, 16, 7
	v_cmp_ne_u32_e32 vcc, s74, v25
	v_mov_b32_e32 v3, 0x7f800001
	s_and_saveexec_b64 s[62:63], vcc
	s_cbranch_execz .LBB2_1835
; %bb.1834:                             ;   in Loop: Header=BB2_1481 Depth=2
	v_and_b32_e32 v3, 7, v24
	v_ffbh_u32_e32 v22, v3
	v_min_u32_e32 v38, 32, v22
	v_subrev_u32_e32 v22, 28, v38
	v_lshlrev_b64 v[22:23], v22, v[24:25]
	v_lshrrev_b32_e32 v37, 3, v25
	v_sub_u32_e32 v23, 29, v38
	v_and_b32_e32 v22, 7, v22
	v_cmp_gt_u32_e32 vcc, 8, v25
	v_cndmask_b32_e32 v23, v37, v23, vcc
	v_cndmask_b32_e32 v3, v3, v22, vcc
	v_lshlrev_b32_e32 v22, 8, v10
	v_lshlrev_b32_e32 v3, 20, v3
	v_and_b32_e32 v22, 0x80000000, v22
	v_lshl_add_u32 v23, v23, 23, v20
	v_or3_b32 v3, v22, v23, v3
.LBB2_1835:                             ;   in Loop: Header=BB2_1481 Depth=2
	s_or_b64 exec, exec, s[62:63]
.LBB2_1836:                             ;   in Loop: Header=BB2_1481 Depth=2
	s_or_b64 exec, exec, s[60:61]
.LBB2_1837:                             ;   in Loop: Header=BB2_1481 Depth=2
	s_or_b64 exec, exec, s[24:25]
	v_add_f32_e32 v24, v21, v3
	v_and_b32_sdwa v3, v24, s75 dst_sel:DWORD dst_unused:UNUSED_PAD src0_sel:BYTE_3 src1_sel:DWORD
	v_and_b32_e32 v22, 0x7f800000, v24
	v_mov_b32_e32 v23, v39
	v_and_b32_e32 v38, 0x7fffff, v24
	v_or_b32_e32 v21, 0x7e, v3
	v_cmp_ne_u64_e32 vcc, s[42:43], v[22:23]
	s_and_saveexec_b64 s[24:25], vcc
	s_xor_b64 s[60:61], exec, s[24:25]
	s_cbranch_execz .LBB2_1847
; %bb.1838:                             ;   in Loop: Header=BB2_1481 Depth=2
	v_and_b32_e32 v22, 0x7fffffff, v24
	v_mov_b32_e32 v23, v39
	v_cmp_gt_u64_e32 vcc, s[44:45], v[22:23]
	s_and_saveexec_b64 s[62:63], vcc
	s_cbranch_execz .LBB2_1846
; %bb.1839:                             ;   in Loop: Header=BB2_1481 Depth=2
	v_cmp_ne_u32_e32 vcc, 0, v24
	v_mov_b32_e32 v21, 0
	s_and_saveexec_b64 s[64:65], vcc
	s_cbranch_execz .LBB2_1845
; %bb.1840:                             ;   in Loop: Header=BB2_1481 Depth=2
	v_bfe_u32 v21, v24, 23, 8
	v_sub_u32_e32 v23, 0x79, v21
	v_cmp_gt_u32_e32 vcc, s76, v21
	v_cndmask_b32_e32 v23, 0, v23, vcc
	v_cmp_eq_u32_e32 vcc, 0, v21
	v_add_u32_e32 v22, 0xffffff81, v21
	v_mov_b32_e32 v21, 0xffffff82
	v_cndmask_b32_e32 v37, v23, v18, vcc
	v_or_b32_e32 v24, 0x800000, v38
	v_cndmask_b32_e32 v21, v22, v21, vcc
	v_add_u32_e32 v22, 20, v37
	v_cndmask_b32_e32 v38, v24, v38, vcc
	v_lshlrev_b64 v[22:23], v22, -1
	v_not_b32_e32 v22, v22
	v_lshrrev_b64 v[48:49], v37, v[38:39]
	v_not_b32_e32 v23, v23
	v_and_b32_e32 v22, v38, v22
	v_add_u32_e32 v24, 19, v37
	v_lshrrev_b32_e32 v38, 23, v48
	v_and_b32_e32 v23, 0, v23
	v_lshlrev_b64 v[24:25], v24, 1
	v_add3_u32 v38, v37, v21, v38
	v_bfe_u32 v21, v48, 20, 1
	v_add_u32_e32 v21, -1, v21
	v_cmp_eq_u64_e32 vcc, v[22:23], v[24:25]
	v_cndmask_b32_e32 v21, 0, v21, vcc
	v_add_u32_e32 v21, v21, v48
	v_and_b32_e32 v21, 0xfffff, v21
	v_add_co_u32_e32 v24, vcc, v21, v48
	v_add_u32_e32 v37, 6, v38
	v_addc_co_u32_e32 v25, vcc, 0, v49, vcc
	v_cmp_ne_u32_e32 vcc, 0, v37
                                        ; implicit-def: $vgpr21
	s_and_saveexec_b64 s[24:25], vcc
	s_xor_b64 s[24:25], exec, s[24:25]
; %bb.1841:                             ;   in Loop: Header=BB2_1481 Depth=2
	v_cmp_lt_u64_e32 vcc, s[48:49], v[24:25]
	v_add_u32_e32 v21, 7, v38
	v_cndmask_b32_e64 v22, 0, 1, vcc
	v_cndmask_b32_e32 v21, v37, v21, vcc
	v_lshrrev_b64 v[24:25], v22, v[24:25]
; %bb.1842:                             ;   in Loop: Header=BB2_1481 Depth=2
	s_andn2_saveexec_b64 s[24:25], s[24:25]
; %bb.1843:                             ;   in Loop: Header=BB2_1481 Depth=2
	v_bfe_u32 v21, v24, 23, 1
; %bb.1844:                             ;   in Loop: Header=BB2_1481 Depth=2
	s_or_b64 exec, exec, s[24:25]
	v_lshrrev_b64 v[22:23], 20, v[24:25]
	v_cmp_gt_i32_e32 vcc, 16, v21
	v_cndmask_b32_e32 v23, 0, v23, vcc
	v_cndmask_b32_e32 v22, 7, v22, vcc
	v_cmp_eq_u32_e32 vcc, 0, v21
	v_min_i32_e32 v21, 15, v21
	v_cmp_eq_u64_e64 s[24:25], 0, v[22:23]
	v_lshlrev_b32_e32 v21, 3, v21
	v_and_or_b32 v21, v22, 7, v21
	s_and_b64 s[24:25], vcc, s[24:25]
	v_cndmask_b32_e64 v21, v21, 0, s[24:25]
	v_or_b32_e32 v21, v21, v3
.LBB2_1845:                             ;   in Loop: Header=BB2_1481 Depth=2
	s_or_b64 exec, exec, s[64:65]
.LBB2_1846:                             ;   in Loop: Header=BB2_1481 Depth=2
	s_or_b64 exec, exec, s[62:63]
                                        ; implicit-def: $vgpr24
.LBB2_1847:                             ;   in Loop: Header=BB2_1481 Depth=2
	s_andn2_saveexec_b64 s[24:25], s[60:61]
; %bb.1848:                             ;   in Loop: Header=BB2_1481 Depth=2
	v_or_b32_sdwa v3, v24, s74 dst_sel:DWORD dst_unused:UNUSED_PAD src0_sel:BYTE_3 src1_sel:DWORD
	v_cmp_eq_u64_e32 vcc, 0, v[38:39]
	v_cndmask_b32_e32 v21, v3, v21, vcc
; %bb.1849:                             ;   in Loop: Header=BB2_1481 Depth=2
	s_or_b64 exec, exec, s[24:25]
	v_lshlrev_b32_e32 v3, 8, v32
	v_and_b32_e32 v24, 0xff00, v3
	v_cmp_ne_u32_e32 vcc, 0, v24
	v_mov_b32_e32 v3, 0
	v_mov_b32_e32 v25, 0
	s_and_saveexec_b64 s[24:25], vcc
	s_cbranch_execz .LBB2_1855
; %bb.1850:                             ;   in Loop: Header=BB2_1481 Depth=2
	v_cmp_ne_u32_e32 vcc, s78, v24
	v_bfrev_b32_e32 v25, 1
	s_and_saveexec_b64 s[60:61], vcc
	s_cbranch_execz .LBB2_1854
; %bb.1851:                             ;   in Loop: Header=BB2_1481 Depth=2
	v_bfe_u32 v32, v24, 8, 7
	v_cmp_ne_u32_e32 vcc, s74, v32
	v_mov_b32_e32 v25, 0x7f800001
	s_and_saveexec_b64 s[62:63], vcc
	s_cbranch_execz .LBB2_1853
; %bb.1852:                             ;   in Loop: Header=BB2_1481 Depth=2
	v_lshrrev_b32_e32 v22, 8, v24
	v_and_b32_e32 v25, 7, v22
	v_ffbh_u32_e32 v23, v25
	v_min_u32_e32 v38, 32, v23
	v_subrev_u32_e32 v23, 28, v38
	v_lshlrev_b64 v[22:23], v23, v[22:23]
	v_lshrrev_b32_e32 v37, 3, v32
	v_sub_u32_e32 v23, 29, v38
	v_and_b32_e32 v22, 7, v22
	v_cmp_gt_u32_e32 vcc, 8, v32
	v_cndmask_b32_e32 v23, v37, v23, vcc
	v_cndmask_b32_e32 v22, v25, v22, vcc
	v_lshlrev_b32_e32 v24, 16, v24
	v_lshlrev_b32_e32 v22, 20, v22
	v_and_b32_e32 v24, 0x80000000, v24
	v_lshl_add_u32 v23, v23, 23, v20
	v_or3_b32 v25, v24, v23, v22
.LBB2_1853:                             ;   in Loop: Header=BB2_1481 Depth=2
	s_or_b64 exec, exec, s[62:63]
.LBB2_1854:                             ;   in Loop: Header=BB2_1481 Depth=2
	s_or_b64 exec, exec, s[60:61]
.LBB2_1855:                             ;   in Loop: Header=BB2_1481 Depth=2
	s_or_b64 exec, exec, s[24:25]
	v_cmp_lt_u32_e32 vcc, s47, v10
	s_and_saveexec_b64 s[24:25], vcc
	s_cbranch_execz .LBB2_1861
; %bb.1856:                             ;   in Loop: Header=BB2_1481 Depth=2
	v_lshrrev_b32_e32 v24, 24, v10
	v_cmp_ne_u32_e32 vcc, s75, v24
	v_bfrev_b32_e32 v3, 1
	s_and_saveexec_b64 s[60:61], vcc
	s_cbranch_execz .LBB2_1860
; %bb.1857:                             ;   in Loop: Header=BB2_1481 Depth=2
	v_bfe_u32 v32, v10, 24, 7
	v_cmp_ne_u32_e32 vcc, s74, v32
	v_mov_b32_e32 v3, 0x7f800001
	s_and_saveexec_b64 s[62:63], vcc
	s_cbranch_execz .LBB2_1859
; %bb.1858:                             ;   in Loop: Header=BB2_1481 Depth=2
	v_and_b32_e32 v3, 7, v24
	v_ffbh_u32_e32 v22, v3
	v_min_u32_e32 v38, 32, v22
	v_subrev_u32_e32 v22, 28, v38
	v_lshlrev_b64 v[22:23], v22, v[24:25]
	v_lshrrev_b32_e32 v37, 3, v32
	v_sub_u32_e32 v23, 29, v38
	v_and_b32_e32 v22, 7, v22
	v_cmp_gt_u32_e32 vcc, 8, v32
	v_cndmask_b32_e32 v23, v37, v23, vcc
	v_cndmask_b32_e32 v3, v3, v22, vcc
	v_lshlrev_b32_e32 v22, 24, v24
	v_lshlrev_b32_e32 v3, 20, v3
	v_and_b32_e32 v22, 0x80000000, v22
	v_lshl_add_u32 v23, v23, 23, v20
	v_or3_b32 v3, v22, v23, v3
.LBB2_1859:                             ;   in Loop: Header=BB2_1481 Depth=2
	s_or_b64 exec, exec, s[62:63]
.LBB2_1860:                             ;   in Loop: Header=BB2_1481 Depth=2
	s_or_b64 exec, exec, s[60:61]
.LBB2_1861:                             ;   in Loop: Header=BB2_1481 Depth=2
	s_or_b64 exec, exec, s[24:25]
	v_add_f32_e32 v24, v25, v3
	v_and_b32_sdwa v3, v24, s75 dst_sel:DWORD dst_unused:UNUSED_PAD src0_sel:BYTE_3 src1_sel:DWORD
	v_and_b32_e32 v22, 0x7f800000, v24
	v_mov_b32_e32 v23, v39
	v_and_b32_e32 v38, 0x7fffff, v24
	v_or_b32_e32 v32, 0x7e, v3
	v_cmp_ne_u64_e32 vcc, s[42:43], v[22:23]
	s_and_saveexec_b64 s[24:25], vcc
	s_xor_b64 s[60:61], exec, s[24:25]
	s_cbranch_execz .LBB2_1871
; %bb.1862:                             ;   in Loop: Header=BB2_1481 Depth=2
	v_and_b32_e32 v22, 0x7fffffff, v24
	v_mov_b32_e32 v23, v39
	v_cmp_gt_u64_e32 vcc, s[44:45], v[22:23]
	s_and_saveexec_b64 s[62:63], vcc
	s_cbranch_execz .LBB2_1870
; %bb.1863:                             ;   in Loop: Header=BB2_1481 Depth=2
	v_cmp_ne_u32_e32 vcc, 0, v24
	v_mov_b32_e32 v32, 0
	s_and_saveexec_b64 s[64:65], vcc
	s_cbranch_execz .LBB2_1869
; %bb.1864:                             ;   in Loop: Header=BB2_1481 Depth=2
	v_bfe_u32 v22, v24, 23, 8
	v_sub_u32_e32 v24, 0x79, v22
	v_cmp_gt_u32_e32 vcc, s76, v22
	v_cndmask_b32_e32 v24, 0, v24, vcc
	v_cmp_eq_u32_e32 vcc, 0, v22
	v_add_u32_e32 v23, 0xffffff81, v22
	v_mov_b32_e32 v22, 0xffffff82
	v_cndmask_b32_e32 v37, v24, v18, vcc
	v_or_b32_e32 v25, 0x800000, v38
	v_cndmask_b32_e32 v32, v23, v22, vcc
	v_add_u32_e32 v22, 20, v37
	v_cndmask_b32_e32 v38, v25, v38, vcc
	v_lshlrev_b64 v[22:23], v22, -1
	v_not_b32_e32 v22, v22
	v_lshrrev_b64 v[48:49], v37, v[38:39]
	v_not_b32_e32 v23, v23
	v_and_b32_e32 v22, v38, v22
	v_add_u32_e32 v24, 19, v37
	v_lshrrev_b32_e32 v38, 23, v48
	v_and_b32_e32 v23, 0, v23
	v_lshlrev_b64 v[24:25], v24, 1
	v_add3_u32 v38, v37, v32, v38
	v_bfe_u32 v32, v48, 20, 1
	v_add_u32_e32 v32, -1, v32
	v_cmp_eq_u64_e32 vcc, v[22:23], v[24:25]
	v_cndmask_b32_e32 v22, 0, v32, vcc
	v_add_u32_e32 v22, v22, v48
	v_and_b32_e32 v22, 0xfffff, v22
	v_add_co_u32_e32 v24, vcc, v22, v48
	v_add_u32_e32 v37, 6, v38
	v_addc_co_u32_e32 v25, vcc, 0, v49, vcc
	v_cmp_ne_u32_e32 vcc, 0, v37
                                        ; implicit-def: $vgpr32
	s_and_saveexec_b64 s[24:25], vcc
	s_xor_b64 s[24:25], exec, s[24:25]
; %bb.1865:                             ;   in Loop: Header=BB2_1481 Depth=2
	v_add_u32_e32 v22, 7, v38
	v_cmp_lt_u64_e32 vcc, s[48:49], v[24:25]
	v_cndmask_b32_e32 v32, v37, v22, vcc
	v_cndmask_b32_e64 v22, 0, 1, vcc
	v_lshrrev_b64 v[24:25], v22, v[24:25]
; %bb.1866:                             ;   in Loop: Header=BB2_1481 Depth=2
	s_andn2_saveexec_b64 s[24:25], s[24:25]
; %bb.1867:                             ;   in Loop: Header=BB2_1481 Depth=2
	v_bfe_u32 v32, v24, 23, 1
; %bb.1868:                             ;   in Loop: Header=BB2_1481 Depth=2
	s_or_b64 exec, exec, s[24:25]
	v_lshrrev_b64 v[22:23], 20, v[24:25]
	v_cmp_gt_i32_e32 vcc, 16, v32
	v_cndmask_b32_e32 v23, 0, v23, vcc
	v_cndmask_b32_e32 v22, 7, v22, vcc
	v_cmp_eq_u64_e64 s[24:25], 0, v[22:23]
	v_min_i32_e32 v23, 15, v32
	v_cmp_eq_u32_e32 vcc, 0, v32
	v_lshlrev_b32_e32 v23, 3, v23
	v_and_or_b32 v22, v22, 7, v23
	s_and_b64 s[24:25], vcc, s[24:25]
	v_cndmask_b32_e64 v22, v22, 0, s[24:25]
	v_or_b32_e32 v32, v22, v3
.LBB2_1869:                             ;   in Loop: Header=BB2_1481 Depth=2
	s_or_b64 exec, exec, s[64:65]
.LBB2_1870:                             ;   in Loop: Header=BB2_1481 Depth=2
	s_or_b64 exec, exec, s[62:63]
                                        ; implicit-def: $vgpr24
.LBB2_1871:                             ;   in Loop: Header=BB2_1481 Depth=2
	s_andn2_saveexec_b64 s[24:25], s[60:61]
; %bb.1872:                             ;   in Loop: Header=BB2_1481 Depth=2
	v_or_b32_sdwa v3, v24, s74 dst_sel:DWORD dst_unused:UNUSED_PAD src0_sel:BYTE_3 src1_sel:DWORD
	v_cmp_eq_u64_e32 vcc, 0, v[38:39]
	v_cndmask_b32_e32 v32, v3, v32, vcc
; %bb.1873:                             ;   in Loop: Header=BB2_1481 Depth=2
	s_or_b64 exec, exec, s[24:25]
	v_lshlrev_b32_e32 v3, 8, v34
	v_lshlrev_b32_e32 v22, 24, v36
	v_perm_b32 v23, v35, v27, s79
	v_or3_b32 v38, v23, v22, v3
	v_cmp_ne_u16_sdwa vcc, v27, v39 src0_sel:BYTE_0 src1_sel:DWORD
	v_mov_b32_e32 v25, 0
	v_mov_b32_e32 v24, 0
	s_and_saveexec_b64 s[24:25], vcc
	s_cbranch_execz .LBB2_1879
; %bb.1874:                             ;   in Loop: Header=BB2_1481 Depth=2
	v_cmp_ne_u16_sdwa vcc, v27, s75 src0_sel:BYTE_0 src1_sel:DWORD
	v_bfrev_b32_e32 v24, 1
	s_and_saveexec_b64 s[60:61], vcc
	s_cbranch_execz .LBB2_1878
; %bb.1875:                             ;   in Loop: Header=BB2_1481 Depth=2
	v_and_b32_e32 v34, 0x7f, v27
	v_cmp_ne_u32_e32 vcc, s74, v34
	v_mov_b32_e32 v24, 0x7f800001
	s_and_saveexec_b64 s[62:63], vcc
	s_cbranch_execz .LBB2_1877
; %bb.1876:                             ;   in Loop: Header=BB2_1481 Depth=2
	v_and_b32_e32 v22, 7, v27
	v_ffbh_u32_e32 v22, v22
	v_min_u32_e32 v22, 32, v22
	v_lshrrev_b32_e32 v23, 3, v34
	v_subrev_u32_e32 v24, 28, v22
	v_sub_u32_e32 v22, 29, v22
	v_cmp_gt_u32_e32 vcc, 8, v34
	v_cndmask_b32_e32 v27, v23, v22, vcc
	v_cndmask_b32_e32 v22, 0, v24, vcc
	v_lshlrev_b64 v[22:23], v22, v[38:39]
	v_lshlrev_b32_e32 v22, 20, v22
	v_lshlrev_b32_e32 v23, 24, v38
	v_and_b32_e32 v22, 0x700000, v22
	v_and_b32_e32 v23, 0x80000000, v23
	v_lshl_add_u32 v24, v27, 23, v20
	v_or3_b32 v24, v23, v24, v22
.LBB2_1877:                             ;   in Loop: Header=BB2_1481 Depth=2
	s_or_b64 exec, exec, s[62:63]
.LBB2_1878:                             ;   in Loop: Header=BB2_1481 Depth=2
	s_or_b64 exec, exec, s[60:61]
.LBB2_1879:                             ;   in Loop: Header=BB2_1481 Depth=2
	s_or_b64 exec, exec, s[24:25]
	v_cmp_ne_u16_sdwa vcc, v11, v39 src0_sel:BYTE_0 src1_sel:DWORD
	s_and_saveexec_b64 s[24:25], vcc
	s_cbranch_execz .LBB2_1885
; %bb.1880:                             ;   in Loop: Header=BB2_1481 Depth=2
	v_cmp_ne_u16_sdwa vcc, v11, s75 src0_sel:BYTE_0 src1_sel:DWORD
	v_bfrev_b32_e32 v25, 1
	s_and_saveexec_b64 s[60:61], vcc
	s_cbranch_execz .LBB2_1884
; %bb.1881:                             ;   in Loop: Header=BB2_1481 Depth=2
	v_and_b32_e32 v27, 0x7f, v11
	v_cmp_ne_u32_e32 vcc, s74, v27
	v_mov_b32_e32 v25, 0x7f800001
	s_and_saveexec_b64 s[62:63], vcc
	s_cbranch_execz .LBB2_1883
; %bb.1882:                             ;   in Loop: Header=BB2_1481 Depth=2
	v_and_b32_e32 v25, 7, v11
	v_ffbh_u32_e32 v25, v25
	v_min_u32_e32 v25, 32, v25
	v_subrev_u32_e32 v35, 28, v25
	v_cmp_gt_u32_e32 vcc, 8, v27
	v_mov_b32_e32 v22, v11
	v_mov_b32_e32 v23, v39
	v_lshrrev_b32_e32 v34, 3, v27
	v_sub_u32_e32 v25, 29, v25
	v_cndmask_b32_e32 v27, 0, v35, vcc
	v_cndmask_b32_e32 v25, v34, v25, vcc
	v_lshlrev_b64 v[34:35], v27, v[22:23]
	v_lshlrev_b32_e32 v23, 20, v34
	v_lshlrev_b32_e32 v22, 24, v22
	v_and_b32_e32 v23, 0x700000, v23
	v_and_b32_e32 v22, 0x80000000, v22
	v_lshl_add_u32 v25, v25, 23, v20
	v_or3_b32 v25, v22, v25, v23
.LBB2_1883:                             ;   in Loop: Header=BB2_1481 Depth=2
	s_or_b64 exec, exec, s[62:63]
.LBB2_1884:                             ;   in Loop: Header=BB2_1481 Depth=2
	s_or_b64 exec, exec, s[60:61]
.LBB2_1885:                             ;   in Loop: Header=BB2_1481 Depth=2
	s_or_b64 exec, exec, s[24:25]
	v_add_f32_e32 v24, v24, v25
	v_and_b32_sdwa v34, v24, s75 dst_sel:DWORD dst_unused:UNUSED_PAD src0_sel:BYTE_3 src1_sel:DWORD
	v_and_b32_e32 v22, 0x7f800000, v24
	v_mov_b32_e32 v23, v39
	v_and_b32_e32 v46, 0x7fffff, v24
	v_mov_b32_e32 v47, v39
	v_or_b32_e32 v27, 0x7e, v34
	v_cmp_ne_u64_e32 vcc, s[42:43], v[22:23]
	s_and_saveexec_b64 s[24:25], vcc
	s_xor_b64 s[60:61], exec, s[24:25]
	s_cbranch_execz .LBB2_1895
; %bb.1886:                             ;   in Loop: Header=BB2_1481 Depth=2
	v_and_b32_e32 v22, 0x7fffffff, v24
	v_mov_b32_e32 v23, v39
	v_cmp_gt_u64_e32 vcc, s[44:45], v[22:23]
	s_and_saveexec_b64 s[62:63], vcc
	s_cbranch_execz .LBB2_1894
; %bb.1887:                             ;   in Loop: Header=BB2_1481 Depth=2
	v_cmp_ne_u32_e32 vcc, 0, v24
	v_mov_b32_e32 v27, 0
	s_and_saveexec_b64 s[64:65], vcc
	s_cbranch_execz .LBB2_1893
; %bb.1888:                             ;   in Loop: Header=BB2_1481 Depth=2
	v_bfe_u32 v22, v24, 23, 8
	v_sub_u32_e32 v24, 0x79, v22
	v_cmp_gt_u32_e32 vcc, s76, v22
	v_cndmask_b32_e32 v24, 0, v24, vcc
	v_cmp_eq_u32_e32 vcc, 0, v22
	v_add_u32_e32 v23, 0xffffff81, v22
	v_or_b32_e32 v25, 0x800000, v46
	v_mov_b32_e32 v22, 0xffffff82
	v_cndmask_b32_e32 v35, v24, v18, vcc
	v_cndmask_b32_e32 v27, v23, v22, vcc
	;; [unrolled: 1-line block ×3, first 2 shown]
	v_add_u32_e32 v22, 20, v35
	v_lshlrev_b64 v[22:23], v22, -1
	v_lshrrev_b64 v[48:49], v35, v[46:47]
	v_not_b32_e32 v23, v23
	v_not_b32_e32 v22, v22
	v_add_u32_e32 v24, 19, v35
	v_lshrrev_b32_e32 v36, 23, v48
	v_and_b32_e32 v23, 0, v23
	v_and_b32_e32 v22, v46, v22
	v_lshlrev_b64 v[24:25], v24, 1
	v_add3_u32 v36, v35, v27, v36
	v_bfe_u32 v27, v48, 20, 1
	v_add_u32_e32 v27, -1, v27
	v_cmp_eq_u64_e32 vcc, v[22:23], v[24:25]
	v_cndmask_b32_e32 v22, 0, v27, vcc
	v_add_u32_e32 v22, v22, v48
	v_and_b32_e32 v22, 0xfffff, v22
	v_add_co_u32_e32 v24, vcc, v22, v48
	v_add_u32_e32 v35, 6, v36
	v_addc_co_u32_e32 v25, vcc, 0, v49, vcc
	v_cmp_ne_u32_e32 vcc, 0, v35
                                        ; implicit-def: $vgpr27
	s_and_saveexec_b64 s[24:25], vcc
	s_xor_b64 s[24:25], exec, s[24:25]
; %bb.1889:                             ;   in Loop: Header=BB2_1481 Depth=2
	v_add_u32_e32 v22, 7, v36
	v_cmp_lt_u64_e32 vcc, s[48:49], v[24:25]
	v_cndmask_b32_e32 v27, v35, v22, vcc
	v_cndmask_b32_e64 v22, 0, 1, vcc
	v_lshrrev_b64 v[24:25], v22, v[24:25]
; %bb.1890:                             ;   in Loop: Header=BB2_1481 Depth=2
	s_andn2_saveexec_b64 s[24:25], s[24:25]
; %bb.1891:                             ;   in Loop: Header=BB2_1481 Depth=2
	v_bfe_u32 v27, v24, 23, 1
; %bb.1892:                             ;   in Loop: Header=BB2_1481 Depth=2
	s_or_b64 exec, exec, s[24:25]
	v_lshrrev_b64 v[22:23], 20, v[24:25]
	v_cmp_gt_i32_e32 vcc, 16, v27
	v_cndmask_b32_e32 v23, 0, v23, vcc
	v_cndmask_b32_e32 v22, 7, v22, vcc
	v_cmp_eq_u64_e64 s[24:25], 0, v[22:23]
	v_min_i32_e32 v23, 15, v27
	v_cmp_eq_u32_e32 vcc, 0, v27
	v_lshlrev_b32_e32 v23, 3, v23
	v_and_or_b32 v22, v22, 7, v23
	s_and_b64 s[24:25], vcc, s[24:25]
	v_cndmask_b32_e64 v22, v22, 0, s[24:25]
	v_or_b32_e32 v27, v22, v34
.LBB2_1893:                             ;   in Loop: Header=BB2_1481 Depth=2
	s_or_b64 exec, exec, s[64:65]
.LBB2_1894:                             ;   in Loop: Header=BB2_1481 Depth=2
	s_or_b64 exec, exec, s[62:63]
                                        ; implicit-def: $vgpr24
                                        ; implicit-def: $vgpr46_vgpr47
.LBB2_1895:                             ;   in Loop: Header=BB2_1481 Depth=2
	s_andn2_saveexec_b64 s[24:25], s[60:61]
; %bb.1896:                             ;   in Loop: Header=BB2_1481 Depth=2
	v_or_b32_sdwa v22, v24, s74 dst_sel:DWORD dst_unused:UNUSED_PAD src0_sel:BYTE_3 src1_sel:DWORD
	v_cmp_eq_u64_e32 vcc, 0, v[46:47]
	v_cndmask_b32_e32 v27, v22, v27, vcc
; %bb.1897:                             ;   in Loop: Header=BB2_1481 Depth=2
	s_or_b64 exec, exec, s[24:25]
	v_lshrrev_b16_e32 v24, 8, v3
	v_cmp_ne_u16_e32 vcc, 0, v24
	v_mov_b32_e32 v25, 0
	v_mov_b32_e32 v34, 0
	s_and_saveexec_b64 s[24:25], vcc
	s_cbranch_execz .LBB2_1903
; %bb.1898:                             ;   in Loop: Header=BB2_1481 Depth=2
	v_cmp_ne_u16_e32 vcc, s75, v24
	v_bfrev_b32_e32 v34, 1
	s_and_saveexec_b64 s[60:61], vcc
	s_cbranch_execz .LBB2_1902
; %bb.1899:                             ;   in Loop: Header=BB2_1481 Depth=2
	v_and_b32_e32 v35, 0x7f, v24
	v_cmp_ne_u32_e32 vcc, s74, v35
	v_mov_b32_e32 v34, 0x7f800001
	s_and_saveexec_b64 s[62:63], vcc
	s_cbranch_execz .LBB2_1901
; %bb.1900:                             ;   in Loop: Header=BB2_1481 Depth=2
	v_and_b32_e32 v34, 7, v24
	v_ffbh_u32_e32 v22, v34
	v_min_u32_e32 v37, 32, v22
	v_subrev_u32_e32 v22, 28, v37
	v_lshlrev_b64 v[22:23], v22, v[24:25]
	v_lshrrev_b32_e32 v36, 3, v35
	v_sub_u32_e32 v23, 29, v37
	v_and_b32_e32 v22, 7, v22
	v_cmp_gt_u32_e32 vcc, 8, v35
	v_cndmask_b32_e32 v23, v36, v23, vcc
	v_cndmask_b32_e32 v22, v34, v22, vcc
	v_lshlrev_b32_e32 v3, 16, v3
	v_lshlrev_b32_e32 v22, 20, v22
	v_and_b32_e32 v3, 0x80000000, v3
	v_lshl_add_u32 v23, v23, 23, v20
	v_or3_b32 v34, v3, v23, v22
.LBB2_1901:                             ;   in Loop: Header=BB2_1481 Depth=2
	s_or_b64 exec, exec, s[62:63]
.LBB2_1902:                             ;   in Loop: Header=BB2_1481 Depth=2
	s_or_b64 exec, exec, s[60:61]
.LBB2_1903:                             ;   in Loop: Header=BB2_1481 Depth=2
	s_or_b64 exec, exec, s[24:25]
	v_mov_b32_e32 v24, v11
	v_lshrrev_b16_e32 v48, 8, v24
	v_cmp_ne_u16_e32 vcc, 0, v48
	s_and_saveexec_b64 s[24:25], vcc
	s_cbranch_execz .LBB2_1909
; %bb.1904:                             ;   in Loop: Header=BB2_1481 Depth=2
	v_cmp_ne_u16_e32 vcc, s75, v48
	v_bfrev_b32_e32 v25, 1
	s_and_saveexec_b64 s[60:61], vcc
	s_cbranch_execz .LBB2_1908
; %bb.1905:                             ;   in Loop: Header=BB2_1481 Depth=2
	v_and_b32_e32 v3, 0x7f, v48
	v_cmp_ne_u32_e32 vcc, s74, v3
	v_mov_b32_e32 v25, 0x7f800001
	s_and_saveexec_b64 s[62:63], vcc
	s_cbranch_execz .LBB2_1907
; %bb.1906:                             ;   in Loop: Header=BB2_1481 Depth=2
	v_and_b32_e32 v25, 7, v48
	v_ffbh_u32_e32 v22, v25
	v_min_u32_e32 v36, 32, v22
	v_subrev_u32_e32 v22, 28, v36
	v_lshlrev_b64 v[22:23], v22, v[48:49]
	v_lshrrev_b32_e32 v35, 3, v3
	v_sub_u32_e32 v23, 29, v36
	v_and_b32_e32 v22, 7, v22
	v_cmp_gt_u32_e32 vcc, 8, v3
	v_cndmask_b32_e32 v3, v35, v23, vcc
	v_cndmask_b32_e32 v22, v25, v22, vcc
	v_lshlrev_b32_e32 v23, 16, v24
	v_lshlrev_b32_e32 v22, 20, v22
	v_and_b32_e32 v23, 0x80000000, v23
	v_lshl_add_u32 v3, v3, 23, v20
	v_or3_b32 v25, v23, v3, v22
.LBB2_1907:                             ;   in Loop: Header=BB2_1481 Depth=2
	s_or_b64 exec, exec, s[62:63]
.LBB2_1908:                             ;   in Loop: Header=BB2_1481 Depth=2
	s_or_b64 exec, exec, s[60:61]
.LBB2_1909:                             ;   in Loop: Header=BB2_1481 Depth=2
	s_or_b64 exec, exec, s[24:25]
	v_add_f32_e32 v24, v34, v25
	v_and_b32_sdwa v3, v24, s75 dst_sel:DWORD dst_unused:UNUSED_PAD src0_sel:BYTE_3 src1_sel:DWORD
	v_and_b32_e32 v22, 0x7f800000, v24
	v_mov_b32_e32 v23, v39
	v_and_b32_e32 v46, 0x7fffff, v24
	v_mov_b32_e32 v47, v39
	v_or_b32_e32 v34, 0x7e, v3
	v_cmp_ne_u64_e32 vcc, s[42:43], v[22:23]
	s_and_saveexec_b64 s[24:25], vcc
	s_xor_b64 s[60:61], exec, s[24:25]
	s_cbranch_execz .LBB2_1919
; %bb.1910:                             ;   in Loop: Header=BB2_1481 Depth=2
	v_and_b32_e32 v22, 0x7fffffff, v24
	v_mov_b32_e32 v23, v39
	v_cmp_gt_u64_e32 vcc, s[44:45], v[22:23]
	s_and_saveexec_b64 s[62:63], vcc
	s_cbranch_execz .LBB2_1918
; %bb.1911:                             ;   in Loop: Header=BB2_1481 Depth=2
	v_cmp_ne_u32_e32 vcc, 0, v24
	v_mov_b32_e32 v34, 0
	s_and_saveexec_b64 s[64:65], vcc
	s_cbranch_execz .LBB2_1917
; %bb.1912:                             ;   in Loop: Header=BB2_1481 Depth=2
	v_bfe_u32 v22, v24, 23, 8
	v_sub_u32_e32 v24, 0x79, v22
	v_cmp_gt_u32_e32 vcc, s76, v22
	v_cndmask_b32_e32 v24, 0, v24, vcc
	v_cmp_eq_u32_e32 vcc, 0, v22
	v_add_u32_e32 v23, 0xffffff81, v22
	v_or_b32_e32 v25, 0x800000, v46
	v_mov_b32_e32 v22, 0xffffff82
	v_cndmask_b32_e32 v35, v24, v18, vcc
	v_cndmask_b32_e32 v34, v23, v22, vcc
	;; [unrolled: 1-line block ×3, first 2 shown]
	v_add_u32_e32 v22, 20, v35
	v_lshlrev_b64 v[22:23], v22, -1
	v_lshrrev_b64 v[48:49], v35, v[46:47]
	v_not_b32_e32 v23, v23
	v_not_b32_e32 v22, v22
	v_add_u32_e32 v24, 19, v35
	v_lshrrev_b32_e32 v36, 23, v48
	v_and_b32_e32 v23, 0, v23
	v_and_b32_e32 v22, v46, v22
	v_lshlrev_b64 v[24:25], v24, 1
	v_add3_u32 v36, v35, v34, v36
	v_bfe_u32 v34, v48, 20, 1
	v_add_u32_e32 v34, -1, v34
	v_cmp_eq_u64_e32 vcc, v[22:23], v[24:25]
	v_cndmask_b32_e32 v22, 0, v34, vcc
	v_add_u32_e32 v22, v22, v48
	v_and_b32_e32 v22, 0xfffff, v22
	v_add_co_u32_e32 v24, vcc, v22, v48
	v_add_u32_e32 v35, 6, v36
	v_addc_co_u32_e32 v25, vcc, 0, v49, vcc
	v_cmp_ne_u32_e32 vcc, 0, v35
                                        ; implicit-def: $vgpr34
	s_and_saveexec_b64 s[24:25], vcc
	s_xor_b64 s[24:25], exec, s[24:25]
; %bb.1913:                             ;   in Loop: Header=BB2_1481 Depth=2
	v_add_u32_e32 v22, 7, v36
	v_cmp_lt_u64_e32 vcc, s[48:49], v[24:25]
	v_cndmask_b32_e32 v34, v35, v22, vcc
	v_cndmask_b32_e64 v22, 0, 1, vcc
	v_lshrrev_b64 v[24:25], v22, v[24:25]
; %bb.1914:                             ;   in Loop: Header=BB2_1481 Depth=2
	s_andn2_saveexec_b64 s[24:25], s[24:25]
; %bb.1915:                             ;   in Loop: Header=BB2_1481 Depth=2
	v_bfe_u32 v34, v24, 23, 1
; %bb.1916:                             ;   in Loop: Header=BB2_1481 Depth=2
	s_or_b64 exec, exec, s[24:25]
	v_lshrrev_b64 v[22:23], 20, v[24:25]
	v_cmp_gt_i32_e32 vcc, 16, v34
	v_cndmask_b32_e32 v23, 0, v23, vcc
	v_cndmask_b32_e32 v22, 7, v22, vcc
	v_cmp_eq_u64_e64 s[24:25], 0, v[22:23]
	v_min_i32_e32 v23, 15, v34
	v_cmp_eq_u32_e32 vcc, 0, v34
	v_lshlrev_b32_e32 v23, 3, v23
	v_and_or_b32 v22, v22, 7, v23
	s_and_b64 s[24:25], vcc, s[24:25]
	v_cndmask_b32_e64 v22, v22, 0, s[24:25]
	v_or_b32_e32 v34, v22, v3
.LBB2_1917:                             ;   in Loop: Header=BB2_1481 Depth=2
	s_or_b64 exec, exec, s[64:65]
.LBB2_1918:                             ;   in Loop: Header=BB2_1481 Depth=2
	s_or_b64 exec, exec, s[62:63]
                                        ; implicit-def: $vgpr24
                                        ; implicit-def: $vgpr46_vgpr47
.LBB2_1919:                             ;   in Loop: Header=BB2_1481 Depth=2
	s_andn2_saveexec_b64 s[24:25], s[60:61]
; %bb.1920:                             ;   in Loop: Header=BB2_1481 Depth=2
	v_or_b32_sdwa v3, v24, s74 dst_sel:DWORD dst_unused:UNUSED_PAD src0_sel:BYTE_3 src1_sel:DWORD
	v_cmp_eq_u64_e32 vcc, 0, v[46:47]
	v_cndmask_b32_e32 v34, v3, v34, vcc
; %bb.1921:                             ;   in Loop: Header=BB2_1481 Depth=2
	s_or_b64 exec, exec, s[24:25]
	v_lshrrev_b32_e32 v24, 16, v38
	v_cmp_ne_u16_sdwa vcc, v24, v39 src0_sel:BYTE_0 src1_sel:DWORD
	v_mov_b32_e32 v3, 0
	v_mov_b32_e32 v25, 0
	s_and_saveexec_b64 s[24:25], vcc
	s_cbranch_execz .LBB2_1927
; %bb.1922:                             ;   in Loop: Header=BB2_1481 Depth=2
	v_cmp_ne_u16_sdwa vcc, v24, s75 src0_sel:BYTE_0 src1_sel:DWORD
	v_bfrev_b32_e32 v25, 1
	s_and_saveexec_b64 s[60:61], vcc
	s_cbranch_execz .LBB2_1926
; %bb.1923:                             ;   in Loop: Header=BB2_1481 Depth=2
	v_bfe_u32 v35, v38, 16, 7
	v_cmp_ne_u32_e32 vcc, s74, v35
	v_mov_b32_e32 v25, 0x7f800001
	s_and_saveexec_b64 s[62:63], vcc
	s_cbranch_execz .LBB2_1925
; %bb.1924:                             ;   in Loop: Header=BB2_1481 Depth=2
	v_and_b32_e32 v25, 7, v24
	v_ffbh_u32_e32 v22, v25
	v_min_u32_e32 v37, 32, v22
	v_subrev_u32_e32 v22, 28, v37
	v_lshlrev_b64 v[22:23], v22, v[24:25]
	v_lshrrev_b32_e32 v36, 3, v35
	v_sub_u32_e32 v23, 29, v37
	v_and_b32_e32 v22, 7, v22
	v_cmp_gt_u32_e32 vcc, 8, v35
	v_cndmask_b32_e32 v23, v36, v23, vcc
	v_cndmask_b32_e32 v22, v25, v22, vcc
	v_lshlrev_b32_e32 v24, 24, v24
	v_lshlrev_b32_e32 v22, 20, v22
	v_and_b32_e32 v24, 0x80000000, v24
	v_lshl_add_u32 v23, v23, 23, v20
	v_or3_b32 v25, v24, v23, v22
.LBB2_1925:                             ;   in Loop: Header=BB2_1481 Depth=2
	s_or_b64 exec, exec, s[62:63]
.LBB2_1926:                             ;   in Loop: Header=BB2_1481 Depth=2
	s_or_b64 exec, exec, s[60:61]
.LBB2_1927:                             ;   in Loop: Header=BB2_1481 Depth=2
	s_or_b64 exec, exec, s[24:25]
	v_lshrrev_b32_e32 v24, 16, v11
	v_cmp_ne_u16_sdwa vcc, v24, v39 src0_sel:BYTE_0 src1_sel:DWORD
	s_and_saveexec_b64 s[24:25], vcc
	s_cbranch_execz .LBB2_1933
; %bb.1928:                             ;   in Loop: Header=BB2_1481 Depth=2
	v_cmp_ne_u16_sdwa vcc, v24, s75 src0_sel:BYTE_0 src1_sel:DWORD
	v_bfrev_b32_e32 v3, 1
	s_and_saveexec_b64 s[60:61], vcc
	s_cbranch_execz .LBB2_1932
; %bb.1929:                             ;   in Loop: Header=BB2_1481 Depth=2
	v_bfe_u32 v35, v11, 16, 7
	v_cmp_ne_u32_e32 vcc, s74, v35
	v_mov_b32_e32 v3, 0x7f800001
	s_and_saveexec_b64 s[62:63], vcc
	s_cbranch_execz .LBB2_1931
; %bb.1930:                             ;   in Loop: Header=BB2_1481 Depth=2
	v_and_b32_e32 v3, 7, v24
	v_ffbh_u32_e32 v22, v3
	v_min_u32_e32 v37, 32, v22
	v_subrev_u32_e32 v22, 28, v37
	v_lshlrev_b64 v[22:23], v22, v[24:25]
	v_lshrrev_b32_e32 v36, 3, v35
	v_sub_u32_e32 v23, 29, v37
	v_and_b32_e32 v22, 7, v22
	v_cmp_gt_u32_e32 vcc, 8, v35
	v_cndmask_b32_e32 v23, v36, v23, vcc
	v_cndmask_b32_e32 v3, v3, v22, vcc
	v_lshlrev_b32_e32 v22, 8, v11
	v_lshlrev_b32_e32 v3, 20, v3
	v_and_b32_e32 v22, 0x80000000, v22
	v_lshl_add_u32 v23, v23, 23, v20
	v_or3_b32 v3, v22, v23, v3
.LBB2_1931:                             ;   in Loop: Header=BB2_1481 Depth=2
	s_or_b64 exec, exec, s[62:63]
.LBB2_1932:                             ;   in Loop: Header=BB2_1481 Depth=2
	s_or_b64 exec, exec, s[60:61]
.LBB2_1933:                             ;   in Loop: Header=BB2_1481 Depth=2
	s_or_b64 exec, exec, s[24:25]
	v_add_f32_e32 v24, v25, v3
	v_and_b32_sdwa v3, v24, s75 dst_sel:DWORD dst_unused:UNUSED_PAD src0_sel:BYTE_3 src1_sel:DWORD
	v_and_b32_e32 v22, 0x7f800000, v24
	v_mov_b32_e32 v23, v39
	v_and_b32_e32 v46, 0x7fffff, v24
	v_mov_b32_e32 v47, v39
	v_or_b32_e32 v25, 0x7e, v3
	v_cmp_ne_u64_e32 vcc, s[42:43], v[22:23]
	s_and_saveexec_b64 s[24:25], vcc
	s_xor_b64 s[60:61], exec, s[24:25]
	s_cbranch_execz .LBB2_1943
; %bb.1934:                             ;   in Loop: Header=BB2_1481 Depth=2
	v_and_b32_e32 v22, 0x7fffffff, v24
	v_mov_b32_e32 v23, v39
	v_cmp_gt_u64_e32 vcc, s[44:45], v[22:23]
	s_and_saveexec_b64 s[62:63], vcc
	s_cbranch_execz .LBB2_1942
; %bb.1935:                             ;   in Loop: Header=BB2_1481 Depth=2
	v_cmp_ne_u32_e32 vcc, 0, v24
	v_mov_b32_e32 v25, 0
	s_and_saveexec_b64 s[64:65], vcc
	s_cbranch_execz .LBB2_1941
; %bb.1936:                             ;   in Loop: Header=BB2_1481 Depth=2
	v_bfe_u32 v22, v24, 23, 8
	v_sub_u32_e32 v24, 0x79, v22
	v_cmp_gt_u32_e32 vcc, s76, v22
	v_cndmask_b32_e32 v24, 0, v24, vcc
	v_cmp_eq_u32_e32 vcc, 0, v22
	v_add_u32_e32 v23, 0xffffff81, v22
	v_or_b32_e32 v25, 0x800000, v46
	v_mov_b32_e32 v22, 0xffffff82
	v_cndmask_b32_e32 v36, v24, v18, vcc
	v_cndmask_b32_e32 v35, v23, v22, vcc
	;; [unrolled: 1-line block ×3, first 2 shown]
	v_add_u32_e32 v22, 20, v36
	v_lshlrev_b64 v[22:23], v22, -1
	v_lshrrev_b64 v[48:49], v36, v[46:47]
	v_not_b32_e32 v23, v23
	v_not_b32_e32 v22, v22
	v_add_u32_e32 v24, 19, v36
	v_lshrrev_b32_e32 v37, 23, v48
	v_and_b32_e32 v23, 0, v23
	v_and_b32_e32 v22, v46, v22
	v_lshlrev_b64 v[24:25], v24, 1
	v_add3_u32 v37, v36, v35, v37
	v_bfe_u32 v35, v48, 20, 1
	v_add_u32_e32 v35, -1, v35
	v_cmp_eq_u64_e32 vcc, v[22:23], v[24:25]
	v_cndmask_b32_e32 v22, 0, v35, vcc
	v_add_u32_e32 v22, v22, v48
	v_and_b32_e32 v22, 0xfffff, v22
	v_add_co_u32_e32 v24, vcc, v22, v48
	v_add_u32_e32 v36, 6, v37
	v_addc_co_u32_e32 v25, vcc, 0, v49, vcc
	v_cmp_ne_u32_e32 vcc, 0, v36
                                        ; implicit-def: $vgpr35
	s_and_saveexec_b64 s[24:25], vcc
	s_xor_b64 s[24:25], exec, s[24:25]
; %bb.1937:                             ;   in Loop: Header=BB2_1481 Depth=2
	v_add_u32_e32 v22, 7, v37
	v_cmp_lt_u64_e32 vcc, s[48:49], v[24:25]
	v_cndmask_b32_e32 v35, v36, v22, vcc
	v_cndmask_b32_e64 v22, 0, 1, vcc
	v_lshrrev_b64 v[24:25], v22, v[24:25]
; %bb.1938:                             ;   in Loop: Header=BB2_1481 Depth=2
	s_andn2_saveexec_b64 s[24:25], s[24:25]
; %bb.1939:                             ;   in Loop: Header=BB2_1481 Depth=2
	v_bfe_u32 v35, v24, 23, 1
; %bb.1940:                             ;   in Loop: Header=BB2_1481 Depth=2
	s_or_b64 exec, exec, s[24:25]
	v_lshrrev_b64 v[22:23], 20, v[24:25]
	v_cmp_gt_i32_e32 vcc, 16, v35
	v_cndmask_b32_e32 v23, 0, v23, vcc
	v_cndmask_b32_e32 v22, 7, v22, vcc
	v_cmp_eq_u64_e64 s[24:25], 0, v[22:23]
	v_min_i32_e32 v23, 15, v35
	v_lshlrev_b32_e32 v23, 3, v23
	v_cmp_eq_u32_e32 vcc, 0, v35
	v_and_b32_e32 v23, 0xf8, v23
	v_and_or_b32 v22, v22, 7, v23
	s_and_b64 s[24:25], vcc, s[24:25]
	v_cndmask_b32_e64 v22, v22, 0, s[24:25]
	v_or_b32_e32 v25, v22, v3
.LBB2_1941:                             ;   in Loop: Header=BB2_1481 Depth=2
	s_or_b64 exec, exec, s[64:65]
.LBB2_1942:                             ;   in Loop: Header=BB2_1481 Depth=2
	s_or_b64 exec, exec, s[62:63]
                                        ; implicit-def: $vgpr24
                                        ; implicit-def: $vgpr46_vgpr47
.LBB2_1943:                             ;   in Loop: Header=BB2_1481 Depth=2
	s_andn2_saveexec_b64 s[24:25], s[60:61]
; %bb.1944:                             ;   in Loop: Header=BB2_1481 Depth=2
	v_or_b32_sdwa v3, v24, s74 dst_sel:DWORD dst_unused:UNUSED_PAD src0_sel:BYTE_3 src1_sel:DWORD
	v_cmp_eq_u64_e32 vcc, 0, v[46:47]
	v_cndmask_b32_e32 v25, v3, v25, vcc
; %bb.1945:                             ;   in Loop: Header=BB2_1481 Depth=2
	s_or_b64 exec, exec, s[24:25]
	v_cmp_lt_u32_e32 vcc, s47, v38
	v_mov_b32_e32 v3, 0
	v_mov_b32_e32 v35, 0
	s_and_saveexec_b64 s[24:25], vcc
	s_cbranch_execz .LBB2_1951
; %bb.1946:                             ;   in Loop: Header=BB2_1481 Depth=2
	v_lshrrev_b32_e32 v24, 24, v38
	v_cmp_ne_u32_sdwa vcc, v38, s75 src0_sel:BYTE_3 src1_sel:DWORD
	v_bfrev_b32_e32 v35, 1
	s_and_saveexec_b64 s[60:61], vcc
	s_cbranch_execz .LBB2_1950
; %bb.1947:                             ;   in Loop: Header=BB2_1481 Depth=2
	v_bfe_u32 v36, v38, 24, 7
	v_cmp_ne_u32_e32 vcc, s74, v36
	v_mov_b32_e32 v35, 0x7f800001
	s_and_saveexec_b64 s[62:63], vcc
	s_cbranch_execz .LBB2_1949
; %bb.1948:                             ;   in Loop: Header=BB2_1481 Depth=2
	v_and_b32_e32 v35, 7, v24
	v_ffbh_u32_e32 v22, v35
	v_min_u32_e32 v48, 32, v22
	v_subrev_u32_e32 v22, 28, v48
	v_lshlrev_b64 v[22:23], v22, v[24:25]
	v_lshrrev_b32_e32 v37, 3, v36
	v_sub_u32_e32 v23, 29, v48
	v_and_b32_e32 v22, 7, v22
	v_cmp_gt_u32_e32 vcc, 8, v36
	v_mov_b32_e32 v24, 24
	v_cndmask_b32_e32 v23, v37, v23, vcc
	v_cndmask_b32_e32 v22, v35, v22, vcc
	v_lshlrev_b32_sdwa v24, v24, v38 dst_sel:DWORD dst_unused:UNUSED_PAD src0_sel:DWORD src1_sel:BYTE_3
	v_lshlrev_b32_e32 v22, 20, v22
	v_and_b32_e32 v24, 0x80000000, v24
	v_lshl_add_u32 v23, v23, 23, v20
	v_or3_b32 v35, v24, v23, v22
.LBB2_1949:                             ;   in Loop: Header=BB2_1481 Depth=2
	s_or_b64 exec, exec, s[62:63]
.LBB2_1950:                             ;   in Loop: Header=BB2_1481 Depth=2
	s_or_b64 exec, exec, s[60:61]
.LBB2_1951:                             ;   in Loop: Header=BB2_1481 Depth=2
	s_or_b64 exec, exec, s[24:25]
	v_cmp_lt_u64_e32 vcc, s[46:47], v[10:11]
	s_and_saveexec_b64 s[24:25], vcc
	s_cbranch_execz .LBB2_1957
; %bb.1952:                             ;   in Loop: Header=BB2_1481 Depth=2
	v_lshrrev_b32_e32 v10, 24, v11
	v_cmp_ne_u32_e32 vcc, s75, v10
	v_bfrev_b32_e32 v3, 1
	s_and_saveexec_b64 s[60:61], vcc
	s_cbranch_execz .LBB2_1956
; %bb.1953:                             ;   in Loop: Header=BB2_1481 Depth=2
	v_bfe_u32 v11, v11, 24, 7
	v_cmp_ne_u32_e32 vcc, s74, v11
	v_mov_b32_e32 v3, 0x7f800001
	s_and_saveexec_b64 s[62:63], vcc
	s_cbranch_execz .LBB2_1955
; %bb.1954:                             ;   in Loop: Header=BB2_1481 Depth=2
	v_and_b32_e32 v3, 7, v10
	v_ffbh_u32_e32 v22, v3
	v_min_u32_e32 v36, 32, v22
	v_subrev_u32_e32 v22, 28, v36
	v_lshlrev_b64 v[22:23], v22, v[10:11]
	v_lshrrev_b32_e32 v24, 3, v11
	v_sub_u32_e32 v23, 29, v36
	v_and_b32_e32 v22, 7, v22
	v_cmp_gt_u32_e32 vcc, 8, v11
	v_cndmask_b32_e32 v11, v24, v23, vcc
	v_cndmask_b32_e32 v3, v3, v22, vcc
	v_lshlrev_b32_e32 v10, 24, v10
	v_lshlrev_b32_e32 v3, 20, v3
	v_and_b32_e32 v10, 0x80000000, v10
	v_lshl_add_u32 v11, v11, 23, v20
	v_or3_b32 v3, v10, v11, v3
.LBB2_1955:                             ;   in Loop: Header=BB2_1481 Depth=2
	s_or_b64 exec, exec, s[62:63]
.LBB2_1956:                             ;   in Loop: Header=BB2_1481 Depth=2
	s_or_b64 exec, exec, s[60:61]
.LBB2_1957:                             ;   in Loop: Header=BB2_1481 Depth=2
	s_or_b64 exec, exec, s[24:25]
	v_add_f32_e32 v10, v35, v3
	v_and_b32_sdwa v3, v10, s75 dst_sel:DWORD dst_unused:UNUSED_PAD src0_sel:BYTE_3 src1_sel:DWORD
	v_and_b32_e32 v22, 0x7f800000, v10
	v_mov_b32_e32 v23, v39
	v_and_b32_e32 v38, 0x7fffff, v10
	v_or_b32_e32 v24, 0x7e, v3
	v_cmp_ne_u64_e32 vcc, s[42:43], v[22:23]
	s_and_saveexec_b64 s[24:25], vcc
	s_xor_b64 s[60:61], exec, s[24:25]
	s_cbranch_execz .LBB2_1967
; %bb.1958:                             ;   in Loop: Header=BB2_1481 Depth=2
	v_and_b32_e32 v22, 0x7fffffff, v10
	v_mov_b32_e32 v23, v39
	v_cmp_gt_u64_e32 vcc, s[44:45], v[22:23]
	s_and_saveexec_b64 s[62:63], vcc
	s_cbranch_execz .LBB2_1966
; %bb.1959:                             ;   in Loop: Header=BB2_1481 Depth=2
	v_cmp_ne_u32_e32 vcc, 0, v10
	v_mov_b32_e32 v24, 0
	s_and_saveexec_b64 s[64:65], vcc
	s_cbranch_execz .LBB2_1965
; %bb.1960:                             ;   in Loop: Header=BB2_1481 Depth=2
	v_bfe_u32 v10, v10, 23, 8
	v_sub_u32_e32 v22, 0x79, v10
	v_cmp_gt_u32_e32 vcc, s76, v10
	v_cndmask_b32_e32 v22, 0, v22, vcc
	v_cmp_eq_u32_e32 vcc, 0, v10
	v_add_u32_e32 v11, 0xffffff81, v10
	v_or_b32_e32 v23, 0x800000, v38
	v_mov_b32_e32 v10, 0xffffff82
	v_cndmask_b32_e32 v35, v22, v18, vcc
	v_cndmask_b32_e32 v24, v11, v10, vcc
	;; [unrolled: 1-line block ×3, first 2 shown]
	v_add_u32_e32 v10, 20, v35
	v_lshlrev_b64 v[10:11], v10, -1
	v_lshrrev_b64 v[48:49], v35, v[38:39]
	v_not_b32_e32 v11, v11
	v_not_b32_e32 v10, v10
	v_add_u32_e32 v22, 19, v35
	v_lshrrev_b32_e32 v36, 23, v48
	v_and_b32_e32 v11, 0, v11
	v_and_b32_e32 v10, v38, v10
	v_lshlrev_b64 v[22:23], v22, 1
	v_add3_u32 v36, v35, v24, v36
	v_bfe_u32 v24, v48, 20, 1
	v_add_u32_e32 v24, -1, v24
	v_cmp_eq_u64_e32 vcc, v[10:11], v[22:23]
	v_cndmask_b32_e32 v10, 0, v24, vcc
	v_add_u32_e32 v10, v10, v48
	v_and_b32_e32 v10, 0xfffff, v10
	v_add_co_u32_e32 v10, vcc, v10, v48
	v_add_u32_e32 v35, 6, v36
	v_addc_co_u32_e32 v11, vcc, 0, v49, vcc
	v_cmp_ne_u32_e32 vcc, 0, v35
                                        ; implicit-def: $vgpr24
	s_and_saveexec_b64 s[24:25], vcc
	s_xor_b64 s[24:25], exec, s[24:25]
; %bb.1961:                             ;   in Loop: Header=BB2_1481 Depth=2
	v_add_u32_e32 v22, 7, v36
	v_cmp_lt_u64_e32 vcc, s[48:49], v[10:11]
	v_cndmask_b32_e32 v24, v35, v22, vcc
	v_cndmask_b32_e64 v22, 0, 1, vcc
	v_lshrrev_b64 v[10:11], v22, v[10:11]
; %bb.1962:                             ;   in Loop: Header=BB2_1481 Depth=2
	s_andn2_saveexec_b64 s[24:25], s[24:25]
; %bb.1963:                             ;   in Loop: Header=BB2_1481 Depth=2
	v_bfe_u32 v24, v10, 23, 1
; %bb.1964:                             ;   in Loop: Header=BB2_1481 Depth=2
	s_or_b64 exec, exec, s[24:25]
	v_lshrrev_b64 v[10:11], 20, v[10:11]
	v_cmp_gt_i32_e32 vcc, 16, v24
	v_cndmask_b32_e32 v11, 0, v11, vcc
	v_cndmask_b32_e32 v10, 7, v10, vcc
	v_cmp_eq_u64_e64 s[24:25], 0, v[10:11]
	v_min_i32_e32 v11, 15, v24
	v_lshlrev_b32_e32 v11, 3, v11
	v_cmp_eq_u32_e32 vcc, 0, v24
	v_and_b32_e32 v11, 0xf8, v11
	v_and_or_b32 v10, v10, 7, v11
	s_and_b64 s[24:25], vcc, s[24:25]
	v_cndmask_b32_e64 v10, v10, 0, s[24:25]
	v_or_b32_e32 v24, v10, v3
.LBB2_1965:                             ;   in Loop: Header=BB2_1481 Depth=2
	s_or_b64 exec, exec, s[64:65]
.LBB2_1966:                             ;   in Loop: Header=BB2_1481 Depth=2
	s_or_b64 exec, exec, s[62:63]
                                        ; implicit-def: $vgpr10
.LBB2_1967:                             ;   in Loop: Header=BB2_1481 Depth=2
	s_andn2_saveexec_b64 s[24:25], s[60:61]
; %bb.1968:                             ;   in Loop: Header=BB2_1481 Depth=2
	v_or_b32_sdwa v3, v10, s74 dst_sel:DWORD dst_unused:UNUSED_PAD src0_sel:BYTE_3 src1_sel:DWORD
	v_cmp_eq_u64_e32 vcc, 0, v[38:39]
	v_cndmask_b32_e32 v24, v3, v24, vcc
; %bb.1969:                             ;   in Loop: Header=BB2_1481 Depth=2
	s_or_b64 exec, exec, s[24:25]
	v_lshlrev_b32_e32 v3, 8, v31
	v_cmp_ne_u16_sdwa vcc, v8, v39 src0_sel:BYTE_0 src1_sel:DWORD
	v_mov_b32_e32 v10, 0
	v_mov_b32_e32 v11, 0
	s_and_saveexec_b64 s[24:25], vcc
	s_cbranch_execz .LBB2_1975
; %bb.1970:                             ;   in Loop: Header=BB2_1481 Depth=2
	v_cmp_ne_u16_sdwa vcc, v8, s75 src0_sel:BYTE_0 src1_sel:DWORD
	v_bfrev_b32_e32 v11, 1
	s_and_saveexec_b64 s[60:61], vcc
	s_cbranch_execz .LBB2_1974
; %bb.1971:                             ;   in Loop: Header=BB2_1481 Depth=2
	v_and_b32_e32 v31, 0x7f, v8
	v_cmp_ne_u32_e32 vcc, s74, v31
	v_mov_b32_e32 v11, 0x7f800001
	s_and_saveexec_b64 s[62:63], vcc
	s_cbranch_execz .LBB2_1973
; %bb.1972:                             ;   in Loop: Header=BB2_1481 Depth=2
	v_and_b32_e32 v11, 7, v8
	v_ffbh_u32_e32 v11, v11
	v_min_u32_e32 v11, 32, v11
	v_lshrrev_b32_e32 v23, 3, v31
	v_subrev_u32_e32 v35, 28, v11
	v_sub_u32_e32 v11, 29, v11
	v_cmp_gt_u32_e32 vcc, 8, v31
	v_perm_b32 v22, v3, v8, s77
	v_cndmask_b32_e32 v11, v23, v11, vcc
	v_cndmask_b32_e32 v23, 0, v35, vcc
	v_lshlrev_b64 v[22:23], v23, v[22:23]
	v_lshlrev_b32_e32 v22, 20, v22
	v_lshlrev_b32_e32 v8, 24, v8
	v_and_b32_e32 v22, 0x700000, v22
	v_and_b32_e32 v8, 0x80000000, v8
	v_lshl_add_u32 v11, v11, 23, v20
	v_or3_b32 v11, v8, v11, v22
.LBB2_1973:                             ;   in Loop: Header=BB2_1481 Depth=2
	s_or_b64 exec, exec, s[62:63]
.LBB2_1974:                             ;   in Loop: Header=BB2_1481 Depth=2
	s_or_b64 exec, exec, s[60:61]
.LBB2_1975:                             ;   in Loop: Header=BB2_1481 Depth=2
	s_or_b64 exec, exec, s[24:25]
	v_cmp_ne_u16_sdwa vcc, v12, v39 src0_sel:BYTE_0 src1_sel:DWORD
	s_and_saveexec_b64 s[24:25], vcc
	s_cbranch_execz .LBB2_1981
; %bb.1976:                             ;   in Loop: Header=BB2_1481 Depth=2
	v_cmp_ne_u16_sdwa vcc, v12, s75 src0_sel:BYTE_0 src1_sel:DWORD
	v_bfrev_b32_e32 v10, 1
	s_and_saveexec_b64 s[60:61], vcc
	s_cbranch_execz .LBB2_1980
; %bb.1977:                             ;   in Loop: Header=BB2_1481 Depth=2
	v_and_b32_e32 v8, 0x7f, v12
	v_cmp_ne_u32_e32 vcc, s74, v8
	v_mov_b32_e32 v10, 0x7f800001
	s_and_saveexec_b64 s[62:63], vcc
	s_cbranch_execz .LBB2_1979
; %bb.1978:                             ;   in Loop: Header=BB2_1481 Depth=2
	v_and_b32_e32 v10, 7, v12
	v_ffbh_u32_e32 v10, v10
	v_min_u32_e32 v10, 32, v10
	v_lshrrev_b32_e32 v22, 3, v8
	v_subrev_u32_e32 v23, 28, v10
	v_sub_u32_e32 v10, 29, v10
	v_cmp_gt_u32_e32 vcc, 8, v8
	v_cndmask_b32_e32 v8, v22, v10, vcc
	v_cndmask_b32_e32 v10, 0, v23, vcc
	v_lshlrev_b64 v[22:23], v10, v[12:13]
	v_lshlrev_b32_e32 v10, 20, v22
	v_lshlrev_b32_e32 v22, 24, v12
	v_and_b32_e32 v10, 0x700000, v10
	v_and_b32_e32 v22, 0x80000000, v22
	v_lshl_add_u32 v8, v8, 23, v20
	v_or3_b32 v10, v22, v8, v10
.LBB2_1979:                             ;   in Loop: Header=BB2_1481 Depth=2
	s_or_b64 exec, exec, s[62:63]
.LBB2_1980:                             ;   in Loop: Header=BB2_1481 Depth=2
	s_or_b64 exec, exec, s[60:61]
.LBB2_1981:                             ;   in Loop: Header=BB2_1481 Depth=2
	s_or_b64 exec, exec, s[24:25]
	v_add_f32_e32 v10, v11, v10
	v_and_b32_sdwa v31, v10, s75 dst_sel:DWORD dst_unused:UNUSED_PAD src0_sel:BYTE_3 src1_sel:DWORD
	v_and_b32_e32 v22, 0x7f800000, v10
	v_mov_b32_e32 v23, v39
	v_and_b32_e32 v38, 0x7fffff, v10
	v_or_b32_e32 v8, 0x7e, v31
	v_cmp_ne_u64_e32 vcc, s[42:43], v[22:23]
	s_and_saveexec_b64 s[24:25], vcc
	s_xor_b64 s[60:61], exec, s[24:25]
	s_cbranch_execz .LBB2_1991
; %bb.1982:                             ;   in Loop: Header=BB2_1481 Depth=2
	v_and_b32_e32 v22, 0x7fffffff, v10
	v_mov_b32_e32 v23, v39
	v_cmp_gt_u64_e32 vcc, s[44:45], v[22:23]
	s_and_saveexec_b64 s[62:63], vcc
	s_cbranch_execz .LBB2_1990
; %bb.1983:                             ;   in Loop: Header=BB2_1481 Depth=2
	v_cmp_ne_u32_e32 vcc, 0, v10
	v_mov_b32_e32 v8, 0
	s_and_saveexec_b64 s[64:65], vcc
	s_cbranch_execz .LBB2_1989
; %bb.1984:                             ;   in Loop: Header=BB2_1481 Depth=2
	v_bfe_u32 v8, v10, 23, 8
	v_sub_u32_e32 v11, 0x79, v8
	v_cmp_gt_u32_e32 vcc, s76, v8
	v_cndmask_b32_e32 v11, 0, v11, vcc
	v_cmp_eq_u32_e32 vcc, 0, v8
	v_add_u32_e32 v10, 0xffffff81, v8
	v_or_b32_e32 v22, 0x800000, v38
	v_mov_b32_e32 v8, 0xffffff82
	v_cndmask_b32_e32 v35, v11, v18, vcc
	v_cndmask_b32_e32 v8, v10, v8, vcc
	;; [unrolled: 1-line block ×3, first 2 shown]
	v_add_u32_e32 v10, 20, v35
	v_lshlrev_b64 v[10:11], v10, -1
	v_lshrrev_b64 v[48:49], v35, v[38:39]
	v_not_b32_e32 v11, v11
	v_not_b32_e32 v10, v10
	v_add_u32_e32 v22, 19, v35
	v_lshrrev_b32_e32 v36, 23, v48
	v_and_b32_e32 v11, 0, v11
	v_and_b32_e32 v10, v38, v10
	v_lshlrev_b64 v[22:23], v22, 1
	v_add3_u32 v36, v35, v8, v36
	v_bfe_u32 v8, v48, 20, 1
	v_add_u32_e32 v8, -1, v8
	v_cmp_eq_u64_e32 vcc, v[10:11], v[22:23]
	v_cndmask_b32_e32 v8, 0, v8, vcc
	v_add_u32_e32 v8, v8, v48
	v_and_b32_e32 v8, 0xfffff, v8
	v_add_co_u32_e32 v10, vcc, v8, v48
	v_add_u32_e32 v35, 6, v36
	v_addc_co_u32_e32 v11, vcc, 0, v49, vcc
	v_cmp_ne_u32_e32 vcc, 0, v35
                                        ; implicit-def: $vgpr8
	s_and_saveexec_b64 s[24:25], vcc
	s_xor_b64 s[24:25], exec, s[24:25]
; %bb.1985:                             ;   in Loop: Header=BB2_1481 Depth=2
	v_cmp_lt_u64_e32 vcc, s[48:49], v[10:11]
	v_add_u32_e32 v8, 7, v36
	v_cndmask_b32_e64 v22, 0, 1, vcc
	v_cndmask_b32_e32 v8, v35, v8, vcc
	v_lshrrev_b64 v[10:11], v22, v[10:11]
; %bb.1986:                             ;   in Loop: Header=BB2_1481 Depth=2
	s_andn2_saveexec_b64 s[24:25], s[24:25]
; %bb.1987:                             ;   in Loop: Header=BB2_1481 Depth=2
	v_bfe_u32 v8, v10, 23, 1
; %bb.1988:                             ;   in Loop: Header=BB2_1481 Depth=2
	s_or_b64 exec, exec, s[24:25]
	v_lshrrev_b64 v[10:11], 20, v[10:11]
	v_cmp_gt_i32_e32 vcc, 16, v8
	v_cndmask_b32_e32 v11, 0, v11, vcc
	v_cndmask_b32_e32 v10, 7, v10, vcc
	v_cmp_eq_u32_e32 vcc, 0, v8
	v_min_i32_e32 v8, 15, v8
	v_cmp_eq_u64_e64 s[24:25], 0, v[10:11]
	v_lshlrev_b32_e32 v8, 3, v8
	v_and_or_b32 v8, v10, 7, v8
	s_and_b64 s[24:25], vcc, s[24:25]
	v_cndmask_b32_e64 v8, v8, 0, s[24:25]
	v_or_b32_e32 v8, v8, v31
.LBB2_1989:                             ;   in Loop: Header=BB2_1481 Depth=2
	s_or_b64 exec, exec, s[64:65]
.LBB2_1990:                             ;   in Loop: Header=BB2_1481 Depth=2
	s_or_b64 exec, exec, s[62:63]
                                        ; implicit-def: $vgpr10
.LBB2_1991:                             ;   in Loop: Header=BB2_1481 Depth=2
	s_andn2_saveexec_b64 s[24:25], s[60:61]
; %bb.1992:                             ;   in Loop: Header=BB2_1481 Depth=2
	v_or_b32_sdwa v10, v10, s74 dst_sel:DWORD dst_unused:UNUSED_PAD src0_sel:BYTE_3 src1_sel:DWORD
	v_cmp_eq_u64_e32 vcc, 0, v[38:39]
	v_cndmask_b32_e32 v8, v10, v8, vcc
; %bb.1993:                             ;   in Loop: Header=BB2_1481 Depth=2
	s_or_b64 exec, exec, s[24:25]
	v_lshrrev_b16_e32 v10, 8, v3
	v_cmp_ne_u16_e32 vcc, 0, v10
	v_mov_b32_e32 v11, 0
	v_mov_b32_e32 v31, 0
	s_and_saveexec_b64 s[24:25], vcc
	s_cbranch_execz .LBB2_1999
; %bb.1994:                             ;   in Loop: Header=BB2_1481 Depth=2
	v_cmp_ne_u16_e32 vcc, s75, v10
	v_bfrev_b32_e32 v31, 1
	s_and_saveexec_b64 s[60:61], vcc
	s_cbranch_execz .LBB2_1998
; %bb.1995:                             ;   in Loop: Header=BB2_1481 Depth=2
	v_and_b32_e32 v35, 0x7f, v10
	v_cmp_ne_u32_e32 vcc, s74, v35
	v_mov_b32_e32 v31, 0x7f800001
	s_and_saveexec_b64 s[62:63], vcc
	s_cbranch_execz .LBB2_1997
; %bb.1996:                             ;   in Loop: Header=BB2_1481 Depth=2
	v_and_b32_e32 v31, 7, v10
	v_ffbh_u32_e32 v22, v31
	v_min_u32_e32 v37, 32, v22
	v_subrev_u32_e32 v22, 28, v37
	v_lshlrev_b64 v[22:23], v22, v[10:11]
	v_lshrrev_b32_e32 v36, 3, v35
	v_sub_u32_e32 v10, 29, v37
	v_and_b32_e32 v22, 7, v22
	v_cmp_gt_u32_e32 vcc, 8, v35
	v_cndmask_b32_e32 v10, v36, v10, vcc
	v_cndmask_b32_e32 v22, v31, v22, vcc
	v_lshlrev_b32_e32 v3, 16, v3
	v_lshlrev_b32_e32 v22, 20, v22
	v_and_b32_e32 v3, 0x80000000, v3
	v_lshl_add_u32 v10, v10, 23, v20
	v_or3_b32 v31, v3, v10, v22
.LBB2_1997:                             ;   in Loop: Header=BB2_1481 Depth=2
	s_or_b64 exec, exec, s[62:63]
.LBB2_1998:                             ;   in Loop: Header=BB2_1481 Depth=2
	s_or_b64 exec, exec, s[60:61]
.LBB2_1999:                             ;   in Loop: Header=BB2_1481 Depth=2
	s_or_b64 exec, exec, s[24:25]
	v_lshrrev_b16_e32 v10, 8, v12
	v_cmp_ne_u16_e32 vcc, 0, v10
	s_and_saveexec_b64 s[24:25], vcc
	s_cbranch_execz .LBB2_2005
; %bb.2000:                             ;   in Loop: Header=BB2_1481 Depth=2
	v_cmp_ne_u16_e32 vcc, s75, v10
	v_bfrev_b32_e32 v11, 1
	s_and_saveexec_b64 s[60:61], vcc
	s_cbranch_execz .LBB2_2004
; %bb.2001:                             ;   in Loop: Header=BB2_1481 Depth=2
	v_and_b32_e32 v3, 0x7f, v10
	v_cmp_ne_u32_e32 vcc, s74, v3
	v_mov_b32_e32 v11, 0x7f800001
	s_and_saveexec_b64 s[62:63], vcc
	s_cbranch_execz .LBB2_2003
; %bb.2002:                             ;   in Loop: Header=BB2_1481 Depth=2
	v_and_b32_e32 v22, 7, v10
	v_ffbh_u32_e32 v11, v22
	v_min_u32_e32 v35, 32, v11
	v_subrev_u32_e32 v11, 28, v35
	v_lshlrev_b64 v[10:11], v11, v[10:11]
	v_lshrrev_b32_e32 v23, 3, v3
	v_sub_u32_e32 v11, 29, v35
	v_and_b32_e32 v10, 7, v10
	v_cmp_gt_u32_e32 vcc, 8, v3
	v_cndmask_b32_e32 v3, v23, v11, vcc
	v_cndmask_b32_e32 v10, v22, v10, vcc
	v_lshlrev_b32_e32 v11, 16, v12
	v_lshlrev_b32_e32 v10, 20, v10
	v_and_b32_e32 v11, 0x80000000, v11
	v_lshl_add_u32 v3, v3, 23, v20
	v_or3_b32 v11, v11, v3, v10
.LBB2_2003:                             ;   in Loop: Header=BB2_1481 Depth=2
	s_or_b64 exec, exec, s[62:63]
.LBB2_2004:                             ;   in Loop: Header=BB2_1481 Depth=2
	s_or_b64 exec, exec, s[60:61]
.LBB2_2005:                             ;   in Loop: Header=BB2_1481 Depth=2
	s_or_b64 exec, exec, s[24:25]
	v_add_f32_e32 v10, v31, v11
	v_and_b32_sdwa v3, v10, s75 dst_sel:DWORD dst_unused:UNUSED_PAD src0_sel:BYTE_3 src1_sel:DWORD
	v_and_b32_e32 v22, 0x7f800000, v10
	v_mov_b32_e32 v23, v39
	v_and_b32_e32 v38, 0x7fffff, v10
	v_or_b32_e32 v11, 0x7e, v3
	v_cmp_ne_u64_e32 vcc, s[42:43], v[22:23]
	s_and_saveexec_b64 s[24:25], vcc
	s_xor_b64 s[60:61], exec, s[24:25]
	s_cbranch_execz .LBB2_2015
; %bb.2006:                             ;   in Loop: Header=BB2_1481 Depth=2
	v_and_b32_e32 v22, 0x7fffffff, v10
	v_mov_b32_e32 v23, v39
	v_cmp_gt_u64_e32 vcc, s[44:45], v[22:23]
	s_and_saveexec_b64 s[62:63], vcc
	s_cbranch_execz .LBB2_2014
; %bb.2007:                             ;   in Loop: Header=BB2_1481 Depth=2
	v_cmp_ne_u32_e32 vcc, 0, v10
	v_mov_b32_e32 v11, 0
	s_and_saveexec_b64 s[64:65], vcc
	s_cbranch_execz .LBB2_2013
; %bb.2008:                             ;   in Loop: Header=BB2_1481 Depth=2
	v_bfe_u32 v10, v10, 23, 8
	v_sub_u32_e32 v22, 0x79, v10
	v_cmp_gt_u32_e32 vcc, s76, v10
	v_cndmask_b32_e32 v22, 0, v22, vcc
	v_cmp_eq_u32_e32 vcc, 0, v10
	v_add_u32_e32 v11, 0xffffff81, v10
	v_or_b32_e32 v23, 0x800000, v38
	v_mov_b32_e32 v10, 0xffffff82
	v_cndmask_b32_e32 v35, v22, v18, vcc
	v_cndmask_b32_e32 v31, v11, v10, vcc
	;; [unrolled: 1-line block ×3, first 2 shown]
	v_add_u32_e32 v10, 20, v35
	v_lshlrev_b64 v[10:11], v10, -1
	v_lshrrev_b64 v[48:49], v35, v[38:39]
	v_not_b32_e32 v11, v11
	v_not_b32_e32 v10, v10
	v_add_u32_e32 v22, 19, v35
	v_lshrrev_b32_e32 v36, 23, v48
	v_and_b32_e32 v11, 0, v11
	v_and_b32_e32 v10, v38, v10
	v_lshlrev_b64 v[22:23], v22, 1
	v_add3_u32 v36, v35, v31, v36
	v_bfe_u32 v31, v48, 20, 1
	v_add_u32_e32 v31, -1, v31
	v_cmp_eq_u64_e32 vcc, v[10:11], v[22:23]
	v_cndmask_b32_e32 v10, 0, v31, vcc
	v_add_u32_e32 v10, v10, v48
	v_and_b32_e32 v10, 0xfffff, v10
	v_add_co_u32_e32 v10, vcc, v10, v48
	v_add_u32_e32 v35, 6, v36
	v_addc_co_u32_e32 v11, vcc, 0, v49, vcc
	v_cmp_ne_u32_e32 vcc, 0, v35
                                        ; implicit-def: $vgpr31
	s_and_saveexec_b64 s[24:25], vcc
	s_xor_b64 s[24:25], exec, s[24:25]
; %bb.2009:                             ;   in Loop: Header=BB2_1481 Depth=2
	v_add_u32_e32 v22, 7, v36
	v_cmp_lt_u64_e32 vcc, s[48:49], v[10:11]
	v_cndmask_b32_e32 v31, v35, v22, vcc
	v_cndmask_b32_e64 v22, 0, 1, vcc
	v_lshrrev_b64 v[10:11], v22, v[10:11]
; %bb.2010:                             ;   in Loop: Header=BB2_1481 Depth=2
	s_andn2_saveexec_b64 s[24:25], s[24:25]
; %bb.2011:                             ;   in Loop: Header=BB2_1481 Depth=2
	v_bfe_u32 v31, v10, 23, 1
; %bb.2012:                             ;   in Loop: Header=BB2_1481 Depth=2
	s_or_b64 exec, exec, s[24:25]
	v_lshrrev_b64 v[10:11], 20, v[10:11]
	v_cmp_gt_i32_e32 vcc, 16, v31
	v_cndmask_b32_e32 v11, 0, v11, vcc
	v_cndmask_b32_e32 v10, 7, v10, vcc
	v_cmp_eq_u64_e64 s[24:25], 0, v[10:11]
	v_min_i32_e32 v11, 15, v31
	v_cmp_eq_u32_e32 vcc, 0, v31
	v_lshlrev_b32_e32 v11, 3, v11
	v_and_or_b32 v10, v10, 7, v11
	s_and_b64 s[24:25], vcc, s[24:25]
	v_cndmask_b32_e64 v10, v10, 0, s[24:25]
	v_or_b32_e32 v11, v10, v3
.LBB2_2013:                             ;   in Loop: Header=BB2_1481 Depth=2
	s_or_b64 exec, exec, s[64:65]
.LBB2_2014:                             ;   in Loop: Header=BB2_1481 Depth=2
	s_or_b64 exec, exec, s[62:63]
                                        ; implicit-def: $vgpr10
.LBB2_2015:                             ;   in Loop: Header=BB2_1481 Depth=2
	s_andn2_saveexec_b64 s[24:25], s[60:61]
; %bb.2016:                             ;   in Loop: Header=BB2_1481 Depth=2
	v_or_b32_sdwa v3, v10, s74 dst_sel:DWORD dst_unused:UNUSED_PAD src0_sel:BYTE_3 src1_sel:DWORD
	v_cmp_eq_u64_e32 vcc, 0, v[38:39]
	v_cndmask_b32_e32 v11, v3, v11, vcc
; %bb.2017:                             ;   in Loop: Header=BB2_1481 Depth=2
	s_or_b64 exec, exec, s[24:25]
	v_cmp_ne_u16_sdwa vcc, v2, v39 src0_sel:BYTE_0 src1_sel:DWORD
	v_mov_b32_e32 v3, 0
	v_mov_b32_e32 v10, 0
	s_and_saveexec_b64 s[24:25], vcc
	s_cbranch_execz .LBB2_2023
; %bb.2018:                             ;   in Loop: Header=BB2_1481 Depth=2
	v_cmp_ne_u16_sdwa vcc, v2, s75 src0_sel:BYTE_0 src1_sel:DWORD
	v_bfrev_b32_e32 v10, 1
	s_and_saveexec_b64 s[60:61], vcc
	s_cbranch_execz .LBB2_2022
; %bb.2019:                             ;   in Loop: Header=BB2_1481 Depth=2
	v_and_b32_e32 v31, 0x7f, v2
	v_cmp_ne_u32_e32 vcc, s74, v31
	v_mov_b32_e32 v10, 0x7f800001
	s_and_saveexec_b64 s[62:63], vcc
	s_cbranch_execz .LBB2_2021
; %bb.2020:                             ;   in Loop: Header=BB2_1481 Depth=2
	v_and_b32_e32 v10, 7, v2
	v_ffbh_u32_e32 v22, v10
	v_min_u32_e32 v36, 32, v22
	v_subrev_u32_e32 v22, 28, v36
	v_lshlrev_b64 v[22:23], v22, v[2:3]
	v_lshrrev_b32_e32 v35, 3, v31
	v_sub_u32_e32 v23, 29, v36
	v_and_b32_e32 v22, 7, v22
	v_cmp_gt_u32_e32 vcc, 8, v31
	v_cndmask_b32_e32 v23, v35, v23, vcc
	v_cndmask_b32_e32 v10, v10, v22, vcc
	v_lshlrev_b32_e32 v2, 24, v2
	v_lshlrev_b32_e32 v10, 20, v10
	v_and_b32_e32 v2, 0x80000000, v2
	v_lshl_add_u32 v22, v23, 23, v20
	v_or3_b32 v10, v2, v22, v10
.LBB2_2021:                             ;   in Loop: Header=BB2_1481 Depth=2
	s_or_b64 exec, exec, s[62:63]
.LBB2_2022:                             ;   in Loop: Header=BB2_1481 Depth=2
	s_or_b64 exec, exec, s[60:61]
.LBB2_2023:                             ;   in Loop: Header=BB2_1481 Depth=2
	s_or_b64 exec, exec, s[24:25]
	v_lshrrev_b32_e32 v2, 16, v12
	v_cmp_ne_u16_sdwa vcc, v2, v39 src0_sel:BYTE_0 src1_sel:DWORD
	s_and_saveexec_b64 s[24:25], vcc
	s_cbranch_execz .LBB2_2029
; %bb.2024:                             ;   in Loop: Header=BB2_1481 Depth=2
	v_cmp_ne_u16_sdwa vcc, v2, s75 src0_sel:BYTE_0 src1_sel:DWORD
	v_bfrev_b32_e32 v3, 1
	s_and_saveexec_b64 s[60:61], vcc
	s_cbranch_execz .LBB2_2028
; %bb.2025:                             ;   in Loop: Header=BB2_1481 Depth=2
	v_bfe_u32 v31, v12, 16, 7
	v_cmp_ne_u32_e32 vcc, s74, v31
	v_mov_b32_e32 v3, 0x7f800001
	s_and_saveexec_b64 s[62:63], vcc
	s_cbranch_execz .LBB2_2027
; %bb.2026:                             ;   in Loop: Header=BB2_1481 Depth=2
	v_and_b32_e32 v22, 7, v2
	v_ffbh_u32_e32 v3, v22
	v_min_u32_e32 v35, 32, v3
	v_subrev_u32_e32 v3, 28, v35
	v_lshlrev_b64 v[2:3], v3, v[2:3]
	v_lshrrev_b32_e32 v23, 3, v31
	v_sub_u32_e32 v3, 29, v35
	v_and_b32_e32 v2, 7, v2
	v_cmp_gt_u32_e32 vcc, 8, v31
	v_cndmask_b32_e32 v3, v23, v3, vcc
	v_cndmask_b32_e32 v2, v22, v2, vcc
	v_lshlrev_b32_e32 v22, 8, v12
	v_lshlrev_b32_e32 v2, 20, v2
	v_and_b32_e32 v22, 0x80000000, v22
	v_lshl_add_u32 v3, v3, 23, v20
	v_or3_b32 v3, v22, v3, v2
.LBB2_2027:                             ;   in Loop: Header=BB2_1481 Depth=2
	s_or_b64 exec, exec, s[62:63]
.LBB2_2028:                             ;   in Loop: Header=BB2_1481 Depth=2
	s_or_b64 exec, exec, s[60:61]
.LBB2_2029:                             ;   in Loop: Header=BB2_1481 Depth=2
	s_or_b64 exec, exec, s[24:25]
	v_add_f32_e32 v2, v10, v3
	v_and_b32_sdwa v10, v2, s75 dst_sel:DWORD dst_unused:UNUSED_PAD src0_sel:BYTE_3 src1_sel:DWORD
	v_and_b32_e32 v22, 0x7f800000, v2
	v_mov_b32_e32 v23, v39
	v_and_b32_e32 v38, 0x7fffff, v2
	v_or_b32_e32 v31, 0x7e, v10
	v_cmp_ne_u64_e32 vcc, s[42:43], v[22:23]
	s_and_saveexec_b64 s[24:25], vcc
	s_xor_b64 s[60:61], exec, s[24:25]
	s_cbranch_execz .LBB2_2039
; %bb.2030:                             ;   in Loop: Header=BB2_1481 Depth=2
	v_and_b32_e32 v22, 0x7fffffff, v2
	v_mov_b32_e32 v23, v39
	v_cmp_gt_u64_e32 vcc, s[44:45], v[22:23]
	s_and_saveexec_b64 s[62:63], vcc
	s_cbranch_execz .LBB2_2038
; %bb.2031:                             ;   in Loop: Header=BB2_1481 Depth=2
	v_cmp_ne_u32_e32 vcc, 0, v2
	v_mov_b32_e32 v31, 0
	s_and_saveexec_b64 s[64:65], vcc
	s_cbranch_execz .LBB2_2037
; %bb.2032:                             ;   in Loop: Header=BB2_1481 Depth=2
	v_bfe_u32 v2, v2, 23, 8
	v_sub_u32_e32 v22, 0x79, v2
	v_cmp_gt_u32_e32 vcc, s76, v2
	v_cndmask_b32_e32 v22, 0, v22, vcc
	v_cmp_eq_u32_e32 vcc, 0, v2
	v_add_u32_e32 v3, 0xffffff81, v2
	v_or_b32_e32 v23, 0x800000, v38
	v_mov_b32_e32 v2, 0xffffff82
	v_cndmask_b32_e32 v35, v22, v18, vcc
	v_cndmask_b32_e32 v31, v3, v2, vcc
	;; [unrolled: 1-line block ×3, first 2 shown]
	v_add_u32_e32 v2, 20, v35
	v_lshlrev_b64 v[2:3], v2, -1
	v_lshrrev_b64 v[48:49], v35, v[38:39]
	v_not_b32_e32 v3, v3
	v_not_b32_e32 v2, v2
	v_add_u32_e32 v22, 19, v35
	v_lshrrev_b32_e32 v36, 23, v48
	v_and_b32_e32 v3, 0, v3
	v_and_b32_e32 v2, v38, v2
	v_lshlrev_b64 v[22:23], v22, 1
	v_add3_u32 v36, v35, v31, v36
	v_bfe_u32 v31, v48, 20, 1
	v_add_u32_e32 v31, -1, v31
	v_cmp_eq_u64_e32 vcc, v[2:3], v[22:23]
	v_cndmask_b32_e32 v2, 0, v31, vcc
	v_add_u32_e32 v2, v2, v48
	v_and_b32_e32 v2, 0xfffff, v2
	v_add_co_u32_e32 v2, vcc, v2, v48
	v_add_u32_e32 v35, 6, v36
	v_addc_co_u32_e32 v3, vcc, 0, v49, vcc
	v_cmp_ne_u32_e32 vcc, 0, v35
                                        ; implicit-def: $vgpr31
	s_and_saveexec_b64 s[24:25], vcc
	s_xor_b64 s[24:25], exec, s[24:25]
; %bb.2033:                             ;   in Loop: Header=BB2_1481 Depth=2
	v_add_u32_e32 v22, 7, v36
	v_cmp_lt_u64_e32 vcc, s[48:49], v[2:3]
	v_cndmask_b32_e32 v31, v35, v22, vcc
	v_cndmask_b32_e64 v22, 0, 1, vcc
	v_lshrrev_b64 v[2:3], v22, v[2:3]
; %bb.2034:                             ;   in Loop: Header=BB2_1481 Depth=2
	s_andn2_saveexec_b64 s[24:25], s[24:25]
; %bb.2035:                             ;   in Loop: Header=BB2_1481 Depth=2
	v_bfe_u32 v31, v2, 23, 1
; %bb.2036:                             ;   in Loop: Header=BB2_1481 Depth=2
	s_or_b64 exec, exec, s[24:25]
	v_lshrrev_b64 v[2:3], 20, v[2:3]
	v_cmp_gt_i32_e32 vcc, 16, v31
	v_cndmask_b32_e32 v3, 0, v3, vcc
	v_cndmask_b32_e32 v2, 7, v2, vcc
	v_cmp_eq_u64_e64 s[24:25], 0, v[2:3]
	v_min_i32_e32 v3, 15, v31
	v_cmp_eq_u32_e32 vcc, 0, v31
	v_lshlrev_b32_e32 v3, 3, v3
	v_and_or_b32 v2, v2, 7, v3
	s_and_b64 s[24:25], vcc, s[24:25]
	v_cndmask_b32_e64 v2, v2, 0, s[24:25]
	v_or_b32_e32 v31, v2, v10
.LBB2_2037:                             ;   in Loop: Header=BB2_1481 Depth=2
	s_or_b64 exec, exec, s[64:65]
.LBB2_2038:                             ;   in Loop: Header=BB2_1481 Depth=2
	s_or_b64 exec, exec, s[62:63]
                                        ; implicit-def: $vgpr2
.LBB2_2039:                             ;   in Loop: Header=BB2_1481 Depth=2
	s_andn2_saveexec_b64 s[24:25], s[60:61]
; %bb.2040:                             ;   in Loop: Header=BB2_1481 Depth=2
	v_or_b32_sdwa v2, v2, s74 dst_sel:DWORD dst_unused:UNUSED_PAD src0_sel:BYTE_3 src1_sel:DWORD
	v_cmp_eq_u64_e32 vcc, 0, v[38:39]
	v_cndmask_b32_e32 v31, v2, v31, vcc
; %bb.2041:                             ;   in Loop: Header=BB2_1481 Depth=2
	s_or_b64 exec, exec, s[24:25]
	v_lshlrev_b32_e32 v2, 8, v6
	v_and_b32_e32 v2, 0xff00, v2
	v_cmp_ne_u32_e32 vcc, 0, v2
	v_mov_b32_e32 v3, 0
	v_mov_b32_e32 v6, 0
	s_and_saveexec_b64 s[24:25], vcc
	s_cbranch_execz .LBB2_2047
; %bb.2042:                             ;   in Loop: Header=BB2_1481 Depth=2
	v_cmp_ne_u32_e32 vcc, s78, v2
	v_bfrev_b32_e32 v6, 1
	s_and_saveexec_b64 s[60:61], vcc
	s_cbranch_execz .LBB2_2046
; %bb.2043:                             ;   in Loop: Header=BB2_1481 Depth=2
	v_bfe_u32 v10, v2, 8, 7
	v_cmp_ne_u32_e32 vcc, s74, v10
	v_mov_b32_e32 v6, 0x7f800001
	s_and_saveexec_b64 s[62:63], vcc
	s_cbranch_execz .LBB2_2045
; %bb.2044:                             ;   in Loop: Header=BB2_1481 Depth=2
	v_lshrrev_b32_e32 v6, 8, v2
	v_and_b32_e32 v35, 7, v6
	v_ffbh_u32_e32 v22, v35
	v_min_u32_e32 v37, 32, v22
	v_subrev_u32_e32 v22, 28, v37
	v_lshlrev_b64 v[22:23], v22, v[6:7]
	v_lshrrev_b32_e32 v36, 3, v10
	v_sub_u32_e32 v6, 29, v37
	v_and_b32_e32 v22, 7, v22
	v_cmp_gt_u32_e32 vcc, 8, v10
	v_cndmask_b32_e32 v6, v36, v6, vcc
	v_cndmask_b32_e32 v10, v35, v22, vcc
	v_lshlrev_b32_e32 v2, 16, v2
	v_lshlrev_b32_e32 v10, 20, v10
	v_and_b32_e32 v2, 0x80000000, v2
	v_lshl_add_u32 v6, v6, 23, v20
	v_or3_b32 v6, v2, v6, v10
.LBB2_2045:                             ;   in Loop: Header=BB2_1481 Depth=2
	s_or_b64 exec, exec, s[62:63]
.LBB2_2046:                             ;   in Loop: Header=BB2_1481 Depth=2
	s_or_b64 exec, exec, s[60:61]
.LBB2_2047:                             ;   in Loop: Header=BB2_1481 Depth=2
	s_or_b64 exec, exec, s[24:25]
	v_cmp_lt_u32_e32 vcc, s47, v12
	s_and_saveexec_b64 s[24:25], vcc
	s_cbranch_execz .LBB2_2053
; %bb.2048:                             ;   in Loop: Header=BB2_1481 Depth=2
	v_lshrrev_b32_e32 v2, 24, v12
	v_cmp_ne_u32_e32 vcc, s75, v2
	v_bfrev_b32_e32 v3, 1
	s_and_saveexec_b64 s[60:61], vcc
	s_cbranch_execz .LBB2_2052
; %bb.2049:                             ;   in Loop: Header=BB2_1481 Depth=2
	v_bfe_u32 v10, v12, 24, 7
	v_cmp_ne_u32_e32 vcc, s74, v10
	v_mov_b32_e32 v3, 0x7f800001
	s_and_saveexec_b64 s[62:63], vcc
	s_cbranch_execz .LBB2_2051
; %bb.2050:                             ;   in Loop: Header=BB2_1481 Depth=2
	v_and_b32_e32 v3, 7, v2
	v_ffbh_u32_e32 v22, v3
	v_min_u32_e32 v36, 32, v22
	v_subrev_u32_e32 v22, 28, v36
	v_lshlrev_b64 v[22:23], v22, v[2:3]
	v_lshrrev_b32_e32 v35, 3, v10
	v_sub_u32_e32 v23, 29, v36
	v_and_b32_e32 v22, 7, v22
	v_cmp_gt_u32_e32 vcc, 8, v10
	v_cndmask_b32_e32 v10, v35, v23, vcc
	v_cndmask_b32_e32 v3, v3, v22, vcc
	v_lshlrev_b32_e32 v2, 24, v2
	v_lshlrev_b32_e32 v3, 20, v3
	v_and_b32_e32 v2, 0x80000000, v2
	v_lshl_add_u32 v10, v10, 23, v20
	v_or3_b32 v3, v2, v10, v3
.LBB2_2051:                             ;   in Loop: Header=BB2_1481 Depth=2
	s_or_b64 exec, exec, s[62:63]
.LBB2_2052:                             ;   in Loop: Header=BB2_1481 Depth=2
	s_or_b64 exec, exec, s[60:61]
.LBB2_2053:                             ;   in Loop: Header=BB2_1481 Depth=2
	s_or_b64 exec, exec, s[24:25]
	v_add_f32_e32 v2, v6, v3
	v_and_b32_sdwa v10, v2, s75 dst_sel:DWORD dst_unused:UNUSED_PAD src0_sel:BYTE_3 src1_sel:DWORD
	v_and_b32_e32 v22, 0x7f800000, v2
	v_mov_b32_e32 v23, v39
	v_and_b32_e32 v38, 0x7fffff, v2
	v_or_b32_e32 v6, 0x7e, v10
	v_cmp_ne_u64_e32 vcc, s[42:43], v[22:23]
	s_and_saveexec_b64 s[24:25], vcc
	s_xor_b64 s[60:61], exec, s[24:25]
	s_cbranch_execz .LBB2_2063
; %bb.2054:                             ;   in Loop: Header=BB2_1481 Depth=2
	v_and_b32_e32 v22, 0x7fffffff, v2
	v_mov_b32_e32 v23, v39
	v_cmp_gt_u64_e32 vcc, s[44:45], v[22:23]
	s_and_saveexec_b64 s[62:63], vcc
	s_cbranch_execz .LBB2_2062
; %bb.2055:                             ;   in Loop: Header=BB2_1481 Depth=2
	v_cmp_ne_u32_e32 vcc, 0, v2
	v_mov_b32_e32 v6, 0
	s_and_saveexec_b64 s[64:65], vcc
	s_cbranch_execz .LBB2_2061
; %bb.2056:                             ;   in Loop: Header=BB2_1481 Depth=2
	v_bfe_u32 v2, v2, 23, 8
	v_sub_u32_e32 v6, 0x79, v2
	v_cmp_gt_u32_e32 vcc, s76, v2
	v_cndmask_b32_e32 v6, 0, v6, vcc
	v_cmp_eq_u32_e32 vcc, 0, v2
	v_add_u32_e32 v3, 0xffffff81, v2
	v_or_b32_e32 v22, 0x800000, v38
	v_mov_b32_e32 v2, 0xffffff82
	v_cndmask_b32_e32 v6, v6, v18, vcc
	v_cndmask_b32_e32 v35, v3, v2, vcc
	v_cndmask_b32_e32 v38, v22, v38, vcc
	v_add_u32_e32 v2, 20, v6
	v_lshlrev_b64 v[2:3], v2, -1
	v_lshrrev_b64 v[48:49], v6, v[38:39]
	v_not_b32_e32 v3, v3
	v_not_b32_e32 v2, v2
	v_add_u32_e32 v22, 19, v6
	v_lshrrev_b32_e32 v36, 23, v48
	v_and_b32_e32 v3, 0, v3
	v_and_b32_e32 v2, v38, v2
	v_lshlrev_b64 v[22:23], v22, 1
	v_add3_u32 v36, v6, v35, v36
	v_bfe_u32 v6, v48, 20, 1
	v_add_u32_e32 v6, -1, v6
	v_cmp_eq_u64_e32 vcc, v[2:3], v[22:23]
	v_cndmask_b32_e32 v2, 0, v6, vcc
	v_add_u32_e32 v2, v2, v48
	v_and_b32_e32 v2, 0xfffff, v2
	v_add_co_u32_e32 v2, vcc, v2, v48
	v_add_u32_e32 v35, 6, v36
	v_addc_co_u32_e32 v3, vcc, 0, v49, vcc
	v_cmp_ne_u32_e32 vcc, 0, v35
                                        ; implicit-def: $vgpr6
	s_and_saveexec_b64 s[24:25], vcc
	s_xor_b64 s[24:25], exec, s[24:25]
; %bb.2057:                             ;   in Loop: Header=BB2_1481 Depth=2
	v_cmp_lt_u64_e32 vcc, s[48:49], v[2:3]
	v_add_u32_e32 v6, 7, v36
	v_cndmask_b32_e64 v22, 0, 1, vcc
	v_cndmask_b32_e32 v6, v35, v6, vcc
	v_lshrrev_b64 v[2:3], v22, v[2:3]
; %bb.2058:                             ;   in Loop: Header=BB2_1481 Depth=2
	s_andn2_saveexec_b64 s[24:25], s[24:25]
; %bb.2059:                             ;   in Loop: Header=BB2_1481 Depth=2
	v_bfe_u32 v6, v2, 23, 1
; %bb.2060:                             ;   in Loop: Header=BB2_1481 Depth=2
	s_or_b64 exec, exec, s[24:25]
	v_lshrrev_b64 v[2:3], 20, v[2:3]
	v_cmp_gt_i32_e32 vcc, 16, v6
	v_cndmask_b32_e32 v3, 0, v3, vcc
	v_cndmask_b32_e32 v2, 7, v2, vcc
	v_cmp_eq_u64_e64 s[24:25], 0, v[2:3]
	v_min_i32_e32 v3, 15, v6
	v_cmp_eq_u32_e32 vcc, 0, v6
	v_lshlrev_b32_e32 v3, 3, v3
	v_and_or_b32 v2, v2, 7, v3
	s_and_b64 s[24:25], vcc, s[24:25]
	v_cndmask_b32_e64 v2, v2, 0, s[24:25]
	v_or_b32_e32 v6, v2, v10
.LBB2_2061:                             ;   in Loop: Header=BB2_1481 Depth=2
	s_or_b64 exec, exec, s[64:65]
.LBB2_2062:                             ;   in Loop: Header=BB2_1481 Depth=2
	s_or_b64 exec, exec, s[62:63]
                                        ; implicit-def: $vgpr2
.LBB2_2063:                             ;   in Loop: Header=BB2_1481 Depth=2
	s_andn2_saveexec_b64 s[24:25], s[60:61]
; %bb.2064:                             ;   in Loop: Header=BB2_1481 Depth=2
	v_or_b32_sdwa v2, v2, s74 dst_sel:DWORD dst_unused:UNUSED_PAD src0_sel:BYTE_3 src1_sel:DWORD
	v_cmp_eq_u64_e32 vcc, 0, v[38:39]
	v_cndmask_b32_e32 v6, v2, v6, vcc
; %bb.2065:                             ;   in Loop: Header=BB2_1481 Depth=2
	s_or_b64 exec, exec, s[24:25]
	v_lshlrev_b32_e32 v9, 8, v9
	v_lshlrev_b32_e32 v2, 24, v33
	v_perm_b32 v3, v30, v5, s79
	v_or3_b32 v38, v3, v2, v9
	v_cmp_ne_u16_sdwa vcc, v5, v39 src0_sel:BYTE_0 src1_sel:DWORD
	v_mov_b32_e32 v3, 0
	v_mov_b32_e32 v2, 0
	s_and_saveexec_b64 s[24:25], vcc
	s_cbranch_execz .LBB2_2071
; %bb.2066:                             ;   in Loop: Header=BB2_1481 Depth=2
	v_cmp_ne_u16_sdwa vcc, v5, s75 src0_sel:BYTE_0 src1_sel:DWORD
	v_bfrev_b32_e32 v2, 1
	s_and_saveexec_b64 s[60:61], vcc
	s_cbranch_execz .LBB2_2070
; %bb.2067:                             ;   in Loop: Header=BB2_1481 Depth=2
	v_and_b32_e32 v10, 0x7f, v5
	v_cmp_ne_u32_e32 vcc, s74, v10
	v_mov_b32_e32 v2, 0x7f800001
	s_and_saveexec_b64 s[62:63], vcc
	s_cbranch_execz .LBB2_2069
; %bb.2068:                             ;   in Loop: Header=BB2_1481 Depth=2
	v_and_b32_e32 v2, 7, v5
	v_ffbh_u32_e32 v2, v2
	v_min_u32_e32 v2, 32, v2
	v_lshrrev_b32_e32 v5, 3, v10
	v_subrev_u32_e32 v22, 28, v2
	v_sub_u32_e32 v2, 29, v2
	v_cmp_gt_u32_e32 vcc, 8, v10
	v_cndmask_b32_e32 v2, v5, v2, vcc
	v_cndmask_b32_e32 v5, 0, v22, vcc
	v_lshlrev_b64 v[22:23], v5, v[38:39]
	v_lshlrev_b32_e32 v5, 20, v22
	v_lshlrev_b32_e32 v10, 24, v38
	v_and_b32_e32 v5, 0x700000, v5
	v_and_b32_e32 v10, 0x80000000, v10
	v_lshl_add_u32 v2, v2, 23, v20
	v_or3_b32 v2, v10, v2, v5
.LBB2_2069:                             ;   in Loop: Header=BB2_1481 Depth=2
	s_or_b64 exec, exec, s[62:63]
.LBB2_2070:                             ;   in Loop: Header=BB2_1481 Depth=2
	s_or_b64 exec, exec, s[60:61]
.LBB2_2071:                             ;   in Loop: Header=BB2_1481 Depth=2
	s_or_b64 exec, exec, s[24:25]
	v_cmp_ne_u16_sdwa vcc, v13, v39 src0_sel:BYTE_0 src1_sel:DWORD
	s_and_saveexec_b64 s[24:25], vcc
	s_cbranch_execz .LBB2_2077
; %bb.2072:                             ;   in Loop: Header=BB2_1481 Depth=2
	v_cmp_ne_u16_sdwa vcc, v13, s75 src0_sel:BYTE_0 src1_sel:DWORD
	v_bfrev_b32_e32 v3, 1
	s_and_saveexec_b64 s[60:61], vcc
	s_cbranch_execz .LBB2_2076
; %bb.2073:                             ;   in Loop: Header=BB2_1481 Depth=2
	v_and_b32_e32 v5, 0x7f, v13
	v_cmp_ne_u32_e32 vcc, s74, v5
	v_mov_b32_e32 v3, 0x7f800001
	s_and_saveexec_b64 s[62:63], vcc
	s_cbranch_execz .LBB2_2075
; %bb.2074:                             ;   in Loop: Header=BB2_1481 Depth=2
	v_and_b32_e32 v3, 7, v13
	v_ffbh_u32_e32 v3, v3
	v_min_u32_e32 v3, 32, v3
	v_subrev_u32_e32 v30, 28, v3
	v_cmp_gt_u32_e32 vcc, 8, v5
	v_mov_b32_e32 v22, v13
	v_mov_b32_e32 v23, v39
	v_lshrrev_b32_e32 v10, 3, v5
	v_cndmask_b32_e32 v5, 0, v30, vcc
	v_sub_u32_e32 v3, 29, v3
	v_lshlrev_b64 v[36:37], v5, v[22:23]
	v_cndmask_b32_e32 v3, v10, v3, vcc
	v_lshlrev_b32_e32 v5, 20, v36
	v_lshlrev_b32_e32 v10, 24, v22
	v_and_b32_e32 v5, 0x700000, v5
	v_and_b32_e32 v10, 0x80000000, v10
	v_lshl_add_u32 v3, v3, 23, v20
	v_or3_b32 v3, v10, v3, v5
.LBB2_2075:                             ;   in Loop: Header=BB2_1481 Depth=2
	s_or_b64 exec, exec, s[62:63]
.LBB2_2076:                             ;   in Loop: Header=BB2_1481 Depth=2
	s_or_b64 exec, exec, s[60:61]
.LBB2_2077:                             ;   in Loop: Header=BB2_1481 Depth=2
	s_or_b64 exec, exec, s[24:25]
	v_add_f32_e32 v30, v2, v3
	v_and_b32_sdwa v10, v30, s75 dst_sel:DWORD dst_unused:UNUSED_PAD src0_sel:BYTE_3 src1_sel:DWORD
	v_and_b32_e32 v22, 0x7f800000, v30
	v_mov_b32_e32 v23, v39
	v_and_b32_e32 v2, 0x7fffff, v30
	v_mov_b32_e32 v3, v39
	v_or_b32_e32 v5, 0x7e, v10
	v_cmp_ne_u64_e32 vcc, s[42:43], v[22:23]
	s_and_saveexec_b64 s[24:25], vcc
	s_xor_b64 s[60:61], exec, s[24:25]
	s_cbranch_execz .LBB2_2087
; %bb.2078:                             ;   in Loop: Header=BB2_1481 Depth=2
	v_and_b32_e32 v22, 0x7fffffff, v30
	v_mov_b32_e32 v23, v39
	v_cmp_gt_u64_e32 vcc, s[44:45], v[22:23]
	s_and_saveexec_b64 s[62:63], vcc
	s_cbranch_execz .LBB2_2086
; %bb.2079:                             ;   in Loop: Header=BB2_1481 Depth=2
	v_cmp_ne_u32_e32 vcc, 0, v30
	v_mov_b32_e32 v5, 0
	s_and_saveexec_b64 s[64:65], vcc
	s_cbranch_execz .LBB2_2085
; %bb.2080:                             ;   in Loop: Header=BB2_1481 Depth=2
	v_bfe_u32 v5, v30, 23, 8
	v_sub_u32_e32 v23, 0x79, v5
	v_cmp_gt_u32_e32 vcc, s76, v5
	v_cndmask_b32_e32 v23, 0, v23, vcc
	v_cmp_eq_u32_e32 vcc, 0, v5
	v_add_u32_e32 v22, 0xffffff81, v5
	v_mov_b32_e32 v5, 0xffffff82
	v_cndmask_b32_e32 v33, v23, v18, vcc
	v_cndmask_b32_e32 v5, v22, v5, vcc
	v_add_u32_e32 v22, 20, v33
	v_or_b32_e32 v30, 0x800000, v2
	v_lshlrev_b64 v[22:23], v22, -1
	v_cndmask_b32_e32 v2, v30, v2, vcc
	v_not_b32_e32 v22, v22
	v_and_b32_e32 v22, v2, v22
	v_add_u32_e32 v30, 19, v33
	v_lshrrev_b64 v[2:3], v33, v[2:3]
	v_not_b32_e32 v23, v23
	v_lshlrev_b64 v[36:37], v30, 1
	v_lshrrev_b32_e32 v30, 23, v2
	v_and_b32_e32 v23, 0, v23
	v_add3_u32 v33, v33, v5, v30
	v_bfe_u32 v5, v2, 20, 1
	v_add_u32_e32 v5, -1, v5
	v_cmp_eq_u64_e32 vcc, v[22:23], v[36:37]
	v_cndmask_b32_e32 v5, 0, v5, vcc
	v_add_u32_e32 v5, v5, v2
	v_and_b32_e32 v5, 0xfffff, v5
	v_add_co_u32_e32 v2, vcc, v5, v2
	v_add_u32_e32 v30, 6, v33
	v_addc_co_u32_e32 v3, vcc, 0, v3, vcc
	v_cmp_ne_u32_e32 vcc, 0, v30
                                        ; implicit-def: $vgpr5
	s_and_saveexec_b64 s[24:25], vcc
	s_xor_b64 s[24:25], exec, s[24:25]
; %bb.2081:                             ;   in Loop: Header=BB2_1481 Depth=2
	v_cmp_lt_u64_e32 vcc, s[48:49], v[2:3]
	v_add_u32_e32 v5, 7, v33
	v_cndmask_b32_e64 v22, 0, 1, vcc
	v_cndmask_b32_e32 v5, v30, v5, vcc
	v_lshrrev_b64 v[2:3], v22, v[2:3]
; %bb.2082:                             ;   in Loop: Header=BB2_1481 Depth=2
	s_andn2_saveexec_b64 s[24:25], s[24:25]
; %bb.2083:                             ;   in Loop: Header=BB2_1481 Depth=2
	v_bfe_u32 v5, v2, 23, 1
; %bb.2084:                             ;   in Loop: Header=BB2_1481 Depth=2
	s_or_b64 exec, exec, s[24:25]
	v_lshrrev_b64 v[2:3], 20, v[2:3]
	v_cmp_gt_i32_e32 vcc, 16, v5
	v_cndmask_b32_e32 v3, 0, v3, vcc
	v_cndmask_b32_e32 v2, 7, v2, vcc
	v_cmp_eq_u64_e64 s[24:25], 0, v[2:3]
	v_min_i32_e32 v3, 15, v5
	v_cmp_eq_u32_e32 vcc, 0, v5
	v_lshlrev_b32_e32 v3, 3, v3
	v_and_or_b32 v2, v2, 7, v3
	s_and_b64 s[24:25], vcc, s[24:25]
	v_cndmask_b32_e64 v2, v2, 0, s[24:25]
	v_or_b32_e32 v5, v2, v10
.LBB2_2085:                             ;   in Loop: Header=BB2_1481 Depth=2
	s_or_b64 exec, exec, s[64:65]
.LBB2_2086:                             ;   in Loop: Header=BB2_1481 Depth=2
	s_or_b64 exec, exec, s[62:63]
                                        ; implicit-def: $vgpr30
                                        ; implicit-def: $vgpr2_vgpr3
.LBB2_2087:                             ;   in Loop: Header=BB2_1481 Depth=2
	s_andn2_saveexec_b64 s[24:25], s[60:61]
; %bb.2088:                             ;   in Loop: Header=BB2_1481 Depth=2
	v_or_b32_sdwa v10, v30, s74 dst_sel:DWORD dst_unused:UNUSED_PAD src0_sel:BYTE_3 src1_sel:DWORD
	v_cmp_eq_u64_e32 vcc, 0, v[2:3]
	v_cndmask_b32_e32 v5, v10, v5, vcc
; %bb.2089:                             ;   in Loop: Header=BB2_1481 Depth=2
	s_or_b64 exec, exec, s[24:25]
	v_lshrrev_b16_e32 v2, 8, v9
	v_cmp_ne_u16_e32 vcc, 0, v2
	v_mov_b32_e32 v3, 0
	v_mov_b32_e32 v30, 0
	s_and_saveexec_b64 s[24:25], vcc
	s_cbranch_execz .LBB2_2095
; %bb.2090:                             ;   in Loop: Header=BB2_1481 Depth=2
	v_cmp_ne_u16_e32 vcc, s75, v2
	v_bfrev_b32_e32 v30, 1
	s_and_saveexec_b64 s[60:61], vcc
	s_cbranch_execz .LBB2_2094
; %bb.2091:                             ;   in Loop: Header=BB2_1481 Depth=2
	v_and_b32_e32 v10, 0x7f, v2
	v_cmp_ne_u32_e32 vcc, s74, v10
	v_mov_b32_e32 v30, 0x7f800001
	s_and_saveexec_b64 s[62:63], vcc
	s_cbranch_execz .LBB2_2093
; %bb.2092:                             ;   in Loop: Header=BB2_1481 Depth=2
	v_and_b32_e32 v30, 7, v2
	v_ffbh_u32_e32 v22, v30
	v_min_u32_e32 v35, 32, v22
	v_subrev_u32_e32 v22, 28, v35
	v_lshlrev_b64 v[22:23], v22, v[2:3]
	v_lshrrev_b32_e32 v33, 3, v10
	v_sub_u32_e32 v2, 29, v35
	v_and_b32_e32 v22, 7, v22
	v_cmp_gt_u32_e32 vcc, 8, v10
	v_cndmask_b32_e32 v2, v33, v2, vcc
	v_cndmask_b32_e32 v10, v30, v22, vcc
	v_lshlrev_b32_e32 v9, 16, v9
	v_lshlrev_b32_e32 v10, 20, v10
	v_and_b32_e32 v9, 0x80000000, v9
	v_lshl_add_u32 v2, v2, 23, v20
	v_or3_b32 v30, v9, v2, v10
.LBB2_2093:                             ;   in Loop: Header=BB2_1481 Depth=2
	s_or_b64 exec, exec, s[62:63]
.LBB2_2094:                             ;   in Loop: Header=BB2_1481 Depth=2
	s_or_b64 exec, exec, s[60:61]
.LBB2_2095:                             ;   in Loop: Header=BB2_1481 Depth=2
	s_or_b64 exec, exec, s[24:25]
	v_mov_b32_e32 v2, v13
	v_lshrrev_b16_e32 v10, 8, v2
	v_cmp_ne_u16_e32 vcc, 0, v10
	s_and_saveexec_b64 s[24:25], vcc
	s_cbranch_execz .LBB2_2101
; %bb.2096:                             ;   in Loop: Header=BB2_1481 Depth=2
	v_cmp_ne_u16_e32 vcc, s75, v10
	v_bfrev_b32_e32 v3, 1
	s_and_saveexec_b64 s[60:61], vcc
	s_cbranch_execz .LBB2_2100
; %bb.2097:                             ;   in Loop: Header=BB2_1481 Depth=2
	v_and_b32_e32 v9, 0x7f, v10
	v_cmp_ne_u32_e32 vcc, s74, v9
	v_mov_b32_e32 v3, 0x7f800001
	s_and_saveexec_b64 s[62:63], vcc
	s_cbranch_execz .LBB2_2099
; %bb.2098:                             ;   in Loop: Header=BB2_1481 Depth=2
	v_and_b32_e32 v3, 7, v10
	v_ffbh_u32_e32 v22, v3
	v_min_u32_e32 v35, 32, v22
	v_subrev_u32_e32 v22, 28, v35
	v_lshlrev_b64 v[22:23], v22, v[10:11]
	v_lshrrev_b32_e32 v33, 3, v9
	v_sub_u32_e32 v10, 29, v35
	v_and_b32_e32 v22, 7, v22
	v_cmp_gt_u32_e32 vcc, 8, v9
	v_cndmask_b32_e32 v9, v33, v10, vcc
	v_cndmask_b32_e32 v3, v3, v22, vcc
	v_lshlrev_b32_e32 v2, 16, v2
	v_lshlrev_b32_e32 v3, 20, v3
	v_and_b32_e32 v2, 0x80000000, v2
	v_lshl_add_u32 v9, v9, 23, v20
	v_or3_b32 v3, v2, v9, v3
.LBB2_2099:                             ;   in Loop: Header=BB2_1481 Depth=2
	s_or_b64 exec, exec, s[62:63]
.LBB2_2100:                             ;   in Loop: Header=BB2_1481 Depth=2
	s_or_b64 exec, exec, s[60:61]
.LBB2_2101:                             ;   in Loop: Header=BB2_1481 Depth=2
	s_or_b64 exec, exec, s[24:25]
	v_add_f32_e32 v30, v30, v3
	v_and_b32_sdwa v10, v30, s75 dst_sel:DWORD dst_unused:UNUSED_PAD src0_sel:BYTE_3 src1_sel:DWORD
	v_and_b32_e32 v22, 0x7f800000, v30
	v_mov_b32_e32 v23, v39
	v_and_b32_e32 v2, 0x7fffff, v30
	v_mov_b32_e32 v3, v39
	v_or_b32_e32 v9, 0x7e, v10
	v_cmp_ne_u64_e32 vcc, s[42:43], v[22:23]
	s_and_saveexec_b64 s[24:25], vcc
	s_xor_b64 s[60:61], exec, s[24:25]
	s_cbranch_execz .LBB2_2111
; %bb.2102:                             ;   in Loop: Header=BB2_1481 Depth=2
	v_and_b32_e32 v22, 0x7fffffff, v30
	v_mov_b32_e32 v23, v39
	v_cmp_gt_u64_e32 vcc, s[44:45], v[22:23]
	s_and_saveexec_b64 s[62:63], vcc
	s_cbranch_execz .LBB2_2110
; %bb.2103:                             ;   in Loop: Header=BB2_1481 Depth=2
	v_cmp_ne_u32_e32 vcc, 0, v30
	v_mov_b32_e32 v9, 0
	s_and_saveexec_b64 s[64:65], vcc
	s_cbranch_execz .LBB2_2109
; %bb.2104:                             ;   in Loop: Header=BB2_1481 Depth=2
	v_bfe_u32 v9, v30, 23, 8
	v_sub_u32_e32 v23, 0x79, v9
	v_cmp_gt_u32_e32 vcc, s76, v9
	v_cndmask_b32_e32 v23, 0, v23, vcc
	v_cmp_eq_u32_e32 vcc, 0, v9
	v_add_u32_e32 v22, 0xffffff81, v9
	v_mov_b32_e32 v9, 0xffffff82
	v_cndmask_b32_e32 v33, v23, v18, vcc
	v_cndmask_b32_e32 v9, v22, v9, vcc
	v_add_u32_e32 v22, 20, v33
	v_or_b32_e32 v30, 0x800000, v2
	v_lshlrev_b64 v[22:23], v22, -1
	v_cndmask_b32_e32 v2, v30, v2, vcc
	v_not_b32_e32 v22, v22
	v_and_b32_e32 v22, v2, v22
	v_add_u32_e32 v30, 19, v33
	v_lshrrev_b64 v[2:3], v33, v[2:3]
	v_not_b32_e32 v23, v23
	v_lshlrev_b64 v[36:37], v30, 1
	v_lshrrev_b32_e32 v30, 23, v2
	v_and_b32_e32 v23, 0, v23
	v_add3_u32 v33, v33, v9, v30
	v_bfe_u32 v9, v2, 20, 1
	v_add_u32_e32 v9, -1, v9
	v_cmp_eq_u64_e32 vcc, v[22:23], v[36:37]
	v_cndmask_b32_e32 v9, 0, v9, vcc
	v_add_u32_e32 v9, v9, v2
	v_and_b32_e32 v9, 0xfffff, v9
	v_add_co_u32_e32 v2, vcc, v9, v2
	v_add_u32_e32 v30, 6, v33
	v_addc_co_u32_e32 v3, vcc, 0, v3, vcc
	v_cmp_ne_u32_e32 vcc, 0, v30
                                        ; implicit-def: $vgpr9
	s_and_saveexec_b64 s[24:25], vcc
	s_xor_b64 s[24:25], exec, s[24:25]
; %bb.2105:                             ;   in Loop: Header=BB2_1481 Depth=2
	v_cmp_lt_u64_e32 vcc, s[48:49], v[2:3]
	v_add_u32_e32 v9, 7, v33
	v_cndmask_b32_e64 v22, 0, 1, vcc
	v_cndmask_b32_e32 v9, v30, v9, vcc
	v_lshrrev_b64 v[2:3], v22, v[2:3]
; %bb.2106:                             ;   in Loop: Header=BB2_1481 Depth=2
	s_andn2_saveexec_b64 s[24:25], s[24:25]
; %bb.2107:                             ;   in Loop: Header=BB2_1481 Depth=2
	v_bfe_u32 v9, v2, 23, 1
; %bb.2108:                             ;   in Loop: Header=BB2_1481 Depth=2
	s_or_b64 exec, exec, s[24:25]
	v_lshrrev_b64 v[2:3], 20, v[2:3]
	v_cmp_gt_i32_e32 vcc, 16, v9
	v_cndmask_b32_e32 v3, 0, v3, vcc
	v_cndmask_b32_e32 v2, 7, v2, vcc
	v_cmp_eq_u64_e64 s[24:25], 0, v[2:3]
	v_min_i32_e32 v3, 15, v9
	v_cmp_eq_u32_e32 vcc, 0, v9
	v_lshlrev_b32_e32 v3, 3, v3
	v_and_or_b32 v2, v2, 7, v3
	s_and_b64 s[24:25], vcc, s[24:25]
	v_cndmask_b32_e64 v2, v2, 0, s[24:25]
	v_or_b32_e32 v9, v2, v10
.LBB2_2109:                             ;   in Loop: Header=BB2_1481 Depth=2
	s_or_b64 exec, exec, s[64:65]
.LBB2_2110:                             ;   in Loop: Header=BB2_1481 Depth=2
	s_or_b64 exec, exec, s[62:63]
                                        ; implicit-def: $vgpr30
                                        ; implicit-def: $vgpr2_vgpr3
.LBB2_2111:                             ;   in Loop: Header=BB2_1481 Depth=2
	s_andn2_saveexec_b64 s[24:25], s[60:61]
; %bb.2112:                             ;   in Loop: Header=BB2_1481 Depth=2
	v_or_b32_sdwa v10, v30, s74 dst_sel:DWORD dst_unused:UNUSED_PAD src0_sel:BYTE_3 src1_sel:DWORD
	v_cmp_eq_u64_e32 vcc, 0, v[2:3]
	v_cndmask_b32_e32 v9, v10, v9, vcc
; %bb.2113:                             ;   in Loop: Header=BB2_1481 Depth=2
	s_or_b64 exec, exec, s[24:25]
	v_lshrrev_b32_e32 v2, 16, v38
	v_cmp_ne_u16_sdwa vcc, v2, v39 src0_sel:BYTE_0 src1_sel:DWORD
	v_mov_b32_e32 v3, 0
	v_mov_b32_e32 v10, 0
	s_and_saveexec_b64 s[24:25], vcc
	s_cbranch_execz .LBB2_2119
; %bb.2114:                             ;   in Loop: Header=BB2_1481 Depth=2
	v_cmp_ne_u16_sdwa vcc, v2, s75 src0_sel:BYTE_0 src1_sel:DWORD
	v_bfrev_b32_e32 v10, 1
	s_and_saveexec_b64 s[60:61], vcc
	s_cbranch_execz .LBB2_2118
; %bb.2115:                             ;   in Loop: Header=BB2_1481 Depth=2
	v_bfe_u32 v30, v38, 16, 7
	v_cmp_ne_u32_e32 vcc, s74, v30
	v_mov_b32_e32 v10, 0x7f800001
	s_and_saveexec_b64 s[62:63], vcc
	s_cbranch_execz .LBB2_2117
; %bb.2116:                             ;   in Loop: Header=BB2_1481 Depth=2
	v_and_b32_e32 v10, 7, v2
	v_ffbh_u32_e32 v22, v10
	v_min_u32_e32 v35, 32, v22
	v_subrev_u32_e32 v22, 28, v35
	v_lshlrev_b64 v[22:23], v22, v[2:3]
	v_lshrrev_b32_e32 v33, 3, v30
	v_sub_u32_e32 v23, 29, v35
	v_and_b32_e32 v22, 7, v22
	v_cmp_gt_u32_e32 vcc, 8, v30
	v_cndmask_b32_e32 v23, v33, v23, vcc
	v_cndmask_b32_e32 v10, v10, v22, vcc
	v_lshlrev_b32_e32 v2, 24, v2
	v_lshlrev_b32_e32 v10, 20, v10
	v_and_b32_e32 v2, 0x80000000, v2
	v_lshl_add_u32 v22, v23, 23, v20
	v_or3_b32 v10, v2, v22, v10
.LBB2_2117:                             ;   in Loop: Header=BB2_1481 Depth=2
	s_or_b64 exec, exec, s[62:63]
.LBB2_2118:                             ;   in Loop: Header=BB2_1481 Depth=2
	s_or_b64 exec, exec, s[60:61]
.LBB2_2119:                             ;   in Loop: Header=BB2_1481 Depth=2
	s_or_b64 exec, exec, s[24:25]
	v_lshrrev_b32_e32 v2, 16, v13
	v_cmp_ne_u16_sdwa vcc, v2, v39 src0_sel:BYTE_0 src1_sel:DWORD
	s_and_saveexec_b64 s[24:25], vcc
	s_cbranch_execz .LBB2_2125
; %bb.2120:                             ;   in Loop: Header=BB2_1481 Depth=2
	v_cmp_ne_u16_sdwa vcc, v2, s75 src0_sel:BYTE_0 src1_sel:DWORD
	v_bfrev_b32_e32 v3, 1
	s_and_saveexec_b64 s[60:61], vcc
	s_cbranch_execz .LBB2_2124
; %bb.2121:                             ;   in Loop: Header=BB2_1481 Depth=2
	v_bfe_u32 v30, v13, 16, 7
	v_cmp_ne_u32_e32 vcc, s74, v30
	v_mov_b32_e32 v3, 0x7f800001
	s_and_saveexec_b64 s[62:63], vcc
	s_cbranch_execz .LBB2_2123
; %bb.2122:                             ;   in Loop: Header=BB2_1481 Depth=2
	v_and_b32_e32 v22, 7, v2
	v_ffbh_u32_e32 v3, v22
	v_min_u32_e32 v33, 32, v3
	v_subrev_u32_e32 v3, 28, v33
	v_lshlrev_b64 v[2:3], v3, v[2:3]
	v_lshrrev_b32_e32 v23, 3, v30
	v_sub_u32_e32 v3, 29, v33
	v_and_b32_e32 v2, 7, v2
	v_cmp_gt_u32_e32 vcc, 8, v30
	v_cndmask_b32_e32 v3, v23, v3, vcc
	v_cndmask_b32_e32 v2, v22, v2, vcc
	v_lshlrev_b32_e32 v22, 8, v13
	v_lshlrev_b32_e32 v2, 20, v2
	v_and_b32_e32 v22, 0x80000000, v22
	v_lshl_add_u32 v3, v3, 23, v20
	v_or3_b32 v3, v22, v3, v2
.LBB2_2123:                             ;   in Loop: Header=BB2_1481 Depth=2
	s_or_b64 exec, exec, s[62:63]
.LBB2_2124:                             ;   in Loop: Header=BB2_1481 Depth=2
	s_or_b64 exec, exec, s[60:61]
.LBB2_2125:                             ;   in Loop: Header=BB2_1481 Depth=2
	s_or_b64 exec, exec, s[24:25]
	v_add_f32_e32 v33, v10, v3
	v_and_b32_sdwa v30, v33, s75 dst_sel:DWORD dst_unused:UNUSED_PAD src0_sel:BYTE_3 src1_sel:DWORD
	v_and_b32_e32 v22, 0x7f800000, v33
	v_mov_b32_e32 v23, v39
	v_and_b32_e32 v2, 0x7fffff, v33
	v_mov_b32_e32 v3, v39
	v_or_b32_e32 v10, 0x7e, v30
	v_cmp_ne_u64_e32 vcc, s[42:43], v[22:23]
	s_and_saveexec_b64 s[24:25], vcc
	s_xor_b64 s[60:61], exec, s[24:25]
	s_cbranch_execz .LBB2_2135
; %bb.2126:                             ;   in Loop: Header=BB2_1481 Depth=2
	v_and_b32_e32 v22, 0x7fffffff, v33
	v_mov_b32_e32 v23, v39
	v_cmp_gt_u64_e32 vcc, s[44:45], v[22:23]
	s_and_saveexec_b64 s[62:63], vcc
	s_cbranch_execz .LBB2_2134
; %bb.2127:                             ;   in Loop: Header=BB2_1481 Depth=2
	v_cmp_ne_u32_e32 vcc, 0, v33
	v_mov_b32_e32 v10, 0
	s_and_saveexec_b64 s[64:65], vcc
	s_cbranch_execz .LBB2_2133
; %bb.2128:                             ;   in Loop: Header=BB2_1481 Depth=2
	v_bfe_u32 v10, v33, 23, 8
	v_sub_u32_e32 v23, 0x79, v10
	v_cmp_gt_u32_e32 vcc, s76, v10
	v_cndmask_b32_e32 v23, 0, v23, vcc
	v_cmp_eq_u32_e32 vcc, 0, v10
	v_add_u32_e32 v22, 0xffffff81, v10
	v_mov_b32_e32 v10, 0xffffff82
	v_cndmask_b32_e32 v35, v23, v18, vcc
	v_cndmask_b32_e32 v10, v22, v10, vcc
	v_add_u32_e32 v22, 20, v35
	v_or_b32_e32 v33, 0x800000, v2
	v_lshlrev_b64 v[22:23], v22, -1
	v_cndmask_b32_e32 v2, v33, v2, vcc
	v_not_b32_e32 v22, v22
	v_and_b32_e32 v22, v2, v22
	v_add_u32_e32 v33, 19, v35
	v_lshrrev_b64 v[2:3], v35, v[2:3]
	v_not_b32_e32 v23, v23
	v_lshlrev_b64 v[36:37], v33, 1
	v_lshrrev_b32_e32 v33, 23, v2
	v_and_b32_e32 v23, 0, v23
	v_add3_u32 v35, v35, v10, v33
	v_bfe_u32 v10, v2, 20, 1
	v_add_u32_e32 v10, -1, v10
	v_cmp_eq_u64_e32 vcc, v[22:23], v[36:37]
	v_cndmask_b32_e32 v10, 0, v10, vcc
	v_add_u32_e32 v10, v10, v2
	v_and_b32_e32 v10, 0xfffff, v10
	v_add_co_u32_e32 v2, vcc, v10, v2
	v_add_u32_e32 v33, 6, v35
	v_addc_co_u32_e32 v3, vcc, 0, v3, vcc
	v_cmp_ne_u32_e32 vcc, 0, v33
                                        ; implicit-def: $vgpr10
	s_and_saveexec_b64 s[24:25], vcc
	s_xor_b64 s[24:25], exec, s[24:25]
; %bb.2129:                             ;   in Loop: Header=BB2_1481 Depth=2
	v_cmp_lt_u64_e32 vcc, s[48:49], v[2:3]
	v_add_u32_e32 v10, 7, v35
	v_cndmask_b32_e64 v22, 0, 1, vcc
	v_cndmask_b32_e32 v10, v33, v10, vcc
	v_lshrrev_b64 v[2:3], v22, v[2:3]
; %bb.2130:                             ;   in Loop: Header=BB2_1481 Depth=2
	s_andn2_saveexec_b64 s[24:25], s[24:25]
; %bb.2131:                             ;   in Loop: Header=BB2_1481 Depth=2
	v_bfe_u32 v10, v2, 23, 1
; %bb.2132:                             ;   in Loop: Header=BB2_1481 Depth=2
	s_or_b64 exec, exec, s[24:25]
	v_lshrrev_b64 v[2:3], 20, v[2:3]
	v_cmp_gt_i32_e32 vcc, 16, v10
	v_cndmask_b32_e32 v3, 0, v3, vcc
	v_cndmask_b32_e32 v2, 7, v2, vcc
	v_cmp_eq_u64_e64 s[24:25], 0, v[2:3]
	v_min_i32_e32 v3, 15, v10
	v_lshlrev_b32_e32 v3, 3, v3
	v_cmp_eq_u32_e32 vcc, 0, v10
	v_and_b32_e32 v3, 0xf8, v3
	v_and_or_b32 v2, v2, 7, v3
	s_and_b64 s[24:25], vcc, s[24:25]
	v_cndmask_b32_e64 v2, v2, 0, s[24:25]
	v_or_b32_e32 v10, v2, v30
.LBB2_2133:                             ;   in Loop: Header=BB2_1481 Depth=2
	s_or_b64 exec, exec, s[64:65]
.LBB2_2134:                             ;   in Loop: Header=BB2_1481 Depth=2
	s_or_b64 exec, exec, s[62:63]
                                        ; implicit-def: $vgpr33
                                        ; implicit-def: $vgpr2_vgpr3
.LBB2_2135:                             ;   in Loop: Header=BB2_1481 Depth=2
	s_andn2_saveexec_b64 s[24:25], s[60:61]
; %bb.2136:                             ;   in Loop: Header=BB2_1481 Depth=2
	v_or_b32_sdwa v22, v33, s74 dst_sel:DWORD dst_unused:UNUSED_PAD src0_sel:BYTE_3 src1_sel:DWORD
	v_cmp_eq_u64_e32 vcc, 0, v[2:3]
	v_cndmask_b32_e32 v10, v22, v10, vcc
; %bb.2137:                             ;   in Loop: Header=BB2_1481 Depth=2
	s_or_b64 exec, exec, s[24:25]
	v_cmp_lt_u32_e32 vcc, s47, v38
	v_mov_b32_e32 v3, 0
	v_mov_b32_e32 v30, 0
	s_and_saveexec_b64 s[24:25], vcc
	s_cbranch_execz .LBB2_2143
; %bb.2138:                             ;   in Loop: Header=BB2_1481 Depth=2
	v_lshrrev_b32_e32 v2, 24, v38
	v_cmp_ne_u32_sdwa vcc, v38, s75 src0_sel:BYTE_3 src1_sel:DWORD
	v_bfrev_b32_e32 v30, 1
	s_and_saveexec_b64 s[60:61], vcc
	s_cbranch_execz .LBB2_2142
; %bb.2139:                             ;   in Loop: Header=BB2_1481 Depth=2
	v_bfe_u32 v33, v38, 24, 7
	v_cmp_ne_u32_e32 vcc, s74, v33
	v_mov_b32_e32 v30, 0x7f800001
	s_and_saveexec_b64 s[62:63], vcc
	s_cbranch_execz .LBB2_2141
; %bb.2140:                             ;   in Loop: Header=BB2_1481 Depth=2
	v_and_b32_e32 v30, 7, v2
	v_ffbh_u32_e32 v22, v30
	v_min_u32_e32 v36, 32, v22
	v_subrev_u32_e32 v22, 28, v36
	v_lshlrev_b64 v[22:23], v22, v[2:3]
	v_lshrrev_b32_e32 v35, 3, v33
	v_sub_u32_e32 v2, 29, v36
	v_and_b32_e32 v22, 7, v22
	v_cmp_gt_u32_e32 vcc, 8, v33
	v_mov_b32_e32 v23, 24
	v_cndmask_b32_e32 v2, v35, v2, vcc
	v_cndmask_b32_e32 v22, v30, v22, vcc
	v_lshlrev_b32_sdwa v23, v23, v38 dst_sel:DWORD dst_unused:UNUSED_PAD src0_sel:DWORD src1_sel:BYTE_3
	v_lshlrev_b32_e32 v22, 20, v22
	v_and_b32_e32 v23, 0x80000000, v23
	v_lshl_add_u32 v2, v2, 23, v20
	v_or3_b32 v30, v23, v2, v22
.LBB2_2141:                             ;   in Loop: Header=BB2_1481 Depth=2
	s_or_b64 exec, exec, s[62:63]
.LBB2_2142:                             ;   in Loop: Header=BB2_1481 Depth=2
	s_or_b64 exec, exec, s[60:61]
.LBB2_2143:                             ;   in Loop: Header=BB2_1481 Depth=2
	s_or_b64 exec, exec, s[24:25]
	v_cmp_lt_u64_e32 vcc, s[46:47], v[12:13]
	s_and_saveexec_b64 s[24:25], vcc
	s_cbranch_execz .LBB2_2149
; %bb.2144:                             ;   in Loop: Header=BB2_1481 Depth=2
	v_lshrrev_b32_e32 v2, 24, v13
	v_cmp_ne_u32_e32 vcc, s75, v2
	v_bfrev_b32_e32 v3, 1
	s_and_saveexec_b64 s[60:61], vcc
	s_cbranch_execz .LBB2_2148
; %bb.2145:                             ;   in Loop: Header=BB2_1481 Depth=2
	v_bfe_u32 v12, v13, 24, 7
	v_cmp_ne_u32_e32 vcc, s74, v12
	v_mov_b32_e32 v3, 0x7f800001
	s_and_saveexec_b64 s[62:63], vcc
	s_cbranch_execz .LBB2_2147
; %bb.2146:                             ;   in Loop: Header=BB2_1481 Depth=2
	v_and_b32_e32 v3, 7, v2
	v_ffbh_u32_e32 v22, v3
	v_min_u32_e32 v33, 32, v22
	v_subrev_u32_e32 v22, 28, v33
	v_lshlrev_b64 v[22:23], v22, v[2:3]
	v_lshrrev_b32_e32 v13, 3, v12
	v_sub_u32_e32 v23, 29, v33
	v_and_b32_e32 v22, 7, v22
	v_cmp_gt_u32_e32 vcc, 8, v12
	v_cndmask_b32_e32 v12, v13, v23, vcc
	v_cndmask_b32_e32 v3, v3, v22, vcc
	v_lshlrev_b32_e32 v2, 24, v2
	v_lshlrev_b32_e32 v3, 20, v3
	v_and_b32_e32 v2, 0x80000000, v2
	v_lshl_add_u32 v12, v12, 23, v20
	v_or3_b32 v3, v2, v12, v3
.LBB2_2147:                             ;   in Loop: Header=BB2_1481 Depth=2
	s_or_b64 exec, exec, s[62:63]
.LBB2_2148:                             ;   in Loop: Header=BB2_1481 Depth=2
	s_or_b64 exec, exec, s[60:61]
.LBB2_2149:                             ;   in Loop: Header=BB2_1481 Depth=2
	s_or_b64 exec, exec, s[24:25]
	v_add_f32_e32 v3, v30, v3
	v_and_b32_sdwa v12, v3, s75 dst_sel:DWORD dst_unused:UNUSED_PAD src0_sel:BYTE_3 src1_sel:DWORD
	v_and_b32_e32 v22, 0x7f800000, v3
	v_mov_b32_e32 v23, v39
	v_and_b32_e32 v38, 0x7fffff, v3
	v_or_b32_e32 v2, 0x7e, v12
	v_cmp_ne_u64_e32 vcc, s[42:43], v[22:23]
	s_and_saveexec_b64 s[24:25], vcc
	s_xor_b64 s[60:61], exec, s[24:25]
	s_cbranch_execz .LBB2_2159
; %bb.2150:                             ;   in Loop: Header=BB2_1481 Depth=2
	v_and_b32_e32 v22, 0x7fffffff, v3
	v_mov_b32_e32 v23, v39
	v_cmp_gt_u64_e32 vcc, s[44:45], v[22:23]
	s_and_saveexec_b64 s[62:63], vcc
	s_cbranch_execz .LBB2_2158
; %bb.2151:                             ;   in Loop: Header=BB2_1481 Depth=2
	v_cmp_ne_u32_e32 vcc, 0, v3
	v_mov_b32_e32 v2, 0
	s_and_saveexec_b64 s[64:65], vcc
	s_cbranch_execz .LBB2_2157
; %bb.2152:                             ;   in Loop: Header=BB2_1481 Depth=2
	v_bfe_u32 v2, v3, 23, 8
	v_sub_u32_e32 v13, 0x79, v2
	v_cmp_gt_u32_e32 vcc, s76, v2
	v_cndmask_b32_e32 v13, 0, v13, vcc
	v_cmp_eq_u32_e32 vcc, 0, v2
	v_add_u32_e32 v3, 0xffffff81, v2
	v_or_b32_e32 v22, 0x800000, v38
	v_mov_b32_e32 v2, 0xffffff82
	v_cndmask_b32_e32 v13, v13, v18, vcc
	v_cndmask_b32_e32 v30, v3, v2, vcc
	;; [unrolled: 1-line block ×3, first 2 shown]
	v_add_u32_e32 v2, 20, v13
	v_lshlrev_b64 v[2:3], v2, -1
	v_lshrrev_b64 v[36:37], v13, v[38:39]
	v_not_b32_e32 v3, v3
	v_not_b32_e32 v2, v2
	v_add_u32_e32 v22, 19, v13
	v_lshrrev_b32_e32 v33, 23, v36
	v_and_b32_e32 v3, 0, v3
	v_and_b32_e32 v2, v38, v2
	v_lshlrev_b64 v[22:23], v22, 1
	v_add3_u32 v33, v13, v30, v33
	v_bfe_u32 v13, v36, 20, 1
	v_add_u32_e32 v13, -1, v13
	v_cmp_eq_u64_e32 vcc, v[2:3], v[22:23]
	v_cndmask_b32_e32 v2, 0, v13, vcc
	v_add_u32_e32 v2, v2, v36
	v_and_b32_e32 v2, 0xfffff, v2
	v_add_co_u32_e32 v2, vcc, v2, v36
	v_add_u32_e32 v30, 6, v33
	v_addc_co_u32_e32 v3, vcc, 0, v37, vcc
	v_cmp_ne_u32_e32 vcc, 0, v30
                                        ; implicit-def: $vgpr13
	s_and_saveexec_b64 s[24:25], vcc
	s_xor_b64 s[24:25], exec, s[24:25]
; %bb.2153:                             ;   in Loop: Header=BB2_1481 Depth=2
	v_cmp_lt_u64_e32 vcc, s[48:49], v[2:3]
	v_add_u32_e32 v13, 7, v33
	v_cndmask_b32_e64 v22, 0, 1, vcc
	v_cndmask_b32_e32 v13, v30, v13, vcc
	v_lshrrev_b64 v[2:3], v22, v[2:3]
; %bb.2154:                             ;   in Loop: Header=BB2_1481 Depth=2
	s_andn2_saveexec_b64 s[24:25], s[24:25]
; %bb.2155:                             ;   in Loop: Header=BB2_1481 Depth=2
	v_bfe_u32 v13, v2, 23, 1
; %bb.2156:                             ;   in Loop: Header=BB2_1481 Depth=2
	s_or_b64 exec, exec, s[24:25]
	v_lshrrev_b64 v[2:3], 20, v[2:3]
	v_cmp_gt_i32_e32 vcc, 16, v13
	v_cndmask_b32_e32 v3, 0, v3, vcc
	v_cndmask_b32_e32 v2, 7, v2, vcc
	v_cmp_eq_u64_e64 s[24:25], 0, v[2:3]
	v_min_i32_e32 v3, 15, v13
	v_lshlrev_b32_e32 v3, 3, v3
	v_cmp_eq_u32_e32 vcc, 0, v13
	v_and_b32_e32 v3, 0xf8, v3
	v_and_or_b32 v2, v2, 7, v3
	s_and_b64 s[24:25], vcc, s[24:25]
	v_cndmask_b32_e64 v2, v2, 0, s[24:25]
	v_or_b32_e32 v2, v2, v12
.LBB2_2157:                             ;   in Loop: Header=BB2_1481 Depth=2
	s_or_b64 exec, exec, s[64:65]
.LBB2_2158:                             ;   in Loop: Header=BB2_1481 Depth=2
	s_or_b64 exec, exec, s[62:63]
                                        ; implicit-def: $vgpr3
.LBB2_2159:                             ;   in Loop: Header=BB2_1481 Depth=2
	s_andn2_saveexec_b64 s[24:25], s[60:61]
	s_cbranch_execz .LBB2_1480
; %bb.2160:                             ;   in Loop: Header=BB2_1481 Depth=2
	v_or_b32_sdwa v3, v3, s74 dst_sel:DWORD dst_unused:UNUSED_PAD src0_sel:BYTE_3 src1_sel:DWORD
	v_cmp_eq_u64_e32 vcc, 0, v[38:39]
	v_cndmask_b32_e32 v2, v3, v2, vcc
	s_branch .LBB2_1480
.LBB2_2161:                             ;   in Loop: Header=BB2_49 Depth=1
	s_or_b64 exec, exec, s[58:59]
	v_accvgpr_read_b32 v32, a19
	v_accvgpr_read_b32 v34, a28
	v_mov_b32_e32 v33, v41
	v_mov_b32_e32 v35, 1
	v_accvgpr_read_b32 v36, a30
	v_mov_b32_e32 v48, v58
	v_mov_b32_e32 v37, v62
.LBB2_2162:                             ;   in Loop: Header=BB2_49 Depth=1
	s_or_b64 exec, exec, s[56:57]
	v_and_b32_e32 v3, 15, v37
	v_cndmask_b32_e64 v5, v19, v3, s[22:23]
	v_cmp_ne_u32_e32 vcc, 0, v5
	s_mov_b64 s[24:25], 0
	v_mov_b32_e32 v4, 0
                                        ; implicit-def: $vgpr6
                                        ; implicit-def: $vgpr2
	s_and_saveexec_b64 s[56:57], vcc
	s_cbranch_execz .LBB2_2164
; %bb.2163:                             ;   in Loop: Header=BB2_49 Depth=1
	v_sub_u32_e32 v3, v19, v3
	v_and_b32_e32 v2, 0x3ffffc00, v37
	v_cndmask_b32_e64 v3, 0, v3, s[22:23]
	v_cmp_lt_i32_e32 vcc, 0, v1
	v_add_u32_e32 v4, v3, v2
	v_cndmask_b32_e32 v2, 0, v52, vcc
	v_sub_u32_e32 v1, v2, v1
	v_lshl_add_u32 v6, v1, 6, v0
	v_ashrrev_i32_e32 v0, 31, v6
	v_lshrrev_b32_e32 v0, 26, v0
	v_add_u32_e32 v0, v6, v0
	s_mov_b64 s[24:25], exec
	v_ashrrev_i32_e32 v2, 6, v0
.LBB2_2164:                             ;   in Loop: Header=BB2_49 Depth=1
	s_or_b64 exec, exec, s[56:57]
	s_and_b64 s[22:23], s[24:25], exec
.LBB2_2165:                             ;   in Loop: Header=BB2_49 Depth=1
	s_or_b64 exec, exec, s[54:55]
	s_and_saveexec_b64 s[24:25], s[22:23]
	s_cbranch_execz .LBB2_2434
.LBB2_2166:                             ;   in Loop: Header=BB2_49 Depth=1
	v_ashrrev_i32_e32 v0, 31, v5
	v_add_u32_sdwa v0, v5, v0 dst_sel:DWORD dst_unused:UNUSED_PAD src0_sel:DWORD src1_sel:BYTE_3
	v_ashrrev_i32_e32 v7, 8, v0
	v_sub_u32_e32 v0, v7, v2
	v_ashrrev_i32_e32 v1, 31, v6
	v_cmp_lt_i32_e32 vcc, 0, v0
	v_lshrrev_b32_e32 v1, 26, v1
	s_and_saveexec_b64 s[54:55], vcc
	s_cbranch_execz .LBB2_2375
; %bb.2167:                             ;   in Loop: Header=BB2_49 Depth=1
	s_trap 2
	ds_read_b128 v[8:11], v0
	ds_read_b64 v[12:13], v0
	v_add_u32_e32 v3, v6, v1
	v_and_b32_e32 v3, 0xffffffc0, v3
	v_sub_u32_e32 v3, v6, v3
	v_lshlrev_b32_e32 v2, 8, v2
	v_add3_u32 v14, v4, v3, v2
	v_ashrrev_i32_e32 v15, 31, v14
	s_waitcnt lgkmcnt(0)
	v_add_co_u32_e32 v2, vcc, v8, v14
	v_addc_co_u32_e32 v3, vcc, v9, v15, vcc
	v_add_co_u32_e32 v10, vcc, v10, v14
	v_addc_co_u32_e32 v11, vcc, v11, v15, vcc
	;; [unrolled: 2-line block ×3, first 2 shown]
	s_mov_b64 s[56:57], 0
	s_branch .LBB2_2169
.LBB2_2168:                             ;   in Loop: Header=BB2_2169 Depth=2
	s_or_b64 exec, exec, s[22:23]
	v_add_co_u32_e32 v2, vcc, v2, v57
	v_addc_co_u32_e32 v3, vcc, v3, v32, vcc
	v_add_co_u32_e32 v10, vcc, v10, v57
	v_addc_co_u32_e32 v11, vcc, v11, v32, vcc
	v_sub_u32_e32 v0, v0, v52
	v_cmp_gt_i32_e32 vcc, 1, v0
	flat_store_byte v[12:13], v9 glc slc
	flat_store_byte v[12:13], v19 offset:64 glc slc
	flat_store_byte v[12:13], v17 offset:128 glc slc
	;; [unrolled: 1-line block ×3, first 2 shown]
	s_or_b64 s[56:57], vcc, s[56:57]
	v_add_co_u32_e32 v12, vcc, v12, v57
	v_addc_co_u32_e32 v13, vcc, v13, v32, vcc
	s_andn2_b64 exec, exec, s[56:57]
	s_cbranch_execz .LBB2_2374
.LBB2_2169:                             ;   Parent Loop BB2_49 Depth=1
                                        ; =>  This Inner Loop Header: Depth=2
	s_trap 2
	ds_read_b64 v[14:15], v0
	s_waitcnt lgkmcnt(0)
	v_cmp_eq_u16_sdwa vcc, v14, v39 src0_sel:BYTE_0 src1_sel:DWORD
	v_readfirstlane_b32 s22, v14
	v_readfirstlane_b32 s23, v15
	s_and_b64 vcc, exec, vcc
	s_cbranch_vccnz .LBB2_2173
; %bb.2170:                             ;   in Loop: Header=BB2_2169 Depth=2
	v_cmp_eq_u32_sdwa vcc, v14, s75 src0_sel:BYTE_0 src1_sel:DWORD
	s_and_b64 vcc, exec, vcc
	s_brev_b32 s64, 1
	s_cbranch_vccnz .LBB2_2174
; %bb.2171:                             ;   in Loop: Header=BB2_2169 Depth=2
	s_and_b32 vcc_lo, s22, 0x7f
	s_cmpk_eq_i32 vcc_lo, 0x7f
	s_mov_b32 s64, 0x7f800001
	s_cbranch_scc1 .LBB2_2174
; %bb.2172:                             ;   in Loop: Header=BB2_2169 Depth=2
	s_and_b32 vcc_hi, s22, 7
	s_flbit_i32_b32 vcc_hi, vcc_hi
	s_min_u32 vcc_hi, vcc_hi, 32
	s_lshr_b32 s58, vcc_lo, 3
	s_sub_i32 s59, vcc_hi, 28
	s_sub_i32 vcc_hi, 29, vcc_hi
	s_cmp_lt_u32 vcc_lo, 8
	s_cselect_b32 vcc_lo, s59, 0
	s_cselect_b32 s58, vcc_hi, s58
	s_lshl_b64 vcc, s[22:23], vcc_lo
	s_lshl_b32 s23, vcc_lo, 20
	s_lshl_b32 s22, s22, 24
	s_lshl_b32 vcc_lo, s58, 23
	s_and_b32 s22, s22, 0x80000000
	s_add_i32 vcc_lo, vcc_lo, 0x3c000000
	s_and_b32 s23, s23, 0x700000
	s_or_b32 s22, s22, vcc_lo
	s_or_b32 s64, s22, s23
	s_branch .LBB2_2174
.LBB2_2173:                             ;   in Loop: Header=BB2_2169 Depth=2
	s_mov_b32 s64, 0
.LBB2_2174:                             ;   in Loop: Header=BB2_2169 Depth=2
	flat_load_ubyte v8, v[2:3] glc slc
	v_mov_b32_e32 v9, 0
	s_waitcnt vmcnt(0) lgkmcnt(0)
	v_cmp_ne_u16_e32 vcc, 0, v8
	s_and_saveexec_b64 s[22:23], vcc
	s_cbranch_execz .LBB2_2180
; %bb.2175:                             ;   in Loop: Header=BB2_2169 Depth=2
	v_cmp_ne_u16_e32 vcc, s75, v8
	v_bfrev_b32_e32 v9, 1
	s_and_saveexec_b64 s[58:59], vcc
	s_cbranch_execz .LBB2_2179
; %bb.2176:                             ;   in Loop: Header=BB2_2169 Depth=2
	v_and_b32_e32 v14, 0xffff, v8
	v_and_b32_e32 v15, 0x7f, v14
	v_cmp_ne_u32_e32 vcc, s74, v15
	v_mov_b32_e32 v9, 0x7f800001
	s_and_saveexec_b64 s[60:61], vcc
	s_cbranch_execz .LBB2_2178
; %bb.2177:                             ;   in Loop: Header=BB2_2169 Depth=2
	v_and_b32_e32 v9, 7, v14
	v_ffbh_u32_e32 v16, v9
	v_min_u32_e32 v21, 32, v16
	v_subrev_u32_e32 v16, 28, v21
	v_lshlrev_b64 v[16:17], v16, v[14:15]
	v_lshrrev_b32_e32 v19, 3, v15
	v_sub_u32_e32 v14, 29, v21
	v_and_b32_e32 v16, 7, v16
	v_cmp_gt_u32_e32 vcc, 8, v15
	v_cndmask_b32_e32 v14, v19, v14, vcc
	v_cndmask_b32_e32 v9, v9, v16, vcc
	v_lshlrev_b32_e32 v8, 24, v8
	v_lshlrev_b32_e32 v9, 20, v9
	v_and_b32_e32 v8, 0x80000000, v8
	v_lshl_add_u32 v14, v14, 23, v20
	v_or3_b32 v9, v8, v14, v9
.LBB2_2178:                             ;   in Loop: Header=BB2_2169 Depth=2
	s_or_b64 exec, exec, s[60:61]
.LBB2_2179:                             ;   in Loop: Header=BB2_2169 Depth=2
	s_or_b64 exec, exec, s[58:59]
.LBB2_2180:                             ;   in Loop: Header=BB2_2169 Depth=2
	s_or_b64 exec, exec, s[22:23]
	v_mul_f32_e32 v14, s64, v9
	v_and_b32_sdwa v8, v14, s75 dst_sel:DWORD dst_unused:UNUSED_PAD src0_sel:BYTE_3 src1_sel:DWORD
	v_and_b32_e32 v16, 0x7f800000, v14
	v_mov_b32_e32 v17, v39
	v_and_b32_e32 v38, 0x7fffff, v14
	v_or_b32_e32 v9, 0x7e, v8
	v_cmp_ne_u64_e32 vcc, s[42:43], v[16:17]
	s_and_saveexec_b64 s[22:23], vcc
	s_xor_b64 s[58:59], exec, s[22:23]
	s_cbranch_execz .LBB2_2194
; %bb.2181:                             ;   in Loop: Header=BB2_2169 Depth=2
	v_and_b32_e32 v16, 0x7fffffff, v14
	v_mov_b32_e32 v17, v39
	v_cmp_gt_u64_e32 vcc, s[44:45], v[16:17]
	s_and_saveexec_b64 s[22:23], vcc
	s_xor_b64 s[60:61], exec, s[22:23]
	s_cbranch_execz .LBB2_2193
; %bb.2182:                             ;   in Loop: Header=BB2_2169 Depth=2
	v_cmp_ne_u32_e32 vcc, 0, v14
	v_mov_b32_e32 v9, 0
	s_and_saveexec_b64 s[62:63], vcc
	s_cbranch_execz .LBB2_2192
; %bb.2183:                             ;   in Loop: Header=BB2_2169 Depth=2
	v_bfe_u32 v9, v14, 23, 8
	v_sub_u32_e32 v15, 0x79, v9
	v_cmp_gt_u32_e32 vcc, s76, v9
	v_cndmask_b32_e32 v15, 0, v15, vcc
	v_cmp_eq_u32_e32 vcc, 0, v9
	v_add_u32_e32 v14, 0xffffff81, v9
	v_or_b32_e32 v16, 0x800000, v38
	v_mov_b32_e32 v9, 0xffffff82
	v_cndmask_b32_e32 v17, v15, v18, vcc
	v_cndmask_b32_e32 v9, v14, v9, vcc
	v_cndmask_b32_e32 v38, v16, v38, vcc
	v_add_u32_e32 v14, 20, v17
	v_lshlrev_b64 v[14:15], v14, -1
	v_add_u32_e32 v16, 19, v17
	v_lshrrev_b64 v[24:25], v17, v[38:39]
	v_not_b32_e32 v15, v15
	v_not_b32_e32 v14, v14
	v_lshlrev_b64 v[22:23], v16, 1
	v_lshrrev_b32_e32 v16, 23, v24
	v_and_b32_e32 v15, 0, v15
	v_and_b32_e32 v14, v38, v14
	v_add3_u32 v17, v17, v9, v16
	v_bfe_u32 v16, v24, 20, 1
	v_add_u32_e32 v16, -1, v16
	v_cmp_eq_u64_e32 vcc, v[14:15], v[22:23]
	v_cndmask_b32_e32 v14, 0, v16, vcc
	v_add_u32_e32 v14, v14, v24
	v_and_b32_e32 v14, 0xfffff, v14
	v_add_co_u32_e32 v14, vcc, v14, v24
	v_add_u32_e32 v9, 6, v17
	v_addc_co_u32_e32 v15, vcc, 0, v25, vcc
	v_cmp_ne_u32_e32 vcc, 0, v9
                                        ; implicit-def: $vgpr16
	s_and_saveexec_b64 s[22:23], vcc
	s_xor_b64 s[22:23], exec, s[22:23]
; %bb.2184:                             ;   in Loop: Header=BB2_2169 Depth=2
	v_add_u32_e32 v16, 7, v17
	v_cmp_lt_u64_e32 vcc, s[48:49], v[14:15]
	v_cndmask_b32_e32 v16, v9, v16, vcc
	v_cndmask_b32_e64 v9, 0, 1, vcc
	v_lshrrev_b64 v[14:15], v9, v[14:15]
; %bb.2185:                             ;   in Loop: Header=BB2_2169 Depth=2
	s_andn2_saveexec_b64 s[22:23], s[22:23]
; %bb.2186:                             ;   in Loop: Header=BB2_2169 Depth=2
	v_bfe_u32 v16, v14, 23, 1
; %bb.2187:                             ;   in Loop: Header=BB2_2169 Depth=2
	s_or_b64 exec, exec, s[22:23]
	v_lshrrev_b64 v[14:15], 20, v[14:15]
	v_cmp_gt_i32_e32 vcc, 16, v16
	v_cndmask_b32_e32 v15, 0, v15, vcc
	v_cndmask_b32_e32 v14, 7, v14, vcc
	v_cmp_ne_u32_e32 vcc, 0, v16
	v_cmp_ne_u64_e64 s[22:23], 0, v[14:15]
	s_or_b64 s[22:23], vcc, s[22:23]
                                        ; implicit-def: $vgpr9
	s_and_saveexec_b64 vcc, s[22:23]
	s_xor_b64 s[22:23], exec, vcc
; %bb.2188:                             ;   in Loop: Header=BB2_2169 Depth=2
	v_min_i32_e32 v9, 15, v16
	v_lshl_or_b32 v8, v9, 3, v8
	v_and_or_b32 v9, v14, 7, v8
                                        ; implicit-def: $vgpr8
; %bb.2189:                             ;   in Loop: Header=BB2_2169 Depth=2
	s_andn2_saveexec_b64 s[22:23], s[22:23]
; %bb.2190:                             ;   in Loop: Header=BB2_2169 Depth=2
	v_mov_b32_e32 v9, v8
; %bb.2191:                             ;   in Loop: Header=BB2_2169 Depth=2
	s_or_b64 exec, exec, s[22:23]
.LBB2_2192:                             ;   in Loop: Header=BB2_2169 Depth=2
	s_or_b64 exec, exec, s[62:63]
.LBB2_2193:                             ;   in Loop: Header=BB2_2169 Depth=2
	s_andn2_saveexec_b64 s[22:23], s[60:61]
	s_or_b64 exec, exec, s[22:23]
                                        ; implicit-def: $vgpr14
.LBB2_2194:                             ;   in Loop: Header=BB2_2169 Depth=2
	s_andn2_saveexec_b64 s[22:23], s[58:59]
; %bb.2195:                             ;   in Loop: Header=BB2_2169 Depth=2
	v_or_b32_sdwa v8, v14, s74 dst_sel:DWORD dst_unused:UNUSED_PAD src0_sel:BYTE_3 src1_sel:DWORD
	v_cmp_eq_u64_e32 vcc, 0, v[38:39]
	v_cndmask_b32_e32 v9, v8, v9, vcc
; %bb.2196:                             ;   in Loop: Header=BB2_2169 Depth=2
	s_or_b64 exec, exec, s[22:23]
	flat_load_ubyte v8, v[2:3] offset:64 glc slc
	v_mov_b32_e32 v15, 0
	s_waitcnt vmcnt(0) lgkmcnt(0)
	v_cmp_ne_u16_e32 vcc, 0, v8
	s_and_saveexec_b64 s[22:23], vcc
	s_cbranch_execz .LBB2_2202
; %bb.2197:                             ;   in Loop: Header=BB2_2169 Depth=2
	v_cmp_ne_u16_e32 vcc, s75, v8
	v_bfrev_b32_e32 v15, 1
	s_and_saveexec_b64 s[58:59], vcc
	s_cbranch_execz .LBB2_2201
; %bb.2198:                             ;   in Loop: Header=BB2_2169 Depth=2
	v_and_b32_e32 v14, 0xffff, v8
	v_and_b32_e32 v16, 0x7f, v14
	v_cmp_ne_u32_e32 vcc, s74, v16
	v_mov_b32_e32 v15, 0x7f800001
	s_and_saveexec_b64 s[60:61], vcc
	s_cbranch_execz .LBB2_2200
; %bb.2199:                             ;   in Loop: Header=BB2_2169 Depth=2
	v_and_b32_e32 v17, 7, v14
	v_ffbh_u32_e32 v15, v17
	v_min_u32_e32 v21, 32, v15
	v_subrev_u32_e32 v15, 28, v21
	v_lshlrev_b64 v[14:15], v15, v[14:15]
	v_lshrrev_b32_e32 v19, 3, v16
	v_sub_u32_e32 v15, 29, v21
	v_and_b32_e32 v14, 7, v14
	v_cmp_gt_u32_e32 vcc, 8, v16
	v_cndmask_b32_e32 v15, v19, v15, vcc
	v_cndmask_b32_e32 v14, v17, v14, vcc
	v_lshlrev_b32_e32 v8, 24, v8
	v_lshlrev_b32_e32 v14, 20, v14
	v_and_b32_e32 v8, 0x80000000, v8
	v_lshl_add_u32 v15, v15, 23, v20
	v_or3_b32 v15, v8, v15, v14
.LBB2_2200:                             ;   in Loop: Header=BB2_2169 Depth=2
	s_or_b64 exec, exec, s[60:61]
.LBB2_2201:                             ;   in Loop: Header=BB2_2169 Depth=2
	s_or_b64 exec, exec, s[58:59]
.LBB2_2202:                             ;   in Loop: Header=BB2_2169 Depth=2
	s_or_b64 exec, exec, s[22:23]
	v_mul_f32_e32 v14, s64, v15
	v_and_b32_sdwa v8, v14, s75 dst_sel:DWORD dst_unused:UNUSED_PAD src0_sel:BYTE_3 src1_sel:DWORD
	v_and_b32_e32 v16, 0x7f800000, v14
	v_mov_b32_e32 v17, v39
	v_and_b32_e32 v38, 0x7fffff, v14
	v_or_b32_e32 v19, 0x7e, v8
	v_cmp_ne_u64_e32 vcc, s[42:43], v[16:17]
	s_and_saveexec_b64 s[22:23], vcc
	s_xor_b64 s[58:59], exec, s[22:23]
	s_cbranch_execz .LBB2_2216
; %bb.2203:                             ;   in Loop: Header=BB2_2169 Depth=2
	v_and_b32_e32 v16, 0x7fffffff, v14
	v_mov_b32_e32 v17, v39
	v_cmp_gt_u64_e32 vcc, s[44:45], v[16:17]
	s_and_saveexec_b64 s[22:23], vcc
	s_xor_b64 s[60:61], exec, s[22:23]
	s_cbranch_execz .LBB2_2215
; %bb.2204:                             ;   in Loop: Header=BB2_2169 Depth=2
	v_cmp_ne_u32_e32 vcc, 0, v14
	v_mov_b32_e32 v19, 0
	s_and_saveexec_b64 s[62:63], vcc
	s_cbranch_execz .LBB2_2214
; %bb.2205:                             ;   in Loop: Header=BB2_2169 Depth=2
	v_bfe_u32 v14, v14, 23, 8
	v_sub_u32_e32 v16, 0x79, v14
	v_cmp_gt_u32_e32 vcc, s76, v14
	v_cndmask_b32_e32 v16, 0, v16, vcc
	v_cmp_eq_u32_e32 vcc, 0, v14
	v_add_u32_e32 v15, 0xffffff81, v14
	v_or_b32_e32 v17, 0x800000, v38
	v_mov_b32_e32 v14, 0xffffff82
	v_cndmask_b32_e32 v16, v16, v18, vcc
	v_cndmask_b32_e32 v19, v15, v14, vcc
	;; [unrolled: 1-line block ×3, first 2 shown]
	v_add_u32_e32 v14, 20, v16
	v_lshlrev_b64 v[14:15], v14, -1
	v_add_u32_e32 v17, 19, v16
	v_lshrrev_b64 v[24:25], v16, v[38:39]
	v_not_b32_e32 v15, v15
	v_not_b32_e32 v14, v14
	v_lshlrev_b64 v[22:23], v17, 1
	v_lshrrev_b32_e32 v17, 23, v24
	v_and_b32_e32 v15, 0, v15
	v_and_b32_e32 v14, v38, v14
	v_add3_u32 v19, v16, v19, v17
	v_bfe_u32 v16, v24, 20, 1
	v_add_u32_e32 v16, -1, v16
	v_cmp_eq_u64_e32 vcc, v[14:15], v[22:23]
	v_cndmask_b32_e32 v14, 0, v16, vcc
	v_add_u32_e32 v14, v14, v24
	v_and_b32_e32 v14, 0xfffff, v14
	v_add_co_u32_e32 v14, vcc, v14, v24
	v_add_u32_e32 v17, 6, v19
	v_addc_co_u32_e32 v15, vcc, 0, v25, vcc
	v_cmp_ne_u32_e32 vcc, 0, v17
                                        ; implicit-def: $vgpr16
	s_and_saveexec_b64 s[22:23], vcc
	s_xor_b64 s[22:23], exec, s[22:23]
; %bb.2206:                             ;   in Loop: Header=BB2_2169 Depth=2
	v_add_u32_e32 v16, 7, v19
	v_cmp_lt_u64_e32 vcc, s[48:49], v[14:15]
	v_cndmask_b32_e32 v16, v17, v16, vcc
	v_cndmask_b32_e64 v17, 0, 1, vcc
	v_lshrrev_b64 v[14:15], v17, v[14:15]
; %bb.2207:                             ;   in Loop: Header=BB2_2169 Depth=2
	s_andn2_saveexec_b64 s[22:23], s[22:23]
; %bb.2208:                             ;   in Loop: Header=BB2_2169 Depth=2
	v_bfe_u32 v16, v14, 23, 1
; %bb.2209:                             ;   in Loop: Header=BB2_2169 Depth=2
	s_or_b64 exec, exec, s[22:23]
	v_lshrrev_b64 v[14:15], 20, v[14:15]
	v_cmp_gt_i32_e32 vcc, 16, v16
	v_cndmask_b32_e32 v15, 0, v15, vcc
	v_cndmask_b32_e32 v14, 7, v14, vcc
	v_cmp_ne_u32_e32 vcc, 0, v16
	v_cmp_ne_u64_e64 s[22:23], 0, v[14:15]
	s_or_b64 s[22:23], vcc, s[22:23]
                                        ; implicit-def: $vgpr19
	s_and_saveexec_b64 vcc, s[22:23]
	s_xor_b64 s[22:23], exec, vcc
; %bb.2210:                             ;   in Loop: Header=BB2_2169 Depth=2
	v_min_i32_e32 v15, 15, v16
	v_lshl_or_b32 v8, v15, 3, v8
	v_and_or_b32 v19, v14, 7, v8
                                        ; implicit-def: $vgpr8
; %bb.2211:                             ;   in Loop: Header=BB2_2169 Depth=2
	s_andn2_saveexec_b64 s[22:23], s[22:23]
; %bb.2212:                             ;   in Loop: Header=BB2_2169 Depth=2
	v_mov_b32_e32 v19, v8
; %bb.2213:                             ;   in Loop: Header=BB2_2169 Depth=2
	s_or_b64 exec, exec, s[22:23]
.LBB2_2214:                             ;   in Loop: Header=BB2_2169 Depth=2
	s_or_b64 exec, exec, s[62:63]
.LBB2_2215:                             ;   in Loop: Header=BB2_2169 Depth=2
	s_andn2_saveexec_b64 s[22:23], s[60:61]
	s_or_b64 exec, exec, s[22:23]
                                        ; implicit-def: $vgpr14
.LBB2_2216:                             ;   in Loop: Header=BB2_2169 Depth=2
	s_andn2_saveexec_b64 s[22:23], s[58:59]
; %bb.2217:                             ;   in Loop: Header=BB2_2169 Depth=2
	v_or_b32_sdwa v8, v14, s74 dst_sel:DWORD dst_unused:UNUSED_PAD src0_sel:BYTE_3 src1_sel:DWORD
	v_cmp_eq_u64_e32 vcc, 0, v[38:39]
	v_cndmask_b32_e32 v19, v8, v19, vcc
; %bb.2218:                             ;   in Loop: Header=BB2_2169 Depth=2
	s_or_b64 exec, exec, s[22:23]
	flat_load_ubyte v8, v[2:3] offset:128 glc slc
	v_mov_b32_e32 v15, 0
	s_waitcnt vmcnt(0) lgkmcnt(0)
	v_cmp_ne_u16_e32 vcc, 0, v8
	s_and_saveexec_b64 s[22:23], vcc
	s_cbranch_execz .LBB2_2224
; %bb.2219:                             ;   in Loop: Header=BB2_2169 Depth=2
	v_cmp_ne_u16_e32 vcc, s75, v8
	v_bfrev_b32_e32 v15, 1
	s_and_saveexec_b64 s[58:59], vcc
	s_cbranch_execz .LBB2_2223
; %bb.2220:                             ;   in Loop: Header=BB2_2169 Depth=2
	v_and_b32_e32 v14, 0xffff, v8
	v_and_b32_e32 v16, 0x7f, v14
	v_cmp_ne_u32_e32 vcc, s74, v16
	v_mov_b32_e32 v15, 0x7f800001
	s_and_saveexec_b64 s[60:61], vcc
	s_cbranch_execz .LBB2_2222
; %bb.2221:                             ;   in Loop: Header=BB2_2169 Depth=2
	v_and_b32_e32 v17, 7, v14
	v_ffbh_u32_e32 v15, v17
	v_min_u32_e32 v22, 32, v15
	v_subrev_u32_e32 v15, 28, v22
	v_lshlrev_b64 v[14:15], v15, v[14:15]
	v_lshrrev_b32_e32 v21, 3, v16
	v_sub_u32_e32 v15, 29, v22
	v_and_b32_e32 v14, 7, v14
	v_cmp_gt_u32_e32 vcc, 8, v16
	v_cndmask_b32_e32 v15, v21, v15, vcc
	v_cndmask_b32_e32 v14, v17, v14, vcc
	v_lshlrev_b32_e32 v8, 24, v8
	v_lshlrev_b32_e32 v14, 20, v14
	v_and_b32_e32 v8, 0x80000000, v8
	v_lshl_add_u32 v15, v15, 23, v20
	v_or3_b32 v15, v8, v15, v14
.LBB2_2222:                             ;   in Loop: Header=BB2_2169 Depth=2
	s_or_b64 exec, exec, s[60:61]
.LBB2_2223:                             ;   in Loop: Header=BB2_2169 Depth=2
	s_or_b64 exec, exec, s[58:59]
.LBB2_2224:                             ;   in Loop: Header=BB2_2169 Depth=2
	s_or_b64 exec, exec, s[22:23]
	v_mul_f32_e32 v14, s64, v15
	v_and_b32_sdwa v8, v14, s75 dst_sel:DWORD dst_unused:UNUSED_PAD src0_sel:BYTE_3 src1_sel:DWORD
	v_and_b32_e32 v22, 0x7f800000, v14
	v_mov_b32_e32 v23, v39
	v_and_b32_e32 v38, 0x7fffff, v14
	v_or_b32_e32 v17, 0x7e, v8
	v_cmp_ne_u64_e32 vcc, s[42:43], v[22:23]
	s_and_saveexec_b64 s[22:23], vcc
	s_xor_b64 s[58:59], exec, s[22:23]
	s_cbranch_execz .LBB2_2238
; %bb.2225:                             ;   in Loop: Header=BB2_2169 Depth=2
	v_and_b32_e32 v22, 0x7fffffff, v14
	v_mov_b32_e32 v23, v39
	v_cmp_gt_u64_e32 vcc, s[44:45], v[22:23]
	s_and_saveexec_b64 s[22:23], vcc
	s_xor_b64 s[60:61], exec, s[22:23]
	s_cbranch_execz .LBB2_2237
; %bb.2226:                             ;   in Loop: Header=BB2_2169 Depth=2
	v_cmp_ne_u32_e32 vcc, 0, v14
	v_mov_b32_e32 v17, 0
	s_and_saveexec_b64 s[62:63], vcc
	s_cbranch_execz .LBB2_2236
; %bb.2227:                             ;   in Loop: Header=BB2_2169 Depth=2
	v_bfe_u32 v14, v14, 23, 8
	v_sub_u32_e32 v16, 0x79, v14
	v_cmp_gt_u32_e32 vcc, s76, v14
	v_cndmask_b32_e32 v16, 0, v16, vcc
	v_cmp_eq_u32_e32 vcc, 0, v14
	v_add_u32_e32 v15, 0xffffff81, v14
	v_or_b32_e32 v17, 0x800000, v38
	v_mov_b32_e32 v14, 0xffffff82
	v_cndmask_b32_e32 v16, v16, v18, vcc
	v_cndmask_b32_e32 v21, v15, v14, vcc
	;; [unrolled: 1-line block ×3, first 2 shown]
	v_add_u32_e32 v14, 20, v16
	v_lshlrev_b64 v[14:15], v14, -1
	v_add_u32_e32 v17, 19, v16
	v_lshrrev_b64 v[24:25], v16, v[38:39]
	v_not_b32_e32 v15, v15
	v_not_b32_e32 v14, v14
	v_lshlrev_b64 v[22:23], v17, 1
	v_lshrrev_b32_e32 v17, 23, v24
	v_and_b32_e32 v15, 0, v15
	v_and_b32_e32 v14, v38, v14
	v_add3_u32 v21, v16, v21, v17
	v_bfe_u32 v16, v24, 20, 1
	v_add_u32_e32 v16, -1, v16
	v_cmp_eq_u64_e32 vcc, v[14:15], v[22:23]
	v_cndmask_b32_e32 v14, 0, v16, vcc
	v_add_u32_e32 v14, v14, v24
	v_and_b32_e32 v14, 0xfffff, v14
	v_add_co_u32_e32 v14, vcc, v14, v24
	v_add_u32_e32 v17, 6, v21
	v_addc_co_u32_e32 v15, vcc, 0, v25, vcc
	v_cmp_ne_u32_e32 vcc, 0, v17
                                        ; implicit-def: $vgpr16
	s_and_saveexec_b64 s[22:23], vcc
	s_xor_b64 s[22:23], exec, s[22:23]
; %bb.2228:                             ;   in Loop: Header=BB2_2169 Depth=2
	v_add_u32_e32 v16, 7, v21
	v_cmp_lt_u64_e32 vcc, s[48:49], v[14:15]
	v_cndmask_b32_e32 v16, v17, v16, vcc
	v_cndmask_b32_e64 v17, 0, 1, vcc
	v_lshrrev_b64 v[14:15], v17, v[14:15]
; %bb.2229:                             ;   in Loop: Header=BB2_2169 Depth=2
	s_andn2_saveexec_b64 s[22:23], s[22:23]
; %bb.2230:                             ;   in Loop: Header=BB2_2169 Depth=2
	v_bfe_u32 v16, v14, 23, 1
; %bb.2231:                             ;   in Loop: Header=BB2_2169 Depth=2
	s_or_b64 exec, exec, s[22:23]
	v_lshrrev_b64 v[14:15], 20, v[14:15]
	v_cmp_gt_i32_e32 vcc, 16, v16
	v_cndmask_b32_e32 v15, 0, v15, vcc
	v_cndmask_b32_e32 v14, 7, v14, vcc
	v_cmp_ne_u32_e32 vcc, 0, v16
	v_cmp_ne_u64_e64 s[22:23], 0, v[14:15]
	s_or_b64 s[22:23], vcc, s[22:23]
                                        ; implicit-def: $vgpr17
	s_and_saveexec_b64 vcc, s[22:23]
	s_xor_b64 s[22:23], exec, vcc
; %bb.2232:                             ;   in Loop: Header=BB2_2169 Depth=2
	v_min_i32_e32 v15, 15, v16
	v_lshl_or_b32 v8, v15, 3, v8
	v_and_or_b32 v17, v14, 7, v8
                                        ; implicit-def: $vgpr8
; %bb.2233:                             ;   in Loop: Header=BB2_2169 Depth=2
	s_andn2_saveexec_b64 s[22:23], s[22:23]
; %bb.2234:                             ;   in Loop: Header=BB2_2169 Depth=2
	v_mov_b32_e32 v17, v8
; %bb.2235:                             ;   in Loop: Header=BB2_2169 Depth=2
	s_or_b64 exec, exec, s[22:23]
.LBB2_2236:                             ;   in Loop: Header=BB2_2169 Depth=2
	s_or_b64 exec, exec, s[62:63]
.LBB2_2237:                             ;   in Loop: Header=BB2_2169 Depth=2
	s_andn2_saveexec_b64 s[22:23], s[60:61]
	s_or_b64 exec, exec, s[22:23]
                                        ; implicit-def: $vgpr14
.LBB2_2238:                             ;   in Loop: Header=BB2_2169 Depth=2
	s_andn2_saveexec_b64 s[22:23], s[58:59]
; %bb.2239:                             ;   in Loop: Header=BB2_2169 Depth=2
	v_or_b32_sdwa v8, v14, s74 dst_sel:DWORD dst_unused:UNUSED_PAD src0_sel:BYTE_3 src1_sel:DWORD
	v_cmp_eq_u64_e32 vcc, 0, v[38:39]
	v_cndmask_b32_e32 v17, v8, v17, vcc
; %bb.2240:                             ;   in Loop: Header=BB2_2169 Depth=2
	s_or_b64 exec, exec, s[22:23]
	flat_load_ubyte v8, v[2:3] offset:192 glc slc
	v_mov_b32_e32 v15, 0
	s_waitcnt vmcnt(0) lgkmcnt(0)
	v_cmp_ne_u16_e32 vcc, 0, v8
	s_and_saveexec_b64 s[22:23], vcc
	s_cbranch_execz .LBB2_2246
; %bb.2241:                             ;   in Loop: Header=BB2_2169 Depth=2
	v_cmp_ne_u16_e32 vcc, s75, v8
	v_bfrev_b32_e32 v15, 1
	s_and_saveexec_b64 s[58:59], vcc
	s_cbranch_execz .LBB2_2245
; %bb.2242:                             ;   in Loop: Header=BB2_2169 Depth=2
	v_and_b32_e32 v14, 0xffff, v8
	v_and_b32_e32 v16, 0x7f, v14
	v_cmp_ne_u32_e32 vcc, s74, v16
	v_mov_b32_e32 v15, 0x7f800001
	s_and_saveexec_b64 s[60:61], vcc
	s_cbranch_execz .LBB2_2244
; %bb.2243:                             ;   in Loop: Header=BB2_2169 Depth=2
	v_and_b32_e32 v21, 7, v14
	v_ffbh_u32_e32 v15, v21
	v_min_u32_e32 v23, 32, v15
	v_subrev_u32_e32 v15, 28, v23
	v_lshlrev_b64 v[14:15], v15, v[14:15]
	v_lshrrev_b32_e32 v22, 3, v16
	v_sub_u32_e32 v15, 29, v23
	v_and_b32_e32 v14, 7, v14
	v_cmp_gt_u32_e32 vcc, 8, v16
	v_cndmask_b32_e32 v15, v22, v15, vcc
	v_cndmask_b32_e32 v14, v21, v14, vcc
	v_lshlrev_b32_e32 v8, 24, v8
	v_lshlrev_b32_e32 v14, 20, v14
	v_and_b32_e32 v8, 0x80000000, v8
	v_lshl_add_u32 v15, v15, 23, v20
	v_or3_b32 v15, v8, v15, v14
.LBB2_2244:                             ;   in Loop: Header=BB2_2169 Depth=2
	s_or_b64 exec, exec, s[60:61]
.LBB2_2245:                             ;   in Loop: Header=BB2_2169 Depth=2
	s_or_b64 exec, exec, s[58:59]
.LBB2_2246:                             ;   in Loop: Header=BB2_2169 Depth=2
	s_or_b64 exec, exec, s[22:23]
	v_mul_f32_e32 v14, s64, v15
	v_and_b32_sdwa v16, v14, s75 dst_sel:DWORD dst_unused:UNUSED_PAD src0_sel:BYTE_3 src1_sel:DWORD
	v_and_b32_e32 v22, 0x7f800000, v14
	v_mov_b32_e32 v23, v39
	v_and_b32_e32 v38, 0x7fffff, v14
	v_or_b32_e32 v8, 0x7e, v16
	v_cmp_ne_u64_e32 vcc, s[42:43], v[22:23]
	s_and_saveexec_b64 s[22:23], vcc
	s_xor_b64 s[58:59], exec, s[22:23]
	s_cbranch_execz .LBB2_2260
; %bb.2247:                             ;   in Loop: Header=BB2_2169 Depth=2
	v_and_b32_e32 v22, 0x7fffffff, v14
	v_mov_b32_e32 v23, v39
	v_cmp_gt_u64_e32 vcc, s[44:45], v[22:23]
	s_and_saveexec_b64 s[22:23], vcc
	s_xor_b64 s[60:61], exec, s[22:23]
	s_cbranch_execz .LBB2_2259
; %bb.2248:                             ;   in Loop: Header=BB2_2169 Depth=2
	v_cmp_ne_u32_e32 vcc, 0, v14
	v_mov_b32_e32 v8, 0
	s_and_saveexec_b64 s[62:63], vcc
	s_cbranch_execz .LBB2_2258
; %bb.2249:                             ;   in Loop: Header=BB2_2169 Depth=2
	v_bfe_u32 v8, v14, 23, 8
	v_sub_u32_e32 v15, 0x79, v8
	v_cmp_gt_u32_e32 vcc, s76, v8
	v_cndmask_b32_e32 v15, 0, v15, vcc
	v_cmp_eq_u32_e32 vcc, 0, v8
	v_add_u32_e32 v14, 0xffffff81, v8
	v_or_b32_e32 v21, 0x800000, v38
	v_mov_b32_e32 v8, 0xffffff82
	v_cndmask_b32_e32 v24, v15, v18, vcc
	v_cndmask_b32_e32 v8, v14, v8, vcc
	;; [unrolled: 1-line block ×3, first 2 shown]
	v_add_u32_e32 v14, 20, v24
	v_lshlrev_b64 v[14:15], v14, -1
	v_add_u32_e32 v21, 19, v24
	v_lshrrev_b64 v[26:27], v24, v[38:39]
	v_not_b32_e32 v15, v15
	v_not_b32_e32 v14, v14
	v_lshlrev_b64 v[22:23], v21, 1
	v_lshrrev_b32_e32 v21, 23, v26
	v_and_b32_e32 v15, 0, v15
	v_and_b32_e32 v14, v38, v14
	v_add3_u32 v24, v24, v8, v21
	v_bfe_u32 v21, v26, 20, 1
	v_add_u32_e32 v21, -1, v21
	v_cmp_eq_u64_e32 vcc, v[14:15], v[22:23]
	v_cndmask_b32_e32 v14, 0, v21, vcc
	v_add_u32_e32 v14, v14, v26
	v_and_b32_e32 v14, 0xfffff, v14
	v_add_co_u32_e32 v14, vcc, v14, v26
	v_add_u32_e32 v8, 6, v24
	v_addc_co_u32_e32 v15, vcc, 0, v27, vcc
	v_cmp_ne_u32_e32 vcc, 0, v8
                                        ; implicit-def: $vgpr21
	s_and_saveexec_b64 s[22:23], vcc
	s_xor_b64 s[22:23], exec, s[22:23]
; %bb.2250:                             ;   in Loop: Header=BB2_2169 Depth=2
	v_add_u32_e32 v21, 7, v24
	v_cmp_lt_u64_e32 vcc, s[48:49], v[14:15]
	v_cndmask_b32_e32 v21, v8, v21, vcc
	v_cndmask_b32_e64 v8, 0, 1, vcc
	v_lshrrev_b64 v[14:15], v8, v[14:15]
; %bb.2251:                             ;   in Loop: Header=BB2_2169 Depth=2
	s_andn2_saveexec_b64 s[22:23], s[22:23]
; %bb.2252:                             ;   in Loop: Header=BB2_2169 Depth=2
	v_bfe_u32 v21, v14, 23, 1
; %bb.2253:                             ;   in Loop: Header=BB2_2169 Depth=2
	s_or_b64 exec, exec, s[22:23]
	v_lshrrev_b64 v[14:15], 20, v[14:15]
	v_cmp_gt_i32_e32 vcc, 16, v21
	v_cndmask_b32_e32 v15, 0, v15, vcc
	v_cndmask_b32_e32 v14, 7, v14, vcc
	v_cmp_ne_u32_e32 vcc, 0, v21
	v_cmp_ne_u64_e64 s[22:23], 0, v[14:15]
	s_or_b64 s[22:23], vcc, s[22:23]
                                        ; implicit-def: $vgpr8
	s_and_saveexec_b64 vcc, s[22:23]
	s_xor_b64 s[22:23], exec, vcc
; %bb.2254:                             ;   in Loop: Header=BB2_2169 Depth=2
	v_min_i32_e32 v8, 15, v21
	v_lshl_or_b32 v8, v8, 3, v16
	v_and_or_b32 v8, v14, 7, v8
                                        ; implicit-def: $vgpr16
; %bb.2255:                             ;   in Loop: Header=BB2_2169 Depth=2
	s_andn2_saveexec_b64 s[22:23], s[22:23]
; %bb.2256:                             ;   in Loop: Header=BB2_2169 Depth=2
	v_mov_b32_e32 v8, v16
; %bb.2257:                             ;   in Loop: Header=BB2_2169 Depth=2
	s_or_b64 exec, exec, s[22:23]
.LBB2_2258:                             ;   in Loop: Header=BB2_2169 Depth=2
	s_or_b64 exec, exec, s[62:63]
.LBB2_2259:                             ;   in Loop: Header=BB2_2169 Depth=2
	s_andn2_saveexec_b64 s[22:23], s[60:61]
	s_or_b64 exec, exec, s[22:23]
                                        ; implicit-def: $vgpr14
.LBB2_2260:                             ;   in Loop: Header=BB2_2169 Depth=2
	s_andn2_saveexec_b64 s[22:23], s[58:59]
; %bb.2261:                             ;   in Loop: Header=BB2_2169 Depth=2
	v_or_b32_sdwa v14, v14, s74 dst_sel:DWORD dst_unused:UNUSED_PAD src0_sel:BYTE_3 src1_sel:DWORD
	v_cmp_eq_u64_e32 vcc, 0, v[38:39]
	v_cndmask_b32_e32 v8, v14, v8, vcc
; %bb.2262:                             ;   in Loop: Header=BB2_2169 Depth=2
	s_or_b64 exec, exec, s[22:23]
	flat_load_ubyte v15, v[10:11] glc slc
	flat_load_ubyte v24, v[10:11] offset:64 glc slc
	flat_load_ubyte v21, v[10:11] offset:128 glc slc
	;; [unrolled: 1-line block ×3, first 2 shown]
	v_and_b32_e32 v14, 0xff, v9
	v_cmp_ne_u16_e32 vcc, 0, v14
	v_mov_b32_e32 v25, 0
	v_mov_b32_e32 v26, 0
	s_and_saveexec_b64 s[22:23], vcc
	s_cbranch_execz .LBB2_2268
; %bb.2263:                             ;   in Loop: Header=BB2_2169 Depth=2
	v_cmp_ne_u16_e32 vcc, s75, v14
	v_bfrev_b32_e32 v26, 1
	s_and_saveexec_b64 s[58:59], vcc
	s_cbranch_execz .LBB2_2267
; %bb.2264:                             ;   in Loop: Header=BB2_2169 Depth=2
	v_and_b32_e32 v27, 0x7f, v9
	v_cmp_ne_u32_e32 vcc, s74, v27
	v_mov_b32_e32 v26, 0x7f800001
	s_and_saveexec_b64 s[60:61], vcc
	s_cbranch_execz .LBB2_2266
; %bb.2265:                             ;   in Loop: Header=BB2_2169 Depth=2
	v_and_b32_e32 v26, 7, v14
	v_ffbh_u32_e32 v22, v26
	v_min_u32_e32 v31, 32, v22
	v_subrev_u32_e32 v22, 28, v31
	s_waitcnt vmcnt(0) lgkmcnt(0)
	v_lshlrev_b64 v[22:23], v22, v[14:15]
	v_lshrrev_b32_e32 v30, 3, v27
	v_sub_u32_e32 v14, 29, v31
	v_and_b32_e32 v22, 7, v22
	v_cmp_gt_u32_e32 vcc, 8, v27
	v_cndmask_b32_e32 v14, v30, v14, vcc
	v_cndmask_b32_e32 v22, v26, v22, vcc
	v_lshlrev_b32_e32 v9, 24, v9
	v_lshlrev_b32_e32 v22, 20, v22
	v_and_b32_e32 v9, 0x80000000, v9
	v_lshl_add_u32 v14, v14, 23, v20
	v_or3_b32 v26, v9, v14, v22
.LBB2_2266:                             ;   in Loop: Header=BB2_2169 Depth=2
	s_or_b64 exec, exec, s[60:61]
.LBB2_2267:                             ;   in Loop: Header=BB2_2169 Depth=2
	s_or_b64 exec, exec, s[58:59]
.LBB2_2268:                             ;   in Loop: Header=BB2_2169 Depth=2
	s_or_b64 exec, exec, s[22:23]
	s_waitcnt vmcnt(0) lgkmcnt(0)
	v_and_b32_e32 v14, 0xff, v15
	v_cmp_ne_u16_e32 vcc, 0, v14
	s_and_saveexec_b64 s[22:23], vcc
	s_cbranch_execz .LBB2_2274
; %bb.2269:                             ;   in Loop: Header=BB2_2169 Depth=2
	v_cmp_ne_u16_e32 vcc, s75, v14
	v_bfrev_b32_e32 v25, 1
	s_and_saveexec_b64 s[58:59], vcc
	s_cbranch_execz .LBB2_2273
; %bb.2270:                             ;   in Loop: Header=BB2_2169 Depth=2
	v_and_b32_e32 v9, 0x7f, v15
	v_cmp_ne_u32_e32 vcc, s74, v9
	v_mov_b32_e32 v25, 0x7f800001
	s_and_saveexec_b64 s[60:61], vcc
	s_cbranch_execz .LBB2_2272
; %bb.2271:                             ;   in Loop: Header=BB2_2169 Depth=2
	v_and_b32_e32 v25, 7, v14
	v_ffbh_u32_e32 v22, v25
	v_min_u32_e32 v30, 32, v22
	v_subrev_u32_e32 v22, 28, v30
	v_lshlrev_b64 v[22:23], v22, v[14:15]
	v_lshrrev_b32_e32 v27, 3, v9
	v_sub_u32_e32 v14, 29, v30
	v_and_b32_e32 v22, 7, v22
	v_cmp_gt_u32_e32 vcc, 8, v9
	v_cndmask_b32_e32 v9, v27, v14, vcc
	v_cndmask_b32_e32 v14, v25, v22, vcc
	v_lshlrev_b32_e32 v15, 24, v15
	v_lshlrev_b32_e32 v14, 20, v14
	v_and_b32_e32 v15, 0x80000000, v15
	v_lshl_add_u32 v9, v9, 23, v20
	v_or3_b32 v25, v15, v9, v14
.LBB2_2272:                             ;   in Loop: Header=BB2_2169 Depth=2
	s_or_b64 exec, exec, s[60:61]
.LBB2_2273:                             ;   in Loop: Header=BB2_2169 Depth=2
	s_or_b64 exec, exec, s[58:59]
.LBB2_2274:                             ;   in Loop: Header=BB2_2169 Depth=2
	s_or_b64 exec, exec, s[22:23]
	v_add_f32_e32 v14, v26, v25
	v_and_b32_sdwa v25, v14, s75 dst_sel:DWORD dst_unused:UNUSED_PAD src0_sel:BYTE_3 src1_sel:DWORD
	v_and_b32_e32 v22, 0x7f800000, v14
	v_mov_b32_e32 v23, v39
	v_and_b32_e32 v38, 0x7fffff, v14
	v_or_b32_e32 v9, 0x7e, v25
	v_cmp_ne_u64_e32 vcc, s[42:43], v[22:23]
	s_and_saveexec_b64 s[22:23], vcc
	s_xor_b64 s[58:59], exec, s[22:23]
	s_cbranch_execz .LBB2_2288
; %bb.2275:                             ;   in Loop: Header=BB2_2169 Depth=2
	v_and_b32_e32 v22, 0x7fffffff, v14
	v_mov_b32_e32 v23, v39
	v_cmp_gt_u64_e32 vcc, s[44:45], v[22:23]
	s_and_saveexec_b64 s[22:23], vcc
	s_xor_b64 s[60:61], exec, s[22:23]
	s_cbranch_execz .LBB2_2287
; %bb.2276:                             ;   in Loop: Header=BB2_2169 Depth=2
	v_cmp_ne_u32_e32 vcc, 0, v14
	v_mov_b32_e32 v9, 0
	s_and_saveexec_b64 s[62:63], vcc
	s_cbranch_execz .LBB2_2286
; %bb.2277:                             ;   in Loop: Header=BB2_2169 Depth=2
	v_bfe_u32 v9, v14, 23, 8
	v_sub_u32_e32 v15, 0x79, v9
	v_cmp_gt_u32_e32 vcc, s76, v9
	v_cndmask_b32_e32 v15, 0, v15, vcc
	v_cmp_eq_u32_e32 vcc, 0, v9
	v_add_u32_e32 v14, 0xffffff81, v9
	v_or_b32_e32 v22, 0x800000, v38
	v_mov_b32_e32 v9, 0xffffff82
	v_cndmask_b32_e32 v26, v15, v18, vcc
	v_cndmask_b32_e32 v9, v14, v9, vcc
	v_cndmask_b32_e32 v38, v22, v38, vcc
	v_add_u32_e32 v14, 20, v26
	v_lshlrev_b64 v[14:15], v14, -1
	v_lshrrev_b64 v[30:31], v26, v[38:39]
	v_not_b32_e32 v15, v15
	v_not_b32_e32 v14, v14
	v_add_u32_e32 v22, 19, v26
	v_lshrrev_b32_e32 v27, 23, v30
	v_and_b32_e32 v15, 0, v15
	v_and_b32_e32 v14, v38, v14
	v_lshlrev_b64 v[22:23], v22, 1
	v_add3_u32 v27, v26, v9, v27
	v_bfe_u32 v26, v30, 20, 1
	v_add_u32_e32 v26, -1, v26
	v_cmp_eq_u64_e32 vcc, v[14:15], v[22:23]
	v_cndmask_b32_e32 v14, 0, v26, vcc
	v_add_u32_e32 v14, v14, v30
	v_and_b32_e32 v14, 0xfffff, v14
	v_add_co_u32_e32 v14, vcc, v14, v30
	v_add_u32_e32 v9, 6, v27
	v_addc_co_u32_e32 v15, vcc, 0, v31, vcc
	v_cmp_ne_u32_e32 vcc, 0, v9
                                        ; implicit-def: $vgpr26
	s_and_saveexec_b64 s[22:23], vcc
	s_xor_b64 s[22:23], exec, s[22:23]
; %bb.2278:                             ;   in Loop: Header=BB2_2169 Depth=2
	v_add_u32_e32 v22, 7, v27
	v_cmp_lt_u64_e32 vcc, s[48:49], v[14:15]
	v_cndmask_b32_e32 v26, v9, v22, vcc
	v_cndmask_b32_e64 v9, 0, 1, vcc
	v_lshrrev_b64 v[14:15], v9, v[14:15]
; %bb.2279:                             ;   in Loop: Header=BB2_2169 Depth=2
	s_andn2_saveexec_b64 s[22:23], s[22:23]
; %bb.2280:                             ;   in Loop: Header=BB2_2169 Depth=2
	v_bfe_u32 v26, v14, 23, 1
; %bb.2281:                             ;   in Loop: Header=BB2_2169 Depth=2
	s_or_b64 exec, exec, s[22:23]
	v_lshrrev_b64 v[14:15], 20, v[14:15]
	v_cmp_gt_i32_e32 vcc, 16, v26
	v_cndmask_b32_e32 v15, 0, v15, vcc
	v_cndmask_b32_e32 v14, 7, v14, vcc
	v_cmp_ne_u32_e32 vcc, 0, v26
	v_cmp_ne_u64_e64 s[22:23], 0, v[14:15]
	s_or_b64 s[22:23], vcc, s[22:23]
                                        ; implicit-def: $vgpr9
	s_and_saveexec_b64 vcc, s[22:23]
	s_xor_b64 s[22:23], exec, vcc
; %bb.2282:                             ;   in Loop: Header=BB2_2169 Depth=2
	v_min_i32_e32 v9, 15, v26
	v_lshl_or_b32 v9, v9, 3, v25
	v_and_or_b32 v9, v14, 7, v9
                                        ; implicit-def: $vgpr25
; %bb.2283:                             ;   in Loop: Header=BB2_2169 Depth=2
	s_andn2_saveexec_b64 s[22:23], s[22:23]
; %bb.2284:                             ;   in Loop: Header=BB2_2169 Depth=2
	v_mov_b32_e32 v9, v25
; %bb.2285:                             ;   in Loop: Header=BB2_2169 Depth=2
	s_or_b64 exec, exec, s[22:23]
.LBB2_2286:                             ;   in Loop: Header=BB2_2169 Depth=2
	s_or_b64 exec, exec, s[62:63]
.LBB2_2287:                             ;   in Loop: Header=BB2_2169 Depth=2
	s_andn2_saveexec_b64 s[22:23], s[60:61]
	s_or_b64 exec, exec, s[22:23]
                                        ; implicit-def: $vgpr14
.LBB2_2288:                             ;   in Loop: Header=BB2_2169 Depth=2
	s_andn2_saveexec_b64 s[22:23], s[58:59]
; %bb.2289:                             ;   in Loop: Header=BB2_2169 Depth=2
	v_or_b32_sdwa v14, v14, s74 dst_sel:DWORD dst_unused:UNUSED_PAD src0_sel:BYTE_3 src1_sel:DWORD
	v_cmp_eq_u64_e32 vcc, 0, v[38:39]
	v_cndmask_b32_e32 v9, v14, v9, vcc
; %bb.2290:                             ;   in Loop: Header=BB2_2169 Depth=2
	s_or_b64 exec, exec, s[22:23]
	v_and_b32_e32 v14, 0xff, v19
	v_cmp_ne_u16_e32 vcc, 0, v14
	v_mov_b32_e32 v15, 0
	v_mov_b32_e32 v25, 0
	s_and_saveexec_b64 s[22:23], vcc
	s_cbranch_execz .LBB2_2296
; %bb.2291:                             ;   in Loop: Header=BB2_2169 Depth=2
	v_cmp_ne_u16_e32 vcc, s75, v14
	v_bfrev_b32_e32 v25, 1
	s_and_saveexec_b64 s[58:59], vcc
	s_cbranch_execz .LBB2_2295
; %bb.2292:                             ;   in Loop: Header=BB2_2169 Depth=2
	v_and_b32_e32 v26, 0x7f, v19
	v_cmp_ne_u32_e32 vcc, s74, v26
	v_mov_b32_e32 v25, 0x7f800001
	s_and_saveexec_b64 s[60:61], vcc
	s_cbranch_execz .LBB2_2294
; %bb.2293:                             ;   in Loop: Header=BB2_2169 Depth=2
	v_and_b32_e32 v25, 7, v14
	v_ffbh_u32_e32 v22, v25
	v_min_u32_e32 v30, 32, v22
	v_subrev_u32_e32 v22, 28, v30
	v_lshlrev_b64 v[22:23], v22, v[14:15]
	v_lshrrev_b32_e32 v27, 3, v26
	v_sub_u32_e32 v14, 29, v30
	v_and_b32_e32 v22, 7, v22
	v_cmp_gt_u32_e32 vcc, 8, v26
	v_cndmask_b32_e32 v14, v27, v14, vcc
	v_cndmask_b32_e32 v22, v25, v22, vcc
	v_lshlrev_b32_e32 v19, 24, v19
	v_lshlrev_b32_e32 v22, 20, v22
	v_and_b32_e32 v19, 0x80000000, v19
	v_lshl_add_u32 v14, v14, 23, v20
	v_or3_b32 v25, v19, v14, v22
.LBB2_2294:                             ;   in Loop: Header=BB2_2169 Depth=2
	s_or_b64 exec, exec, s[60:61]
.LBB2_2295:                             ;   in Loop: Header=BB2_2169 Depth=2
	s_or_b64 exec, exec, s[58:59]
.LBB2_2296:                             ;   in Loop: Header=BB2_2169 Depth=2
	s_or_b64 exec, exec, s[22:23]
	v_and_b32_e32 v14, 0xff, v24
	v_cmp_ne_u16_e32 vcc, 0, v14
	s_and_saveexec_b64 s[22:23], vcc
	s_cbranch_execz .LBB2_2302
; %bb.2297:                             ;   in Loop: Header=BB2_2169 Depth=2
	v_cmp_ne_u16_e32 vcc, s75, v14
	v_bfrev_b32_e32 v15, 1
	s_and_saveexec_b64 s[58:59], vcc
	s_cbranch_execz .LBB2_2301
; %bb.2298:                             ;   in Loop: Header=BB2_2169 Depth=2
	v_and_b32_e32 v19, 0x7f, v24
	v_cmp_ne_u32_e32 vcc, s74, v19
	v_mov_b32_e32 v15, 0x7f800001
	s_and_saveexec_b64 s[60:61], vcc
	s_cbranch_execz .LBB2_2300
; %bb.2299:                             ;   in Loop: Header=BB2_2169 Depth=2
	v_and_b32_e32 v22, 7, v14
	v_ffbh_u32_e32 v15, v22
	v_min_u32_e32 v26, 32, v15
	v_subrev_u32_e32 v15, 28, v26
	v_lshlrev_b64 v[14:15], v15, v[14:15]
	v_lshrrev_b32_e32 v23, 3, v19
	v_sub_u32_e32 v15, 29, v26
	v_and_b32_e32 v14, 7, v14
	v_cmp_gt_u32_e32 vcc, 8, v19
	v_cndmask_b32_e32 v15, v23, v15, vcc
	v_cndmask_b32_e32 v14, v22, v14, vcc
	v_lshlrev_b32_e32 v19, 24, v24
	v_lshlrev_b32_e32 v14, 20, v14
	v_and_b32_e32 v19, 0x80000000, v19
	v_lshl_add_u32 v15, v15, 23, v20
	v_or3_b32 v15, v19, v15, v14
.LBB2_2300:                             ;   in Loop: Header=BB2_2169 Depth=2
	s_or_b64 exec, exec, s[60:61]
.LBB2_2301:                             ;   in Loop: Header=BB2_2169 Depth=2
	s_or_b64 exec, exec, s[58:59]
.LBB2_2302:                             ;   in Loop: Header=BB2_2169 Depth=2
	s_or_b64 exec, exec, s[22:23]
	v_add_f32_e32 v14, v25, v15
	v_and_b32_sdwa v24, v14, s75 dst_sel:DWORD dst_unused:UNUSED_PAD src0_sel:BYTE_3 src1_sel:DWORD
	v_and_b32_e32 v22, 0x7f800000, v14
	v_mov_b32_e32 v23, v39
	v_and_b32_e32 v38, 0x7fffff, v14
	v_or_b32_e32 v19, 0x7e, v24
	v_cmp_ne_u64_e32 vcc, s[42:43], v[22:23]
	s_and_saveexec_b64 s[22:23], vcc
	s_xor_b64 s[58:59], exec, s[22:23]
	s_cbranch_execz .LBB2_2316
; %bb.2303:                             ;   in Loop: Header=BB2_2169 Depth=2
	v_and_b32_e32 v22, 0x7fffffff, v14
	v_mov_b32_e32 v23, v39
	v_cmp_gt_u64_e32 vcc, s[44:45], v[22:23]
	s_and_saveexec_b64 s[22:23], vcc
	s_xor_b64 s[60:61], exec, s[22:23]
	s_cbranch_execz .LBB2_2315
; %bb.2304:                             ;   in Loop: Header=BB2_2169 Depth=2
	v_cmp_ne_u32_e32 vcc, 0, v14
	v_mov_b32_e32 v19, 0
	s_and_saveexec_b64 s[62:63], vcc
	s_cbranch_execz .LBB2_2314
; %bb.2305:                             ;   in Loop: Header=BB2_2169 Depth=2
	v_bfe_u32 v14, v14, 23, 8
	v_sub_u32_e32 v19, 0x79, v14
	v_cmp_gt_u32_e32 vcc, s76, v14
	v_cndmask_b32_e32 v19, 0, v19, vcc
	v_cmp_eq_u32_e32 vcc, 0, v14
	v_add_u32_e32 v15, 0xffffff81, v14
	v_or_b32_e32 v22, 0x800000, v38
	v_mov_b32_e32 v14, 0xffffff82
	v_cndmask_b32_e32 v19, v19, v18, vcc
	v_cndmask_b32_e32 v25, v15, v14, vcc
	;; [unrolled: 1-line block ×3, first 2 shown]
	v_add_u32_e32 v14, 20, v19
	v_lshlrev_b64 v[14:15], v14, -1
	v_lshrrev_b64 v[30:31], v19, v[38:39]
	v_not_b32_e32 v15, v15
	v_not_b32_e32 v14, v14
	v_add_u32_e32 v22, 19, v19
	v_lshrrev_b32_e32 v26, 23, v30
	v_and_b32_e32 v15, 0, v15
	v_and_b32_e32 v14, v38, v14
	v_lshlrev_b64 v[22:23], v22, 1
	v_add3_u32 v26, v19, v25, v26
	v_bfe_u32 v25, v30, 20, 1
	v_add_u32_e32 v25, -1, v25
	v_cmp_eq_u64_e32 vcc, v[14:15], v[22:23]
	v_cndmask_b32_e32 v14, 0, v25, vcc
	v_add_u32_e32 v14, v14, v30
	v_and_b32_e32 v14, 0xfffff, v14
	v_add_co_u32_e32 v14, vcc, v14, v30
	v_add_u32_e32 v19, 6, v26
	v_addc_co_u32_e32 v15, vcc, 0, v31, vcc
	v_cmp_ne_u32_e32 vcc, 0, v19
                                        ; implicit-def: $vgpr25
	s_and_saveexec_b64 s[22:23], vcc
	s_xor_b64 s[22:23], exec, s[22:23]
; %bb.2306:                             ;   in Loop: Header=BB2_2169 Depth=2
	v_add_u32_e32 v22, 7, v26
	v_cmp_lt_u64_e32 vcc, s[48:49], v[14:15]
	v_cndmask_b32_e32 v25, v19, v22, vcc
	v_cndmask_b32_e64 v19, 0, 1, vcc
	v_lshrrev_b64 v[14:15], v19, v[14:15]
; %bb.2307:                             ;   in Loop: Header=BB2_2169 Depth=2
	s_andn2_saveexec_b64 s[22:23], s[22:23]
; %bb.2308:                             ;   in Loop: Header=BB2_2169 Depth=2
	v_bfe_u32 v25, v14, 23, 1
; %bb.2309:                             ;   in Loop: Header=BB2_2169 Depth=2
	s_or_b64 exec, exec, s[22:23]
	v_lshrrev_b64 v[14:15], 20, v[14:15]
	v_cmp_gt_i32_e32 vcc, 16, v25
	v_cndmask_b32_e32 v15, 0, v15, vcc
	v_cndmask_b32_e32 v14, 7, v14, vcc
	v_cmp_ne_u32_e32 vcc, 0, v25
	v_cmp_ne_u64_e64 s[22:23], 0, v[14:15]
	s_or_b64 s[22:23], vcc, s[22:23]
                                        ; implicit-def: $vgpr19
	s_and_saveexec_b64 vcc, s[22:23]
	s_xor_b64 s[22:23], exec, vcc
; %bb.2310:                             ;   in Loop: Header=BB2_2169 Depth=2
	v_min_i32_e32 v15, 15, v25
	v_lshl_or_b32 v15, v15, 3, v24
	v_and_or_b32 v19, v14, 7, v15
                                        ; implicit-def: $vgpr24
; %bb.2311:                             ;   in Loop: Header=BB2_2169 Depth=2
	s_andn2_saveexec_b64 s[22:23], s[22:23]
; %bb.2312:                             ;   in Loop: Header=BB2_2169 Depth=2
	v_mov_b32_e32 v19, v24
; %bb.2313:                             ;   in Loop: Header=BB2_2169 Depth=2
	s_or_b64 exec, exec, s[22:23]
.LBB2_2314:                             ;   in Loop: Header=BB2_2169 Depth=2
	s_or_b64 exec, exec, s[62:63]
.LBB2_2315:                             ;   in Loop: Header=BB2_2169 Depth=2
	s_andn2_saveexec_b64 s[22:23], s[60:61]
	s_or_b64 exec, exec, s[22:23]
                                        ; implicit-def: $vgpr14
.LBB2_2316:                             ;   in Loop: Header=BB2_2169 Depth=2
	s_andn2_saveexec_b64 s[22:23], s[58:59]
; %bb.2317:                             ;   in Loop: Header=BB2_2169 Depth=2
	v_or_b32_sdwa v14, v14, s74 dst_sel:DWORD dst_unused:UNUSED_PAD src0_sel:BYTE_3 src1_sel:DWORD
	v_cmp_eq_u64_e32 vcc, 0, v[38:39]
	v_cndmask_b32_e32 v19, v14, v19, vcc
; %bb.2318:                             ;   in Loop: Header=BB2_2169 Depth=2
	s_or_b64 exec, exec, s[22:23]
	v_and_b32_e32 v14, 0xff, v17
	v_cmp_ne_u16_e32 vcc, 0, v14
	v_mov_b32_e32 v15, 0
	v_mov_b32_e32 v24, 0
	s_and_saveexec_b64 s[22:23], vcc
	s_cbranch_execz .LBB2_2324
; %bb.2319:                             ;   in Loop: Header=BB2_2169 Depth=2
	v_cmp_ne_u16_e32 vcc, s75, v14
	v_bfrev_b32_e32 v24, 1
	s_and_saveexec_b64 s[58:59], vcc
	s_cbranch_execz .LBB2_2323
; %bb.2320:                             ;   in Loop: Header=BB2_2169 Depth=2
	v_and_b32_e32 v25, 0x7f, v17
	v_cmp_ne_u32_e32 vcc, s74, v25
	v_mov_b32_e32 v24, 0x7f800001
	s_and_saveexec_b64 s[60:61], vcc
	s_cbranch_execz .LBB2_2322
; %bb.2321:                             ;   in Loop: Header=BB2_2169 Depth=2
	v_and_b32_e32 v24, 7, v14
	v_ffbh_u32_e32 v22, v24
	v_min_u32_e32 v27, 32, v22
	v_subrev_u32_e32 v22, 28, v27
	v_lshlrev_b64 v[22:23], v22, v[14:15]
	v_lshrrev_b32_e32 v26, 3, v25
	v_sub_u32_e32 v14, 29, v27
	v_and_b32_e32 v22, 7, v22
	v_cmp_gt_u32_e32 vcc, 8, v25
	v_cndmask_b32_e32 v14, v26, v14, vcc
	v_cndmask_b32_e32 v22, v24, v22, vcc
	v_lshlrev_b32_e32 v17, 24, v17
	v_lshlrev_b32_e32 v22, 20, v22
	v_and_b32_e32 v17, 0x80000000, v17
	v_lshl_add_u32 v14, v14, 23, v20
	v_or3_b32 v24, v17, v14, v22
.LBB2_2322:                             ;   in Loop: Header=BB2_2169 Depth=2
	s_or_b64 exec, exec, s[60:61]
.LBB2_2323:                             ;   in Loop: Header=BB2_2169 Depth=2
	s_or_b64 exec, exec, s[58:59]
.LBB2_2324:                             ;   in Loop: Header=BB2_2169 Depth=2
	s_or_b64 exec, exec, s[22:23]
	v_and_b32_e32 v14, 0xff, v21
	v_cmp_ne_u16_e32 vcc, 0, v14
	s_and_saveexec_b64 s[22:23], vcc
	s_cbranch_execz .LBB2_2330
; %bb.2325:                             ;   in Loop: Header=BB2_2169 Depth=2
	v_cmp_ne_u16_e32 vcc, s75, v14
	v_bfrev_b32_e32 v15, 1
	s_and_saveexec_b64 s[58:59], vcc
	s_cbranch_execz .LBB2_2329
; %bb.2326:                             ;   in Loop: Header=BB2_2169 Depth=2
	v_and_b32_e32 v17, 0x7f, v21
	v_cmp_ne_u32_e32 vcc, s74, v17
	v_mov_b32_e32 v15, 0x7f800001
	s_and_saveexec_b64 s[60:61], vcc
	s_cbranch_execz .LBB2_2328
; %bb.2327:                             ;   in Loop: Header=BB2_2169 Depth=2
	v_and_b32_e32 v22, 7, v14
	v_ffbh_u32_e32 v15, v22
	v_min_u32_e32 v25, 32, v15
	v_subrev_u32_e32 v15, 28, v25
	v_lshlrev_b64 v[14:15], v15, v[14:15]
	v_lshrrev_b32_e32 v23, 3, v17
	v_sub_u32_e32 v15, 29, v25
	v_and_b32_e32 v14, 7, v14
	v_cmp_gt_u32_e32 vcc, 8, v17
	v_cndmask_b32_e32 v15, v23, v15, vcc
	v_cndmask_b32_e32 v14, v22, v14, vcc
	v_lshlrev_b32_e32 v17, 24, v21
	v_lshlrev_b32_e32 v14, 20, v14
	v_and_b32_e32 v17, 0x80000000, v17
	v_lshl_add_u32 v15, v15, 23, v20
	v_or3_b32 v15, v17, v15, v14
.LBB2_2328:                             ;   in Loop: Header=BB2_2169 Depth=2
	s_or_b64 exec, exec, s[60:61]
.LBB2_2329:                             ;   in Loop: Header=BB2_2169 Depth=2
	s_or_b64 exec, exec, s[58:59]
.LBB2_2330:                             ;   in Loop: Header=BB2_2169 Depth=2
	s_or_b64 exec, exec, s[22:23]
	v_add_f32_e32 v14, v24, v15
	v_and_b32_sdwa v21, v14, s75 dst_sel:DWORD dst_unused:UNUSED_PAD src0_sel:BYTE_3 src1_sel:DWORD
	v_and_b32_e32 v22, 0x7f800000, v14
	v_mov_b32_e32 v23, v39
	v_and_b32_e32 v38, 0x7fffff, v14
	v_or_b32_e32 v17, 0x7e, v21
	v_cmp_ne_u64_e32 vcc, s[42:43], v[22:23]
	s_and_saveexec_b64 s[22:23], vcc
	s_xor_b64 s[58:59], exec, s[22:23]
	s_cbranch_execz .LBB2_2344
; %bb.2331:                             ;   in Loop: Header=BB2_2169 Depth=2
	v_and_b32_e32 v22, 0x7fffffff, v14
	v_mov_b32_e32 v23, v39
	v_cmp_gt_u64_e32 vcc, s[44:45], v[22:23]
	s_and_saveexec_b64 s[22:23], vcc
	s_xor_b64 s[60:61], exec, s[22:23]
	s_cbranch_execz .LBB2_2343
; %bb.2332:                             ;   in Loop: Header=BB2_2169 Depth=2
	v_cmp_ne_u32_e32 vcc, 0, v14
	v_mov_b32_e32 v17, 0
	s_and_saveexec_b64 s[62:63], vcc
	s_cbranch_execz .LBB2_2342
; %bb.2333:                             ;   in Loop: Header=BB2_2169 Depth=2
	v_bfe_u32 v14, v14, 23, 8
	v_sub_u32_e32 v17, 0x79, v14
	v_cmp_gt_u32_e32 vcc, s76, v14
	v_cndmask_b32_e32 v17, 0, v17, vcc
	v_cmp_eq_u32_e32 vcc, 0, v14
	v_add_u32_e32 v15, 0xffffff81, v14
	v_or_b32_e32 v22, 0x800000, v38
	v_mov_b32_e32 v14, 0xffffff82
	v_cndmask_b32_e32 v17, v17, v18, vcc
	v_cndmask_b32_e32 v24, v15, v14, vcc
	;; [unrolled: 1-line block ×3, first 2 shown]
	v_add_u32_e32 v14, 20, v17
	v_lshlrev_b64 v[14:15], v14, -1
	v_lshrrev_b64 v[26:27], v17, v[38:39]
	v_not_b32_e32 v15, v15
	v_not_b32_e32 v14, v14
	v_add_u32_e32 v22, 19, v17
	v_lshrrev_b32_e32 v25, 23, v26
	v_and_b32_e32 v15, 0, v15
	v_and_b32_e32 v14, v38, v14
	v_lshlrev_b64 v[22:23], v22, 1
	v_add3_u32 v25, v17, v24, v25
	v_bfe_u32 v24, v26, 20, 1
	v_add_u32_e32 v24, -1, v24
	v_cmp_eq_u64_e32 vcc, v[14:15], v[22:23]
	v_cndmask_b32_e32 v14, 0, v24, vcc
	v_add_u32_e32 v14, v14, v26
	v_and_b32_e32 v14, 0xfffff, v14
	v_add_co_u32_e32 v14, vcc, v14, v26
	v_add_u32_e32 v17, 6, v25
	v_addc_co_u32_e32 v15, vcc, 0, v27, vcc
	v_cmp_ne_u32_e32 vcc, 0, v17
                                        ; implicit-def: $vgpr24
	s_and_saveexec_b64 s[22:23], vcc
	s_xor_b64 s[22:23], exec, s[22:23]
; %bb.2334:                             ;   in Loop: Header=BB2_2169 Depth=2
	v_add_u32_e32 v22, 7, v25
	v_cmp_lt_u64_e32 vcc, s[48:49], v[14:15]
	v_cndmask_b32_e32 v24, v17, v22, vcc
	v_cndmask_b32_e64 v17, 0, 1, vcc
	v_lshrrev_b64 v[14:15], v17, v[14:15]
; %bb.2335:                             ;   in Loop: Header=BB2_2169 Depth=2
	s_andn2_saveexec_b64 s[22:23], s[22:23]
; %bb.2336:                             ;   in Loop: Header=BB2_2169 Depth=2
	v_bfe_u32 v24, v14, 23, 1
; %bb.2337:                             ;   in Loop: Header=BB2_2169 Depth=2
	s_or_b64 exec, exec, s[22:23]
	v_lshrrev_b64 v[14:15], 20, v[14:15]
	v_cmp_gt_i32_e32 vcc, 16, v24
	v_cndmask_b32_e32 v15, 0, v15, vcc
	v_cndmask_b32_e32 v14, 7, v14, vcc
	v_cmp_ne_u32_e32 vcc, 0, v24
	v_cmp_ne_u64_e64 s[22:23], 0, v[14:15]
	s_or_b64 s[22:23], vcc, s[22:23]
                                        ; implicit-def: $vgpr17
	s_and_saveexec_b64 vcc, s[22:23]
	s_xor_b64 s[22:23], exec, vcc
; %bb.2338:                             ;   in Loop: Header=BB2_2169 Depth=2
	v_min_i32_e32 v15, 15, v24
	v_lshl_or_b32 v15, v15, 3, v21
	v_and_or_b32 v17, v14, 7, v15
                                        ; implicit-def: $vgpr21
; %bb.2339:                             ;   in Loop: Header=BB2_2169 Depth=2
	s_andn2_saveexec_b64 s[22:23], s[22:23]
; %bb.2340:                             ;   in Loop: Header=BB2_2169 Depth=2
	v_mov_b32_e32 v17, v21
; %bb.2341:                             ;   in Loop: Header=BB2_2169 Depth=2
	s_or_b64 exec, exec, s[22:23]
.LBB2_2342:                             ;   in Loop: Header=BB2_2169 Depth=2
	s_or_b64 exec, exec, s[62:63]
.LBB2_2343:                             ;   in Loop: Header=BB2_2169 Depth=2
	s_andn2_saveexec_b64 s[22:23], s[60:61]
	s_or_b64 exec, exec, s[22:23]
                                        ; implicit-def: $vgpr14
.LBB2_2344:                             ;   in Loop: Header=BB2_2169 Depth=2
	s_andn2_saveexec_b64 s[22:23], s[58:59]
; %bb.2345:                             ;   in Loop: Header=BB2_2169 Depth=2
	v_or_b32_sdwa v14, v14, s74 dst_sel:DWORD dst_unused:UNUSED_PAD src0_sel:BYTE_3 src1_sel:DWORD
	v_cmp_eq_u64_e32 vcc, 0, v[38:39]
	v_cndmask_b32_e32 v17, v14, v17, vcc
; %bb.2346:                             ;   in Loop: Header=BB2_2169 Depth=2
	s_or_b64 exec, exec, s[22:23]
	v_and_b32_e32 v14, 0xff, v8
	v_cmp_ne_u16_e32 vcc, 0, v14
	v_mov_b32_e32 v15, 0
	v_mov_b32_e32 v21, 0
	s_and_saveexec_b64 s[22:23], vcc
	s_cbranch_execz .LBB2_2352
; %bb.2347:                             ;   in Loop: Header=BB2_2169 Depth=2
	v_cmp_ne_u16_e32 vcc, s75, v14
	v_bfrev_b32_e32 v21, 1
	s_and_saveexec_b64 s[58:59], vcc
	s_cbranch_execz .LBB2_2351
; %bb.2348:                             ;   in Loop: Header=BB2_2169 Depth=2
	v_and_b32_e32 v24, 0x7f, v8
	v_cmp_ne_u32_e32 vcc, s74, v24
	v_mov_b32_e32 v21, 0x7f800001
	s_and_saveexec_b64 s[60:61], vcc
	s_cbranch_execz .LBB2_2350
; %bb.2349:                             ;   in Loop: Header=BB2_2169 Depth=2
	v_and_b32_e32 v21, 7, v14
	v_ffbh_u32_e32 v22, v21
	v_min_u32_e32 v26, 32, v22
	v_subrev_u32_e32 v22, 28, v26
	v_lshlrev_b64 v[22:23], v22, v[14:15]
	v_lshrrev_b32_e32 v25, 3, v24
	v_sub_u32_e32 v14, 29, v26
	v_and_b32_e32 v22, 7, v22
	v_cmp_gt_u32_e32 vcc, 8, v24
	v_cndmask_b32_e32 v14, v25, v14, vcc
	v_cndmask_b32_e32 v21, v21, v22, vcc
	v_lshlrev_b32_e32 v8, 24, v8
	v_lshlrev_b32_e32 v21, 20, v21
	v_and_b32_e32 v8, 0x80000000, v8
	v_lshl_add_u32 v14, v14, 23, v20
	v_or3_b32 v21, v8, v14, v21
.LBB2_2350:                             ;   in Loop: Header=BB2_2169 Depth=2
	s_or_b64 exec, exec, s[60:61]
.LBB2_2351:                             ;   in Loop: Header=BB2_2169 Depth=2
	s_or_b64 exec, exec, s[58:59]
.LBB2_2352:                             ;   in Loop: Header=BB2_2169 Depth=2
	s_or_b64 exec, exec, s[22:23]
	v_and_b32_e32 v14, 0xff, v16
	v_cmp_ne_u16_e32 vcc, 0, v14
	s_and_saveexec_b64 s[22:23], vcc
	s_cbranch_execz .LBB2_2358
; %bb.2353:                             ;   in Loop: Header=BB2_2169 Depth=2
	v_cmp_ne_u16_e32 vcc, s75, v14
	v_bfrev_b32_e32 v15, 1
	s_and_saveexec_b64 s[58:59], vcc
	s_cbranch_execz .LBB2_2357
; %bb.2354:                             ;   in Loop: Header=BB2_2169 Depth=2
	v_and_b32_e32 v8, 0x7f, v16
	v_cmp_ne_u32_e32 vcc, s74, v8
	v_mov_b32_e32 v15, 0x7f800001
	s_and_saveexec_b64 s[60:61], vcc
	s_cbranch_execz .LBB2_2356
; %bb.2355:                             ;   in Loop: Header=BB2_2169 Depth=2
	v_and_b32_e32 v22, 7, v14
	v_ffbh_u32_e32 v15, v22
	v_min_u32_e32 v24, 32, v15
	v_subrev_u32_e32 v15, 28, v24
	v_lshlrev_b64 v[14:15], v15, v[14:15]
	v_lshrrev_b32_e32 v23, 3, v8
	v_sub_u32_e32 v15, 29, v24
	v_and_b32_e32 v14, 7, v14
	v_cmp_gt_u32_e32 vcc, 8, v8
	v_cndmask_b32_e32 v8, v23, v15, vcc
	v_cndmask_b32_e32 v14, v22, v14, vcc
	v_lshlrev_b32_e32 v15, 24, v16
	v_lshlrev_b32_e32 v14, 20, v14
	v_and_b32_e32 v15, 0x80000000, v15
	v_lshl_add_u32 v8, v8, 23, v20
	v_or3_b32 v15, v15, v8, v14
.LBB2_2356:                             ;   in Loop: Header=BB2_2169 Depth=2
	s_or_b64 exec, exec, s[60:61]
.LBB2_2357:                             ;   in Loop: Header=BB2_2169 Depth=2
	s_or_b64 exec, exec, s[58:59]
.LBB2_2358:                             ;   in Loop: Header=BB2_2169 Depth=2
	s_or_b64 exec, exec, s[22:23]
	v_add_f32_e32 v14, v21, v15
	v_and_b32_sdwa v8, v14, s75 dst_sel:DWORD dst_unused:UNUSED_PAD src0_sel:BYTE_3 src1_sel:DWORD
	v_and_b32_e32 v22, 0x7f800000, v14
	v_mov_b32_e32 v23, v39
	v_and_b32_e32 v38, 0x7fffff, v14
	v_or_b32_e32 v15, 0x7e, v8
	v_cmp_ne_u64_e32 vcc, s[42:43], v[22:23]
	s_and_saveexec_b64 s[22:23], vcc
	s_xor_b64 s[58:59], exec, s[22:23]
	s_cbranch_execz .LBB2_2372
; %bb.2359:                             ;   in Loop: Header=BB2_2169 Depth=2
	v_and_b32_e32 v22, 0x7fffffff, v14
	v_mov_b32_e32 v23, v39
	v_cmp_gt_u64_e32 vcc, s[44:45], v[22:23]
	s_and_saveexec_b64 s[22:23], vcc
	s_xor_b64 s[60:61], exec, s[22:23]
	s_cbranch_execz .LBB2_2371
; %bb.2360:                             ;   in Loop: Header=BB2_2169 Depth=2
	v_cmp_ne_u32_e32 vcc, 0, v14
	v_mov_b32_e32 v15, 0
	s_and_saveexec_b64 s[62:63], vcc
	s_cbranch_execz .LBB2_2370
; %bb.2361:                             ;   in Loop: Header=BB2_2169 Depth=2
	v_bfe_u32 v14, v14, 23, 8
	v_sub_u32_e32 v16, 0x79, v14
	v_cmp_gt_u32_e32 vcc, s76, v14
	v_cndmask_b32_e32 v16, 0, v16, vcc
	v_cmp_eq_u32_e32 vcc, 0, v14
	v_add_u32_e32 v15, 0xffffff81, v14
	v_or_b32_e32 v21, 0x800000, v38
	v_mov_b32_e32 v14, 0xffffff82
	v_cndmask_b32_e32 v16, v16, v18, vcc
	v_cndmask_b32_e32 v24, v15, v14, vcc
	;; [unrolled: 1-line block ×3, first 2 shown]
	v_add_u32_e32 v14, 20, v16
	v_lshlrev_b64 v[14:15], v14, -1
	v_add_u32_e32 v21, 19, v16
	v_lshrrev_b64 v[26:27], v16, v[38:39]
	v_not_b32_e32 v15, v15
	v_not_b32_e32 v14, v14
	v_lshlrev_b64 v[22:23], v21, 1
	v_lshrrev_b32_e32 v21, 23, v26
	v_and_b32_e32 v15, 0, v15
	v_and_b32_e32 v14, v38, v14
	v_add3_u32 v24, v16, v24, v21
	v_bfe_u32 v16, v26, 20, 1
	v_add_u32_e32 v16, -1, v16
	v_cmp_eq_u64_e32 vcc, v[14:15], v[22:23]
	v_cndmask_b32_e32 v14, 0, v16, vcc
	v_add_u32_e32 v14, v14, v26
	v_and_b32_e32 v14, 0xfffff, v14
	v_add_co_u32_e32 v14, vcc, v14, v26
	v_add_u32_e32 v21, 6, v24
	v_addc_co_u32_e32 v15, vcc, 0, v27, vcc
	v_cmp_ne_u32_e32 vcc, 0, v21
                                        ; implicit-def: $vgpr16
	s_and_saveexec_b64 s[22:23], vcc
	s_xor_b64 s[22:23], exec, s[22:23]
; %bb.2362:                             ;   in Loop: Header=BB2_2169 Depth=2
	v_add_u32_e32 v16, 7, v24
	v_cmp_lt_u64_e32 vcc, s[48:49], v[14:15]
	v_cndmask_b32_e32 v16, v21, v16, vcc
	v_cndmask_b32_e64 v21, 0, 1, vcc
	v_lshrrev_b64 v[14:15], v21, v[14:15]
; %bb.2363:                             ;   in Loop: Header=BB2_2169 Depth=2
	s_andn2_saveexec_b64 s[22:23], s[22:23]
; %bb.2364:                             ;   in Loop: Header=BB2_2169 Depth=2
	v_bfe_u32 v16, v14, 23, 1
; %bb.2365:                             ;   in Loop: Header=BB2_2169 Depth=2
	s_or_b64 exec, exec, s[22:23]
	v_lshrrev_b64 v[14:15], 20, v[14:15]
	v_cmp_gt_i32_e32 vcc, 16, v16
	v_cndmask_b32_e32 v15, 0, v15, vcc
	v_cndmask_b32_e32 v14, 7, v14, vcc
	v_cmp_ne_u32_e32 vcc, 0, v16
	v_cmp_ne_u64_e64 s[22:23], 0, v[14:15]
	s_or_b64 s[22:23], vcc, s[22:23]
                                        ; implicit-def: $vgpr15
	s_and_saveexec_b64 vcc, s[22:23]
	s_xor_b64 s[22:23], exec, vcc
; %bb.2366:                             ;   in Loop: Header=BB2_2169 Depth=2
	v_min_i32_e32 v15, 15, v16
	v_lshl_or_b32 v8, v15, 3, v8
	v_and_or_b32 v15, v14, 7, v8
                                        ; implicit-def: $vgpr8
; %bb.2367:                             ;   in Loop: Header=BB2_2169 Depth=2
	s_andn2_saveexec_b64 s[22:23], s[22:23]
; %bb.2368:                             ;   in Loop: Header=BB2_2169 Depth=2
	v_mov_b32_e32 v15, v8
; %bb.2369:                             ;   in Loop: Header=BB2_2169 Depth=2
	s_or_b64 exec, exec, s[22:23]
.LBB2_2370:                             ;   in Loop: Header=BB2_2169 Depth=2
	s_or_b64 exec, exec, s[62:63]
.LBB2_2371:                             ;   in Loop: Header=BB2_2169 Depth=2
	s_andn2_saveexec_b64 s[22:23], s[60:61]
	s_or_b64 exec, exec, s[22:23]
                                        ; implicit-def: $vgpr14
.LBB2_2372:                             ;   in Loop: Header=BB2_2169 Depth=2
	s_andn2_saveexec_b64 s[22:23], s[58:59]
	s_cbranch_execz .LBB2_2168
; %bb.2373:                             ;   in Loop: Header=BB2_2169 Depth=2
	v_or_b32_sdwa v8, v14, s74 dst_sel:DWORD dst_unused:UNUSED_PAD src0_sel:BYTE_3 src1_sel:DWORD
	v_cmp_eq_u64_e32 vcc, 0, v[38:39]
	v_cndmask_b32_e32 v15, v8, v15, vcc
	s_branch .LBB2_2168
.LBB2_2374:                             ;   in Loop: Header=BB2_49 Depth=1
	s_or_b64 exec, exec, s[56:57]
.LBB2_2375:                             ;   in Loop: Header=BB2_49 Depth=1
	s_or_b64 exec, exec, s[54:55]
	v_lshlrev_b32_e32 v2, 8, v7
	v_cmp_ne_u32_e32 vcc, v5, v2
	s_and_b64 exec, exec, vcc
	s_cbranch_execz .LBB2_2434
; %bb.2376:                             ;   in Loop: Header=BB2_49 Depth=1
	v_add_u32_e32 v1, v6, v1
	v_and_b32_e32 v1, 0xffffffc0, v1
	v_sub_u32_e32 v1, v6, v1
	v_lshlrev_b32_e32 v0, 6, v0
	v_sub_u32_e32 v0, v1, v0
	v_add_u32_e32 v1, v2, v0
	v_sub_u32_e32 v0, v5, v1
	v_cmp_lt_i32_e32 vcc, 0, v0
	s_and_b64 exec, exec, vcc
	s_cbranch_execz .LBB2_2434
; %bb.2377:                             ;   in Loop: Header=BB2_49 Depth=1
	s_trap 2
	ds_read_b128 v[6:9], v0
	v_add_u32_e32 v1, v1, v4
	ds_read_b64 v[4:5], v0
	v_ashrrev_i32_e32 v13, 31, v1
	s_mov_b64 s[54:55], 0
	s_waitcnt lgkmcnt(0)
	v_add_co_u32_e32 v2, vcc, v6, v1
	v_addc_co_u32_e32 v3, vcc, v7, v13, vcc
	v_add_co_u32_e32 v10, vcc, v8, v1
	v_addc_co_u32_e32 v11, vcc, v9, v13, vcc
	;; [unrolled: 2-line block ×3, first 2 shown]
	s_branch .LBB2_2379
.LBB2_2378:                             ;   in Loop: Header=BB2_2379 Depth=2
	s_or_b64 exec, exec, s[22:23]
	v_add_co_u32_e32 v2, vcc, v2, v34
	v_addc_co_u32_e32 v3, vcc, v3, v33, vcc
	v_add_co_u32_e32 v10, vcc, v10, v34
	v_addc_co_u32_e32 v11, vcc, v11, v33, vcc
	v_sub_u32_e32 v0, v0, v34
	v_cmp_gt_i32_e32 vcc, 1, v0
	flat_store_byte v[12:13], v4 glc slc
	s_or_b64 s[54:55], vcc, s[54:55]
	v_add_co_u32_e32 v12, vcc, v12, v34
	v_addc_co_u32_e32 v13, vcc, v13, v33, vcc
	s_andn2_b64 exec, exec, s[54:55]
	s_cbranch_execz .LBB2_2434
.LBB2_2379:                             ;   Parent Loop BB2_49 Depth=1
                                        ; =>  This Inner Loop Header: Depth=2
	s_trap 2
	ds_read_b64 v[14:15], v0
	s_waitcnt lgkmcnt(0)
	v_cmp_eq_u16_sdwa vcc, v14, v39 src0_sel:BYTE_0 src1_sel:DWORD
	v_readfirstlane_b32 s22, v14
	v_readfirstlane_b32 s23, v15
	s_and_b64 vcc, exec, vcc
	s_cbranch_vccnz .LBB2_2383
; %bb.2380:                             ;   in Loop: Header=BB2_2379 Depth=2
	v_cmp_eq_u32_sdwa vcc, v14, s75 src0_sel:BYTE_0 src1_sel:DWORD
	s_and_b64 vcc, exec, vcc
	s_brev_b32 s60, 1
	s_cbranch_vccnz .LBB2_2384
; %bb.2381:                             ;   in Loop: Header=BB2_2379 Depth=2
	s_and_b32 vcc_lo, s22, 0x7f
	s_cmpk_eq_i32 vcc_lo, 0x7f
	s_mov_b32 s60, 0x7f800001
	s_cbranch_scc1 .LBB2_2384
; %bb.2382:                             ;   in Loop: Header=BB2_2379 Depth=2
	s_and_b32 vcc_hi, s22, 7
	s_flbit_i32_b32 vcc_hi, vcc_hi
	s_min_u32 vcc_hi, vcc_hi, 32
	s_lshr_b32 s56, vcc_lo, 3
	s_sub_i32 s57, vcc_hi, 28
	s_sub_i32 vcc_hi, 29, vcc_hi
	s_cmp_lt_u32 vcc_lo, 8
	s_cselect_b32 vcc_lo, s57, 0
	s_cselect_b32 s56, vcc_hi, s56
	s_lshl_b64 vcc, s[22:23], vcc_lo
	s_lshl_b32 s23, vcc_lo, 20
	s_lshl_b32 s22, s22, 24
	s_lshl_b32 vcc_lo, s56, 23
	s_and_b32 s22, s22, 0x80000000
	s_add_i32 vcc_lo, vcc_lo, 0x3c000000
	s_and_b32 s23, s23, 0x700000
	s_or_b32 s22, s22, vcc_lo
	s_or_b32 s60, s22, s23
	s_branch .LBB2_2384
.LBB2_2383:                             ;   in Loop: Header=BB2_2379 Depth=2
	s_mov_b32 s60, 0
.LBB2_2384:                             ;   in Loop: Header=BB2_2379 Depth=2
	flat_load_ubyte v1, v[2:3] glc slc
	v_mov_b32_e32 v4, 0
	s_waitcnt vmcnt(0) lgkmcnt(0)
	v_cmp_ne_u16_e32 vcc, 0, v1
	s_and_saveexec_b64 s[22:23], vcc
	s_cbranch_execz .LBB2_2390
; %bb.2385:                             ;   in Loop: Header=BB2_2379 Depth=2
	v_cmp_ne_u16_e32 vcc, s75, v1
	v_bfrev_b32_e32 v4, 1
	s_and_saveexec_b64 s[56:57], vcc
	s_cbranch_execz .LBB2_2389
; %bb.2386:                             ;   in Loop: Header=BB2_2379 Depth=2
	v_and_b32_e32 v14, 0xffff, v1
	v_and_b32_e32 v5, 0x7f, v14
	v_cmp_ne_u32_e32 vcc, s74, v5
	v_mov_b32_e32 v4, 0x7f800001
	s_and_saveexec_b64 s[58:59], vcc
	s_cbranch_execz .LBB2_2388
; %bb.2387:                             ;   in Loop: Header=BB2_2379 Depth=2
	v_and_b32_e32 v4, 7, v14
	v_ffbh_u32_e32 v6, v4
	v_min_u32_e32 v9, 32, v6
	v_subrev_u32_e32 v6, 28, v9
	v_lshlrev_b64 v[6:7], v6, v[14:15]
	v_lshrrev_b32_e32 v8, 3, v5
	v_sub_u32_e32 v7, 29, v9
	v_and_b32_e32 v6, 7, v6
	v_cmp_gt_u32_e32 vcc, 8, v5
	v_cndmask_b32_e32 v5, v8, v7, vcc
	v_cndmask_b32_e32 v4, v4, v6, vcc
	v_lshlrev_b32_e32 v1, 24, v1
	v_lshlrev_b32_e32 v4, 20, v4
	v_and_b32_e32 v1, 0x80000000, v1
	v_lshl_add_u32 v5, v5, 23, v20
	v_or3_b32 v4, v1, v5, v4
.LBB2_2388:                             ;   in Loop: Header=BB2_2379 Depth=2
	s_or_b64 exec, exec, s[58:59]
.LBB2_2389:                             ;   in Loop: Header=BB2_2379 Depth=2
	s_or_b64 exec, exec, s[56:57]
.LBB2_2390:                             ;   in Loop: Header=BB2_2379 Depth=2
	s_or_b64 exec, exec, s[22:23]
	v_mul_f32_e32 v5, s60, v4
	v_and_b32_sdwa v4, v5, s75 dst_sel:DWORD dst_unused:UNUSED_PAD src0_sel:BYTE_3 src1_sel:DWORD
	v_and_b32_e32 v6, 0x7f800000, v5
	v_mov_b32_e32 v7, v39
	v_and_b32_e32 v38, 0x7fffff, v5
	v_or_b32_e32 v1, 0x7e, v4
	v_cmp_ne_u64_e32 vcc, s[42:43], v[6:7]
	s_and_saveexec_b64 s[22:23], vcc
	s_xor_b64 s[56:57], exec, s[22:23]
	s_cbranch_execz .LBB2_2404
; %bb.2391:                             ;   in Loop: Header=BB2_2379 Depth=2
	v_and_b32_e32 v6, 0x7fffffff, v5
	v_mov_b32_e32 v7, v39
	v_cmp_gt_u64_e32 vcc, s[44:45], v[6:7]
	s_and_saveexec_b64 s[22:23], vcc
	s_xor_b64 s[58:59], exec, s[22:23]
	s_cbranch_execz .LBB2_2403
; %bb.2392:                             ;   in Loop: Header=BB2_2379 Depth=2
	v_cmp_ne_u32_e32 vcc, 0, v5
	v_mov_b32_e32 v1, 0
	s_and_saveexec_b64 s[60:61], vcc
	s_cbranch_execz .LBB2_2402
; %bb.2393:                             ;   in Loop: Header=BB2_2379 Depth=2
	v_bfe_u32 v1, v5, 23, 8
	v_sub_u32_e32 v6, 0x79, v1
	v_cmp_gt_u32_e32 vcc, s76, v1
	v_add_u32_e32 v5, 0xffffff81, v1
	v_cndmask_b32_e32 v6, 0, v6, vcc
	v_cmp_eq_u32_e32 vcc, 0, v1
	v_mov_b32_e32 v1, 0xffffff82
	v_cndmask_b32_e32 v1, v5, v1, vcc
	v_cndmask_b32_e32 v5, v6, v18, vcc
	v_or_b32_e32 v7, 0x800000, v38
	v_add_u32_e32 v6, 20, v5
	v_cndmask_b32_e32 v38, v7, v38, vcc
	v_lshlrev_b64 v[6:7], v6, -1
	v_not_b32_e32 v6, v6
	v_and_b32_e32 v8, v38, v6
	v_add_u32_e32 v6, 19, v5
	v_lshrrev_b64 v[16:17], v5, v[38:39]
	v_not_b32_e32 v7, v7
	v_lshlrev_b64 v[14:15], v6, 1
	v_lshrrev_b32_e32 v6, 23, v16
	v_and_b32_e32 v9, 0, v7
	v_add3_u32 v6, v5, v1, v6
	v_bfe_u32 v5, v16, 20, 1
	v_add_u32_e32 v5, -1, v5
	v_cmp_eq_u64_e32 vcc, v[8:9], v[14:15]
	v_cndmask_b32_e32 v5, 0, v5, vcc
	v_add_u32_e32 v5, v5, v16
	v_and_b32_e32 v5, 0xfffff, v5
	v_add_co_u32_e32 v14, vcc, v5, v16
	v_add_u32_e32 v1, 6, v6
	v_addc_co_u32_e32 v15, vcc, 0, v17, vcc
	v_cmp_ne_u32_e32 vcc, 0, v1
                                        ; implicit-def: $vgpr5
	s_and_saveexec_b64 s[22:23], vcc
	s_xor_b64 s[22:23], exec, s[22:23]
; %bb.2394:                             ;   in Loop: Header=BB2_2379 Depth=2
	v_add_u32_e32 v5, 7, v6
	v_cmp_lt_u64_e32 vcc, s[48:49], v[14:15]
	v_cndmask_b32_e32 v5, v1, v5, vcc
	v_cndmask_b32_e64 v1, 0, 1, vcc
	v_lshrrev_b64 v[14:15], v1, v[14:15]
; %bb.2395:                             ;   in Loop: Header=BB2_2379 Depth=2
	s_andn2_saveexec_b64 s[22:23], s[22:23]
; %bb.2396:                             ;   in Loop: Header=BB2_2379 Depth=2
	v_bfe_u32 v5, v14, 23, 1
; %bb.2397:                             ;   in Loop: Header=BB2_2379 Depth=2
	s_or_b64 exec, exec, s[22:23]
	v_lshrrev_b64 v[6:7], 20, v[14:15]
	v_cmp_gt_i32_e32 vcc, 16, v5
	v_cndmask_b32_e32 v15, 0, v7, vcc
	v_cndmask_b32_e32 v14, 7, v6, vcc
	v_cmp_ne_u32_e32 vcc, 0, v5
	v_cmp_ne_u64_e64 s[22:23], 0, v[14:15]
	s_or_b64 s[22:23], vcc, s[22:23]
                                        ; implicit-def: $vgpr1
	s_and_saveexec_b64 vcc, s[22:23]
	s_xor_b64 s[22:23], exec, vcc
; %bb.2398:                             ;   in Loop: Header=BB2_2379 Depth=2
	v_min_i32_e32 v1, 15, v5
	v_lshl_or_b32 v1, v1, 3, v4
	v_and_or_b32 v1, v14, 7, v1
                                        ; implicit-def: $vgpr4
; %bb.2399:                             ;   in Loop: Header=BB2_2379 Depth=2
	s_andn2_saveexec_b64 s[22:23], s[22:23]
; %bb.2400:                             ;   in Loop: Header=BB2_2379 Depth=2
	v_mov_b32_e32 v1, v4
; %bb.2401:                             ;   in Loop: Header=BB2_2379 Depth=2
	s_or_b64 exec, exec, s[22:23]
.LBB2_2402:                             ;   in Loop: Header=BB2_2379 Depth=2
	s_or_b64 exec, exec, s[60:61]
.LBB2_2403:                             ;   in Loop: Header=BB2_2379 Depth=2
	s_andn2_saveexec_b64 s[22:23], s[58:59]
	s_or_b64 exec, exec, s[22:23]
                                        ; implicit-def: $vgpr5
.LBB2_2404:                             ;   in Loop: Header=BB2_2379 Depth=2
	s_andn2_saveexec_b64 s[22:23], s[56:57]
; %bb.2405:                             ;   in Loop: Header=BB2_2379 Depth=2
	v_or_b32_sdwa v4, v5, s74 dst_sel:DWORD dst_unused:UNUSED_PAD src0_sel:BYTE_3 src1_sel:DWORD
	v_cmp_eq_u64_e32 vcc, 0, v[38:39]
	v_cndmask_b32_e32 v1, v4, v1, vcc
; %bb.2406:                             ;   in Loop: Header=BB2_2379 Depth=2
	s_or_b64 exec, exec, s[22:23]
	flat_load_ubyte v5, v[10:11] glc slc
	v_and_b32_e32 v14, 0xff, v1
	v_cmp_ne_u16_e32 vcc, 0, v14
	v_mov_b32_e32 v4, 0
	v_mov_b32_e32 v6, 0
	s_and_saveexec_b64 s[22:23], vcc
	s_cbranch_execz .LBB2_2412
; %bb.2407:                             ;   in Loop: Header=BB2_2379 Depth=2
	v_cmp_ne_u16_e32 vcc, s75, v14
	v_bfrev_b32_e32 v6, 1
	s_and_saveexec_b64 s[56:57], vcc
	s_cbranch_execz .LBB2_2411
; %bb.2408:                             ;   in Loop: Header=BB2_2379 Depth=2
	v_and_b32_e32 v7, 0x7f, v1
	v_cmp_ne_u32_e32 vcc, s74, v7
	v_mov_b32_e32 v6, 0x7f800001
	s_and_saveexec_b64 s[58:59], vcc
	s_cbranch_execz .LBB2_2410
; %bb.2409:                             ;   in Loop: Header=BB2_2379 Depth=2
	v_and_b32_e32 v6, 7, v14
	v_ffbh_u32_e32 v8, v6
	v_min_u32_e32 v16, 32, v8
	v_lshrrev_b32_e32 v15, 3, v7
	v_subrev_u32_e32 v8, 28, v16
	v_lshlrev_b64 v[8:9], v8, v[14:15]
	v_sub_u32_e32 v9, 29, v16
	v_and_b32_e32 v8, 7, v8
	v_cmp_gt_u32_e32 vcc, 8, v7
	v_cndmask_b32_e32 v7, v15, v9, vcc
	v_cndmask_b32_e32 v6, v6, v8, vcc
	v_lshlrev_b32_e32 v1, 24, v1
	v_lshlrev_b32_e32 v6, 20, v6
	v_and_b32_e32 v1, 0x80000000, v1
	v_lshl_add_u32 v7, v7, 23, v20
	v_or3_b32 v6, v1, v7, v6
.LBB2_2410:                             ;   in Loop: Header=BB2_2379 Depth=2
	s_or_b64 exec, exec, s[58:59]
.LBB2_2411:                             ;   in Loop: Header=BB2_2379 Depth=2
	s_or_b64 exec, exec, s[56:57]
.LBB2_2412:                             ;   in Loop: Header=BB2_2379 Depth=2
	s_or_b64 exec, exec, s[22:23]
	s_waitcnt vmcnt(0) lgkmcnt(0)
	v_and_b32_e32 v14, 0xff, v5
	v_cmp_ne_u16_e32 vcc, 0, v14
	s_and_saveexec_b64 s[22:23], vcc
	s_cbranch_execz .LBB2_2418
; %bb.2413:                             ;   in Loop: Header=BB2_2379 Depth=2
	v_cmp_ne_u16_e32 vcc, s75, v14
	v_bfrev_b32_e32 v4, 1
	s_and_saveexec_b64 s[56:57], vcc
	s_cbranch_execz .LBB2_2417
; %bb.2414:                             ;   in Loop: Header=BB2_2379 Depth=2
	v_and_b32_e32 v1, 0x7f, v5
	v_cmp_ne_u32_e32 vcc, s74, v1
	v_mov_b32_e32 v4, 0x7f800001
	s_and_saveexec_b64 s[58:59], vcc
	s_cbranch_execz .LBB2_2416
; %bb.2415:                             ;   in Loop: Header=BB2_2379 Depth=2
	v_and_b32_e32 v7, 7, v14
	v_lshlrev_b32_e32 v4, 24, v5
	v_and_b32_e32 v9, 0x80000000, v4
	v_ffbh_u32_e32 v4, v7
	v_min_u32_e32 v15, 32, v4
	v_subrev_u32_e32 v4, 28, v15
	v_lshlrev_b64 v[4:5], v4, v[14:15]
	v_lshrrev_b32_e32 v8, 3, v1
	v_sub_u32_e32 v5, 29, v15
	v_and_b32_e32 v4, 7, v4
	v_cmp_gt_u32_e32 vcc, 8, v1
	v_cndmask_b32_e32 v1, v8, v5, vcc
	v_cndmask_b32_e32 v4, v7, v4, vcc
	v_lshlrev_b32_e32 v4, 20, v4
	v_lshl_add_u32 v1, v1, 23, v20
	v_or3_b32 v4, v9, v1, v4
.LBB2_2416:                             ;   in Loop: Header=BB2_2379 Depth=2
	s_or_b64 exec, exec, s[58:59]
.LBB2_2417:                             ;   in Loop: Header=BB2_2379 Depth=2
	s_or_b64 exec, exec, s[56:57]
.LBB2_2418:                             ;   in Loop: Header=BB2_2379 Depth=2
	s_or_b64 exec, exec, s[22:23]
	v_add_f32_e32 v5, v6, v4
	v_and_b32_sdwa v1, v5, s75 dst_sel:DWORD dst_unused:UNUSED_PAD src0_sel:BYTE_3 src1_sel:DWORD
	v_and_b32_e32 v6, 0x7f800000, v5
	v_mov_b32_e32 v7, v39
	v_and_b32_e32 v38, 0x7fffff, v5
	v_or_b32_e32 v4, 0x7e, v1
	v_cmp_ne_u64_e32 vcc, s[42:43], v[6:7]
	s_and_saveexec_b64 s[22:23], vcc
	s_xor_b64 s[56:57], exec, s[22:23]
	s_cbranch_execz .LBB2_2432
; %bb.2419:                             ;   in Loop: Header=BB2_2379 Depth=2
	v_and_b32_e32 v6, 0x7fffffff, v5
	v_mov_b32_e32 v7, v39
	v_cmp_gt_u64_e32 vcc, s[44:45], v[6:7]
	s_and_saveexec_b64 s[22:23], vcc
	s_xor_b64 s[58:59], exec, s[22:23]
	s_cbranch_execz .LBB2_2431
; %bb.2420:                             ;   in Loop: Header=BB2_2379 Depth=2
	v_cmp_ne_u32_e32 vcc, 0, v5
	v_mov_b32_e32 v4, 0
	s_and_saveexec_b64 s[60:61], vcc
	s_cbranch_execz .LBB2_2430
; %bb.2421:                             ;   in Loop: Header=BB2_2379 Depth=2
	v_bfe_u32 v4, v5, 23, 8
	v_sub_u32_e32 v6, 0x79, v4
	v_cmp_gt_u32_e32 vcc, s76, v4
	v_cndmask_b32_e32 v6, 0, v6, vcc
	v_cmp_eq_u32_e32 vcc, 0, v4
	v_add_u32_e32 v5, 0xffffff81, v4
	v_mov_b32_e32 v4, 0xffffff82
	v_cndmask_b32_e32 v6, v6, v18, vcc
	v_cndmask_b32_e32 v19, v5, v4, vcc
	v_add_u32_e32 v4, 20, v6
	v_or_b32_e32 v7, 0x800000, v38
	v_lshlrev_b64 v[4:5], v4, -1
	v_cndmask_b32_e32 v38, v7, v38, vcc
	v_not_b32_e32 v4, v4
	v_not_b32_e32 v5, v5
	v_and_b32_e32 v8, v38, v4
	v_add_u32_e32 v4, 19, v6
	v_lshrrev_b64 v[16:17], v6, v[38:39]
	v_and_b32_e32 v9, 0, v5
	v_lshlrev_b64 v[14:15], v4, 1
	v_bfe_u32 v5, v16, 20, 1
	v_add_u32_e32 v5, -1, v5
	v_cmp_eq_u64_e32 vcc, v[8:9], v[14:15]
	v_cndmask_b32_e32 v5, 0, v5, vcc
	v_add_u32_e32 v5, v5, v16
	v_lshrrev_b32_e32 v4, 23, v16
	v_and_b32_e32 v5, 0xfffff, v5
	v_add3_u32 v6, v6, v19, v4
	v_add_co_u32_e32 v14, vcc, v5, v16
	v_add_u32_e32 v4, 6, v6
	v_addc_co_u32_e32 v15, vcc, 0, v17, vcc
	v_cmp_ne_u32_e32 vcc, 0, v4
                                        ; implicit-def: $vgpr5
	s_and_saveexec_b64 s[22:23], vcc
	s_xor_b64 s[22:23], exec, s[22:23]
; %bb.2422:                             ;   in Loop: Header=BB2_2379 Depth=2
	v_add_u32_e32 v5, 7, v6
	v_cmp_lt_u64_e32 vcc, s[48:49], v[14:15]
	v_cndmask_b32_e32 v5, v4, v5, vcc
	v_cndmask_b32_e64 v4, 0, 1, vcc
	v_lshrrev_b64 v[14:15], v4, v[14:15]
; %bb.2423:                             ;   in Loop: Header=BB2_2379 Depth=2
	s_andn2_saveexec_b64 s[22:23], s[22:23]
; %bb.2424:                             ;   in Loop: Header=BB2_2379 Depth=2
	v_bfe_u32 v5, v14, 23, 1
; %bb.2425:                             ;   in Loop: Header=BB2_2379 Depth=2
	s_or_b64 exec, exec, s[22:23]
	v_lshrrev_b64 v[6:7], 20, v[14:15]
	v_cmp_gt_i32_e32 vcc, 16, v5
	v_cndmask_b32_e32 v15, 0, v7, vcc
	v_cndmask_b32_e32 v14, 7, v6, vcc
	v_cmp_ne_u32_e32 vcc, 0, v5
	v_cmp_ne_u64_e64 s[22:23], 0, v[14:15]
	s_or_b64 s[22:23], vcc, s[22:23]
                                        ; implicit-def: $vgpr4
	s_and_saveexec_b64 vcc, s[22:23]
	s_xor_b64 s[22:23], exec, vcc
; %bb.2426:                             ;   in Loop: Header=BB2_2379 Depth=2
	v_min_i32_e32 v4, 15, v5
	v_lshl_or_b32 v1, v4, 3, v1
	v_and_or_b32 v4, v14, 7, v1
                                        ; implicit-def: $vgpr1
; %bb.2427:                             ;   in Loop: Header=BB2_2379 Depth=2
	s_andn2_saveexec_b64 s[22:23], s[22:23]
; %bb.2428:                             ;   in Loop: Header=BB2_2379 Depth=2
	v_mov_b32_e32 v4, v1
; %bb.2429:                             ;   in Loop: Header=BB2_2379 Depth=2
	s_or_b64 exec, exec, s[22:23]
.LBB2_2430:                             ;   in Loop: Header=BB2_2379 Depth=2
	s_or_b64 exec, exec, s[60:61]
.LBB2_2431:                             ;   in Loop: Header=BB2_2379 Depth=2
	s_andn2_saveexec_b64 s[22:23], s[58:59]
	s_or_b64 exec, exec, s[22:23]
                                        ; implicit-def: $vgpr5
.LBB2_2432:                             ;   in Loop: Header=BB2_2379 Depth=2
	s_andn2_saveexec_b64 s[22:23], s[56:57]
	s_cbranch_execz .LBB2_2378
; %bb.2433:                             ;   in Loop: Header=BB2_2379 Depth=2
	v_or_b32_sdwa v1, v5, s74 dst_sel:DWORD dst_unused:UNUSED_PAD src0_sel:BYTE_3 src1_sel:DWORD
	v_cmp_eq_u64_e32 vcc, 0, v[38:39]
	v_cndmask_b32_e32 v4, v1, v4, vcc
	s_branch .LBB2_2378
.LBB2_2434:                             ;   in Loop: Header=BB2_49 Depth=1
	s_or_b64 exec, exec, s[24:25]
	v_cmp_ne_u32_e64 s[22:23], 0, v37
.LBB2_2435:                             ;   in Loop: Header=BB2_49 Depth=1
	s_and_saveexec_b64 s[24:25], s[12:13]
	s_cbranch_execz .LBB2_2454
; %bb.2436:                             ;   in Loop: Header=BB2_49 Depth=1
	s_and_saveexec_b64 vcc, s[36:37]
	s_xor_b64 s[54:55], exec, vcc
	s_cbranch_execz .LBB2_2451
; %bb.2437:                             ;   in Loop: Header=BB2_49 Depth=1
	s_and_saveexec_b64 s[56:57], s[14:15]
	s_cbranch_execz .LBB2_2450
; %bb.2438:                             ;   in Loop: Header=BB2_49 Depth=1
	s_mov_b64 s[60:61], exec
	v_mbcnt_lo_u32_b32 v0, s60, 0
	v_mbcnt_hi_u32_b32 v0, s61, v0
	v_cmp_eq_u32_e32 vcc, 0, v0
	s_waitcnt vmcnt(0) lgkmcnt(0)
	buffer_wbinvl1_vol
	s_and_saveexec_b64 s[58:59], vcc
	s_cbranch_execz .LBB2_2440
; %bb.2439:                             ;   in Loop: Header=BB2_49 Depth=1
	s_bcnt1_i32_b64 vcc_lo, s[60:61]
	v_mov_b32_e32 v38, vcc_lo
	ds_add_u64 v0, v[38:39]
	s_trap 2
.LBB2_2440:                             ;   in Loop: Header=BB2_49 Depth=1
	s_or_b64 exec, exec, s[58:59]
	s_trap 2
	ds_read_b64 v[0:1], v0
	v_accvgpr_read_b32 v2, a22
	v_accvgpr_read_b32 v3, a23
	v_add_co_u32_e32 v2, vcc, v2, v52
	v_addc_co_u32_e32 v3, vcc, 0, v3, vcc
	v_accvgpr_write_b32 a23, v3
	v_accvgpr_write_b32 a22, v2
	s_waitcnt lgkmcnt(0)
	v_cmp_lt_u64_e32 vcc, v[0:1], v[2:3]
	s_and_saveexec_b64 s[58:59], vcc
	s_cbranch_execz .LBB2_2449
; %bb.2441:                             ;   in Loop: Header=BB2_49 Depth=1
	s_mov_b32 s80, 0
	s_mov_b64 s[60:61], 0
                                        ; implicit-def: $sgpr62_sgpr63
                                        ; implicit-def: $sgpr64_sgpr65
	s_branch .LBB2_2443
.LBB2_2442:                             ;   in Loop: Header=BB2_2443 Depth=2
	s_or_b64 exec, exec, s[68:69]
	s_and_b64 vcc, exec, vcc
	s_or_b64 s[60:61], vcc, s[60:61]
	s_andn2_b64 vcc, s[62:63], exec
	s_and_b64 s[62:63], s[64:65], exec
	s_or_b64 s[62:63], vcc, s[62:63]
	s_andn2_b64 exec, exec, s[60:61]
	s_cbranch_execz .LBB2_2447
.LBB2_2443:                             ;   Parent Loop BB2_49 Depth=1
                                        ; =>  This Inner Loop Header: Depth=2
	s_add_i32 s80, s80, 1
	s_cmpk_lg_i32 s80, 0x2710
	s_cselect_b64 s[66:67], -1, 0
	s_and_b64 vcc, exec, s[66:67]
                                        ; implicit-def: $sgpr68_sgpr69
	s_cbranch_vccnz .LBB2_2445
; %bb.2444:                             ;   in Loop: Header=BB2_2443 Depth=2
	s_trap 2
	ds_read_b64 v[0:1], v0
	s_andn2_b64 s[66:67], s[66:67], exec
	s_mov_b32 s80, 0
	s_mov_b64 s[68:69], -1
	s_waitcnt lgkmcnt(0)
	flat_load_dword v0, v[0:1] glc
	s_waitcnt vmcnt(0) lgkmcnt(0)
	buffer_invl2
	buffer_wbinvl1_vol
	v_cmp_eq_u32_e32 vcc, 0, v0
	s_and_b64 vcc, vcc, exec
	s_or_b64 s[66:67], s[66:67], vcc
.LBB2_2445:                             ;   in Loop: Header=BB2_2443 Depth=2
	s_andn2_b64 s[64:65], s[64:65], exec
	s_and_b64 s[68:69], s[68:69], exec
	s_mov_b64 vcc, -1
	s_or_b64 s[64:65], s[64:65], s[68:69]
	s_and_saveexec_b64 s[68:69], s[66:67]
	s_cbranch_execz .LBB2_2442
; %bb.2446:                             ;   in Loop: Header=BB2_2443 Depth=2
	s_sleep 1
	s_trap 2
	ds_read_b64 v[0:1], v0
	v_accvgpr_read_b32 v2, a22
	v_accvgpr_read_b32 v3, a23
	s_andn2_b64 s[64:65], s[64:65], exec
	s_waitcnt lgkmcnt(0)
	v_cmp_ge_u64_e32 vcc, v[0:1], v[2:3]
	s_orn2_b64 vcc, vcc, exec
	s_branch .LBB2_2442
.LBB2_2447:                             ;   in Loop: Header=BB2_49 Depth=1
	s_or_b64 exec, exec, s[60:61]
	s_and_saveexec_b64 vcc, s[62:63]
	s_xor_b64 vcc, exec, vcc
	s_cbranch_execz .LBB2_2449
; %bb.2448:                             ;   in Loop: Header=BB2_49 Depth=1
	ds_write_b32 v0, v35
	s_trap 2
.LBB2_2449:                             ;   in Loop: Header=BB2_49 Depth=1
	s_or_b64 exec, exec, s[58:59]
	;;#ASMSTART
	s_wakeup
	;;#ASMEND
.LBB2_2450:                             ;   in Loop: Header=BB2_49 Depth=1
	s_or_b64 exec, exec, s[56:57]
.LBB2_2451:                             ;   in Loop: Header=BB2_49 Depth=1
	s_andn2_saveexec_b64 vcc, s[54:55]
	s_cbranch_execz .LBB2_2453
; %bb.2452:                             ;   in Loop: Header=BB2_49 Depth=1
	s_waitcnt vmcnt(0) lgkmcnt(0)
	buffer_wbinvl1_vol
	s_barrier
.LBB2_2453:                             ;   in Loop: Header=BB2_49 Depth=1
	s_or_b64 exec, exec, vcc
.LBB2_2454:                             ;   in Loop: Header=BB2_49 Depth=1
	s_or_b64 exec, exec, s[24:25]
	v_and_b32_e32 v0, 16, v59
	v_cmp_ne_u32_e32 vcc, 0, v0
	s_and_b64 s[24:25], vcc, s[22:23]
	s_and_saveexec_b64 s[22:23], s[24:25]
	s_cbranch_execz .LBB2_2456
; %bb.2455:                             ;   in Loop: Header=BB2_49 Depth=1
	s_waitcnt vmcnt(0) lgkmcnt(0)
	buffer_wbinvl1_vol
.LBB2_2456:                             ;   in Loop: Header=BB2_49 Depth=1
	s_or_b64 exec, exec, s[22:23]
	v_cmp_ne_u32_e32 vcc, 0, v0
	s_xor_b64 s[22:23], s[20:21], -1
	s_and_b64 s[24:25], vcc, s[22:23]
	s_and_saveexec_b64 s[22:23], s[24:25]
	s_cbranch_execz .LBB2_2458
; %bb.2457:                             ;   in Loop: Header=BB2_49 Depth=1
	v_accvgpr_read_b32 v0, a26
	v_accvgpr_read_b32 v1, a27
	flat_store_dword v[0:1], v35
.LBB2_2458:                             ;   in Loop: Header=BB2_49 Depth=1
	s_or_b64 exec, exec, s[22:23]
	v_and_b32_e32 v0, 48, v59
	v_cmp_ne_u32_e32 vcc, 0, v0
	s_and_saveexec_b64 s[22:23], vcc
	s_cbranch_execz .LBB2_2460
; %bb.2459:                             ;   in Loop: Header=BB2_49 Depth=1
	v_accvgpr_read_b32 v0, a12
	v_accvgpr_read_b32 v2, a14
	;; [unrolled: 1-line block ×3, first 2 shown]
	v_add_co_u32_e32 v2, vcc, 1, v2
	v_addc_co_u32_e32 v3, vcc, 0, v3, vcc
	v_accvgpr_read_b32 v1, a13
	v_accvgpr_write_b32 a15, v3
	v_accvgpr_write_b32 a14, v2
	;; [unrolled: 1-line block ×4, first 2 shown]
	v_accvgpr_read_b32 v0, a16
	v_accvgpr_read_b32 v1, a17
	flat_store_dwordx2 v[0:1], v[2:3]
.LBB2_2460:                             ;   in Loop: Header=BB2_49 Depth=1
	s_or_b64 exec, exec, s[22:23]
	v_mov_b32_e32 v0, v48
.LBB2_2461:                             ;   in Loop: Header=BB2_49 Depth=1
	s_or_b64 exec, exec, s[52:53]
	s_and_saveexec_b64 s[24:25], s[50:51]
	s_cbranch_execz .LBB2_48
; %bb.2462:                             ;   in Loop: Header=BB2_49 Depth=1
	v_and_b32_e32 v1, 12, v59
	v_cmp_ne_u32_e32 vcc, 0, v1
	s_mov_b64 s[50:51], -1
	s_and_saveexec_b64 s[22:23], vcc
	s_cbranch_execz .LBB2_2474
; %bb.2463:                             ;   in Loop: Header=BB2_49 Depth=1
	v_and_b32_e32 v2, 8, v59
	v_add_co_u32_e32 v4, vcc, v28, v2
	v_accvgpr_read_b32 v6, a12
	v_addc_co_u32_e32 v5, vcc, 0, v29, vcc
	v_accvgpr_read_b32 v8, a14
	v_accvgpr_read_b32 v9, a15
	v_add_co_u32_e32 v10, vcc, 1, v8
	v_addc_co_u32_e32 v11, vcc, 0, v9, vcc
	v_cmp_lt_u64_e32 vcc, v[4:5], v[10:11]
	v_mov_b32_e32 v1, 1
	v_accvgpr_read_b32 v7, a13
	s_and_saveexec_b64 s[50:51], vcc
	s_cbranch_execz .LBB2_2473
; %bb.2464:                             ;   in Loop: Header=BB2_49 Depth=1
	s_mov_b64 s[52:53], 0
	v_mov_b32_e32 v1, 0
                                        ; implicit-def: $sgpr54_sgpr55
	s_branch .LBB2_2468
.LBB2_2465:                             ;   in Loop: Header=BB2_2468 Depth=2
	s_or_b64 exec, exec, s[62:63]
	v_mov_b32_e32 v3, 0
	s_orn2_b64 s[60:61], s[60:61], exec
.LBB2_2466:                             ;   in Loop: Header=BB2_2468 Depth=2
	s_or_b64 exec, exec, s[58:59]
	s_andn2_b64 vcc, s[54:55], exec
	s_and_b64 s[54:55], s[60:61], exec
	s_or_b64 s[54:55], vcc, s[54:55]
	v_mov_b32_e32 v1, v3
.LBB2_2467:                             ;   in Loop: Header=BB2_2468 Depth=2
	s_or_b64 exec, exec, s[56:57]
	s_waitcnt vmcnt(0) lgkmcnt(0)
	v_add_co_u32_e32 v4, vcc, v28, v2
	v_addc_co_u32_e32 v5, vcc, 0, v29, vcc
	v_cmp_ge_u64_e32 vcc, v[4:5], v[10:11]
	s_xor_b64 s[56:57], s[54:55], -1
	s_or_b64 vcc, s[56:57], vcc
	s_and_b64 vcc, exec, vcc
	s_or_b64 s[52:53], vcc, s[52:53]
	s_andn2_b64 exec, exec, s[52:53]
	s_cbranch_execz .LBB2_2472
.LBB2_2468:                             ;   Parent Loop BB2_49 Depth=1
                                        ; =>  This Inner Loop Header: Depth=2
	v_accvgpr_read_b32 v4, a16
	v_accvgpr_read_b32 v5, a17
	s_sleep 1
	flat_load_dwordx2 v[28:29], v[4:5] glc
	v_and_b32_e32 v3, 64, v59
	v_cmp_eq_u32_e32 vcc, 0, v3
	s_andn2_b64 s[54:55], s[54:55], exec
	s_and_saveexec_b64 s[56:57], vcc
	s_cbranch_execz .LBB2_2467
; %bb.2469:                             ;   in Loop: Header=BB2_2468 Depth=2
	v_add_u32_e32 v3, 1, v1
	v_cmp_lt_i32_e32 vcc, s72, v1
	s_mov_b64 s[60:61], -1
	s_and_saveexec_b64 s[58:59], vcc
	s_cbranch_execz .LBB2_2466
; %bb.2470:                             ;   in Loop: Header=BB2_2468 Depth=2
	s_trap 2
	ds_read_b64 v[4:5], v0
	s_waitcnt vmcnt(0) lgkmcnt(0)
	flat_load_dword v1, v[4:5] glc
	s_waitcnt vmcnt(0) lgkmcnt(0)
	buffer_invl2
	buffer_wbinvl1_vol
	v_cmp_ne_u32_e32 vcc, 0, v1
	s_and_saveexec_b64 s[62:63], vcc
	s_cbranch_execz .LBB2_2465
; %bb.2471:                             ;   in Loop: Header=BB2_2468 Depth=2
	v_or_b32_e32 v59, 64, v59
	s_xor_b64 s[60:61], exec, -1
	ds_write_b32 v0, v1
	s_trap 2
	s_branch .LBB2_2465
.LBB2_2472:                             ;   in Loop: Header=BB2_49 Depth=1
	s_or_b64 exec, exec, s[52:53]
	v_and_b32_e32 v1, 12, v59
.LBB2_2473:                             ;   in Loop: Header=BB2_49 Depth=1
	s_or_b64 exec, exec, s[50:51]
	v_cmp_eq_u32_e32 vcc, 0, v1
	s_orn2_b64 s[50:51], vcc, exec
	;;#ASMSTART
	s_wakeup
	;;#ASMEND
.LBB2_2474:                             ;   in Loop: Header=BB2_49 Depth=1
	s_or_b64 exec, exec, s[22:23]
	v_sub_u32_e32 v0, v36, v0
	s_xor_b64 s[22:23], s[50:51], -1
	v_min_i32_e32 v2, v48, v0
	s_and_saveexec_b64 s[50:51], s[22:23]
	s_cbranch_execz .LBB2_2486
; %bb.2475:                             ;   in Loop: Header=BB2_49 Depth=1
	v_accvgpr_read_b32 v4, a12
	v_and_b32_e32 v0, 0x108, v59
	v_accvgpr_read_b32 v6, a14
	v_cmp_ne_u32_e32 vcc, s73, v0
	v_and_b32_e32 v10, 7, v6
	v_accvgpr_read_b32 v5, a13
	v_accvgpr_read_b32 v7, a15
	s_and_saveexec_b64 s[22:23], vcc
	s_xor_b64 s[22:23], exec, s[22:23]
	s_andn2_saveexec_b64 s[22:23], s[22:23]
	s_cbranch_execz .LBB2_2477
; %bb.2476:                             ;   in Loop: Header=BB2_49 Depth=1
	v_accvgpr_read_b32 v4, a12
	v_accvgpr_read_b32 v5, a13
	v_mad_u64_u32 v[0:1], vcc, v10, 24, v[4:5]
	v_ashrrev_i32_e32 v3, 31, v2
	v_accvgpr_read_b32 v6, a14
	v_accvgpr_read_b32 v7, a15
	flat_store_dwordx2 v[0:1], v[2:3] offset:8
.LBB2_2477:                             ;   in Loop: Header=BB2_49 Depth=1
	s_or_b64 exec, exec, s[22:23]
	v_and_b32_e32 v0, 0x100, v59
	v_cmp_ne_u32_e32 vcc, 0, v0
	s_mov_b64 s[22:23], -1
                                        ; implicit-def: $vgpr12_vgpr13
	s_and_saveexec_b64 s[52:53], vcc
	s_cbranch_execz .LBB2_2481
; %bb.2478:                             ;   in Loop: Header=BB2_49 Depth=1
	v_accvgpr_read_b32 v4, a12
	v_accvgpr_read_b32 v5, a13
	v_mad_u64_u32 v[14:15], s[22:23], v10, 24, v[4:5]
	v_mov_b32_e32 v0, v15
	v_mad_u64_u32 v[0:1], s[22:23], v39, 24, v[0:1]
	v_mov_b32_e32 v15, v0
	flat_load_dword v0, v[14:15]
	v_accvgpr_read_b32 v6, a14
	v_accvgpr_read_b32 v7, a15
                                        ; implicit-def: $vgpr12_vgpr13
	s_waitcnt vmcnt(0) lgkmcnt(0)
	v_cmp_ne_u32_e32 vcc, 1, v0
	v_cmp_eq_u32_e64 s[22:23], 1, v0
	s_and_saveexec_b64 s[54:55], s[22:23]
	s_cbranch_execz .LBB2_2480
; %bb.2479:                             ;   in Loop: Header=BB2_49 Depth=1
	flat_load_dword v12, v[14:15] offset:4 glc
	s_waitcnt vmcnt(0) lgkmcnt(0)
	v_ashrrev_i32_e32 v13, 31, v12
.LBB2_2480:                             ;   in Loop: Header=BB2_49 Depth=1
	s_or_b64 exec, exec, s[54:55]
	s_orn2_b64 s[22:23], vcc, exec
.LBB2_2481:                             ;   in Loop: Header=BB2_49 Depth=1
	s_or_b64 exec, exec, s[52:53]
	s_and_saveexec_b64 vcc, s[22:23]
; %bb.2482:                             ;   in Loop: Header=BB2_49 Depth=1
	v_accvgpr_read_b32 v4, a18
	v_mul_lo_u32 v0, v39, v4
	v_mul_lo_u32 v1, v10, v53
	v_mad_u64_u32 v[12:13], s[22:23], v10, v4, 0
	v_add3_u32 v13, v13, v1, v0
; %bb.2483:                             ;   in Loop: Header=BB2_49 Depth=1
	s_or_b64 exec, exec, vcc
	v_accvgpr_read_b32 v0, a20
	v_accvgpr_read_b32 v1, a21
	v_add_co_u32_e32 v0, vcc, v0, v12
	v_addc_co_u32_e32 v1, vcc, v1, v13, vcc
	s_trap 2
	ds_write_b64 v0, v[0:1]
	v_and_b32_e32 v0, 0x2000, v59
	v_cmp_ne_u32_e32 vcc, 0, v0
	s_and_saveexec_b64 s[22:23], vcc
	s_cbranch_execz .LBB2_2485
; %bb.2484:                             ;   in Loop: Header=BB2_49 Depth=1
	ds_read_b64 v[0:1], v0 offset:584
	s_waitcnt lgkmcnt(0)
	v_add_co_u32_e32 v0, vcc, 1, v0
	v_addc_co_u32_e32 v1, vcc, 0, v1, vcc
	ds_write_b64 v0, v[0:1] offset:584
.LBB2_2485:                             ;   in Loop: Header=BB2_49 Depth=1
	s_or_b64 exec, exec, s[22:23]
	v_accvgpr_read_b32 v4, a12
	v_accvgpr_read_b32 v6, a14
	;; [unrolled: 1-line block ×3, first 2 shown]
	v_add_co_u32_e32 v6, vcc, 1, v6
	v_addc_co_u32_e32 v7, vcc, 0, v7, vcc
	v_accvgpr_read_b32 v5, a13
	v_accvgpr_write_b32 a15, v7
	v_accvgpr_write_b32 a14, v6
	;; [unrolled: 1-line block ×4, first 2 shown]
.LBB2_2486:                             ;   in Loop: Header=BB2_49 Depth=1
	s_or_b64 exec, exec, s[50:51]
	s_and_saveexec_b64 s[22:23], s[12:13]
	s_cbranch_execz .LBB2_2505
; %bb.2487:                             ;   in Loop: Header=BB2_49 Depth=1
	s_and_saveexec_b64 vcc, s[36:37]
	s_xor_b64 s[50:51], exec, vcc
	s_cbranch_execz .LBB2_2502
; %bb.2488:                             ;   in Loop: Header=BB2_49 Depth=1
	s_and_saveexec_b64 s[52:53], s[14:15]
	s_cbranch_execz .LBB2_2501
; %bb.2489:                             ;   in Loop: Header=BB2_49 Depth=1
	s_mov_b64 s[56:57], exec
	v_mbcnt_lo_u32_b32 v0, s56, 0
	v_mbcnt_hi_u32_b32 v0, s57, v0
	v_cmp_eq_u32_e32 vcc, 0, v0
	s_waitcnt vmcnt(0) lgkmcnt(0)
	buffer_wbinvl1_vol
	s_and_saveexec_b64 s[54:55], vcc
	s_cbranch_execz .LBB2_2491
; %bb.2490:                             ;   in Loop: Header=BB2_49 Depth=1
	s_bcnt1_i32_b64 vcc_lo, s[56:57]
	v_mov_b32_e32 v38, vcc_lo
	ds_add_u64 v0, v[38:39]
	s_trap 2
.LBB2_2491:                             ;   in Loop: Header=BB2_49 Depth=1
	s_or_b64 exec, exec, s[54:55]
	s_trap 2
	ds_read_b64 v[0:1], v0
	v_accvgpr_read_b32 v4, a22
	v_accvgpr_read_b32 v5, a23
	v_add_co_u32_e32 v4, vcc, v4, v52
	v_addc_co_u32_e32 v5, vcc, 0, v5, vcc
	v_accvgpr_write_b32 a23, v5
	v_accvgpr_write_b32 a22, v4
	s_waitcnt lgkmcnt(0)
	v_cmp_lt_u64_e32 vcc, v[0:1], v[4:5]
	s_and_saveexec_b64 s[54:55], vcc
	s_cbranch_execz .LBB2_2500
; %bb.2492:                             ;   in Loop: Header=BB2_49 Depth=1
	s_mov_b32 s66, 0
	s_mov_b64 s[56:57], 0
                                        ; implicit-def: $sgpr58_sgpr59
                                        ; implicit-def: $sgpr60_sgpr61
	s_branch .LBB2_2494
.LBB2_2493:                             ;   in Loop: Header=BB2_2494 Depth=2
	s_or_b64 exec, exec, s[64:65]
	s_and_b64 vcc, exec, vcc
	s_or_b64 s[56:57], vcc, s[56:57]
	s_andn2_b64 vcc, s[58:59], exec
	s_and_b64 s[58:59], s[60:61], exec
	s_or_b64 s[58:59], vcc, s[58:59]
	s_andn2_b64 exec, exec, s[56:57]
	s_cbranch_execz .LBB2_2498
.LBB2_2494:                             ;   Parent Loop BB2_49 Depth=1
                                        ; =>  This Inner Loop Header: Depth=2
	s_add_i32 s66, s66, 1
	s_cmpk_lg_i32 s66, 0x2710
	s_cselect_b64 s[62:63], -1, 0
	s_and_b64 vcc, exec, s[62:63]
                                        ; implicit-def: $sgpr64_sgpr65
	s_cbranch_vccnz .LBB2_2496
; %bb.2495:                             ;   in Loop: Header=BB2_2494 Depth=2
	s_trap 2
	ds_read_b64 v[0:1], v0
	s_andn2_b64 s[62:63], s[62:63], exec
	s_mov_b32 s66, 0
	s_mov_b64 s[64:65], -1
	s_waitcnt lgkmcnt(0)
	flat_load_dword v0, v[0:1] glc
	s_waitcnt vmcnt(0) lgkmcnt(0)
	buffer_invl2
	buffer_wbinvl1_vol
	v_cmp_eq_u32_e32 vcc, 0, v0
	s_and_b64 vcc, vcc, exec
	s_or_b64 s[62:63], s[62:63], vcc
.LBB2_2496:                             ;   in Loop: Header=BB2_2494 Depth=2
	s_andn2_b64 s[60:61], s[60:61], exec
	s_and_b64 s[64:65], s[64:65], exec
	s_mov_b64 vcc, -1
	s_or_b64 s[60:61], s[60:61], s[64:65]
	s_and_saveexec_b64 s[64:65], s[62:63]
	s_cbranch_execz .LBB2_2493
; %bb.2497:                             ;   in Loop: Header=BB2_2494 Depth=2
	s_sleep 1
	s_trap 2
	ds_read_b64 v[0:1], v0
	v_accvgpr_read_b32 v4, a22
	v_accvgpr_read_b32 v5, a23
	s_andn2_b64 s[60:61], s[60:61], exec
	s_waitcnt lgkmcnt(0)
	v_cmp_ge_u64_e32 vcc, v[0:1], v[4:5]
	s_orn2_b64 vcc, vcc, exec
	s_branch .LBB2_2493
.LBB2_2498:                             ;   in Loop: Header=BB2_49 Depth=1
	s_or_b64 exec, exec, s[56:57]
	s_and_saveexec_b64 vcc, s[58:59]
	s_xor_b64 vcc, exec, vcc
	s_cbranch_execz .LBB2_2500
; %bb.2499:                             ;   in Loop: Header=BB2_49 Depth=1
	ds_write_b32 v0, v35
	s_trap 2
.LBB2_2500:                             ;   in Loop: Header=BB2_49 Depth=1
	s_or_b64 exec, exec, s[54:55]
	;;#ASMSTART
	s_wakeup
	;;#ASMEND
.LBB2_2501:                             ;   in Loop: Header=BB2_49 Depth=1
	s_or_b64 exec, exec, s[52:53]
.LBB2_2502:                             ;   in Loop: Header=BB2_49 Depth=1
	s_andn2_saveexec_b64 vcc, s[50:51]
	s_cbranch_execz .LBB2_2504
; %bb.2503:                             ;   in Loop: Header=BB2_49 Depth=1
	s_waitcnt vmcnt(0) lgkmcnt(0)
	buffer_wbinvl1_vol
	s_barrier
.LBB2_2504:                             ;   in Loop: Header=BB2_49 Depth=1
	s_or_b64 exec, exec, vcc
.LBB2_2505:                             ;   in Loop: Header=BB2_49 Depth=1
	s_or_b64 exec, exec, s[22:23]
	s_trap 2
	ds_read_b32 v1, v0
	v_cmp_lt_i32_e32 vcc, 0, v2
	v_and_b32_e32 v0, 16, v59
	s_waitcnt lgkmcnt(0)
	v_readfirstlane_b32 s22, v1
	s_cmp_eq_u32 s22, 0
	s_cselect_b64 s[22:23], -1, 0
	s_and_b64 s[22:23], vcc, s[22:23]
	v_cmp_ne_u32_e32 vcc, 0, v0
	s_and_b64 vcc, vcc, s[22:23]
	s_and_saveexec_b64 s[22:23], vcc
	s_cbranch_execz .LBB2_2507
; %bb.2506:                             ;   in Loop: Header=BB2_49 Depth=1
	s_waitcnt vmcnt(0)
	buffer_wbinvl1_vol
.LBB2_2507:                             ;   in Loop: Header=BB2_49 Depth=1
	s_or_b64 exec, exec, s[22:23]
	v_cmp_ne_u32_e32 vcc, 0, v0
	s_xor_b64 s[22:23], s[20:21], -1
	s_and_b64 vcc, vcc, s[22:23]
	s_and_saveexec_b64 s[22:23], vcc
	s_cbranch_execz .LBB2_2509
; %bb.2508:                             ;   in Loop: Header=BB2_49 Depth=1
	v_accvgpr_read_b32 v0, a26
	v_accvgpr_read_b32 v1, a27
	flat_store_dword v[0:1], v35
.LBB2_2509:                             ;   in Loop: Header=BB2_49 Depth=1
	s_or_b64 exec, exec, s[22:23]
	v_and_b32_e32 v0, 48, v59
	v_cmp_ne_u32_e32 vcc, 0, v0
	s_and_saveexec_b64 s[22:23], vcc
	s_cbranch_execz .LBB2_47
; %bb.2510:                             ;   in Loop: Header=BB2_49 Depth=1
	v_accvgpr_read_b32 v0, a12
	v_accvgpr_read_b32 v2, a14
	v_accvgpr_read_b32 v3, a15
	v_add_co_u32_e32 v2, vcc, 1, v2
	v_addc_co_u32_e32 v3, vcc, 0, v3, vcc
	v_accvgpr_read_b32 v1, a13
	v_accvgpr_write_b32 a15, v3
	v_accvgpr_write_b32 a14, v2
	;; [unrolled: 1-line block ×4, first 2 shown]
	v_accvgpr_read_b32 v0, a16
	v_accvgpr_read_b32 v1, a17
	flat_store_dwordx2 v[0:1], v[2:3]
	s_branch .LBB2_47
.LBB2_2511:
	s_or_b64 exec, exec, s[38:39]
	v_accvgpr_read_b32 v21, a15
	v_accvgpr_read_b32 v20, a14
	;; [unrolled: 1-line block ×4, first 2 shown]
.LBB2_2512:
	s_or_b64 exec, exec, s[34:35]
                                        ; implicit-def: $agpr6_agpr7
                                        ; implicit-def: $vgpr22_vgpr23
                                        ; implicit-def: $agpr18
                                        ; implicit-def: $vgpr28_vgpr29
                                        ; implicit-def: $agpr20_agpr21
                                        ; implicit-def: $agpr16_agpr17
                                        ; implicit-def: $agpr3
                                        ; implicit-def: $vgpr0
                                        ; implicit-def: $agpr24_agpr25
.LBB2_2513:
	s_andn2_saveexec_b64 s[22:23], s[30:31]
	s_cbranch_execz .LBB2_4974
; %bb.2514:
	v_pk_mov_b32 v[2:3], 0, 0
	v_accvgpr_write_b32 a23, v3
	v_accvgpr_write_b32 a22, v2
	s_and_saveexec_b64 s[24:25], s[6:7]
	s_cbranch_execz .LBB2_4973
; %bb.2515:
	v_accvgpr_read_b32 v2, a0
	s_waitcnt vmcnt(0)
	v_accvgpr_read_b32 v1, a2
	v_cmp_ne_u32_sdwa s[30:31], v1, v2 src0_sel:WORD_0 src1_sel:DWORD
	v_accvgpr_read_b32 v1, a1
	v_accvgpr_read_b32 v3, a3
	v_and_b32_e32 v1, 63, v1
	v_cmp_eq_u32_e64 s[12:13], 0, v1
	v_ashrrev_i32_e32 v1, 31, v3
	v_lshrrev_b32_e32 v1, 26, v1
	v_add_u32_e32 v1, v3, v1
	v_ashrrev_i32_e32 v31, 6, v1
	v_and_b32_e32 v1, 0xffffffc0, v1
	v_sub_u32_e32 v1, v3, v1
	v_cmp_le_i32_e64 s[14:15], v1, v0
	v_lshlrev_b32_e32 v0, 11, v31
	v_lshl_add_u32 v0, v1, 4, v0
	v_lshrrev_b32_e32 v30, 6, v2
	v_cmp_gt_i32_e64 s[16:17], 1, v1
	s_waitcnt lgkmcnt(0)
	v_accvgpr_write_b32 a27, v1
	v_accvgpr_write_b32 a28, v0
	v_ashrrev_i32_e32 v1, 31, v0
	v_mov_b32_e32 v0, 0xfffff800
	v_lshl_add_u32 v0, v30, 11, v0
	s_movk_i32 s18, 0x800
	v_accvgpr_write_b32 a29, v1
	v_ashrrev_i32_e32 v1, 31, v0
	v_add_co_u32_e64 v0, s[18:19], s18, v0
	v_accvgpr_write_b32 a30, v0
	v_addc_co_u32_e64 v0, s[18:19], 0, v1, s[18:19]
	v_lshlrev_b32_e32 v32, 10, v30
	v_accvgpr_write_b32 a31, v0
	v_add_u32_e32 v0, 0xfffffc00, v32
	s_movk_i32 s18, 0x400
	v_ashrrev_i32_e32 v1, 31, v0
	v_add_co_u32_e64 v33, s[18:19], s18, v0
	s_ashr_i32 s6, s70, 31
	v_addc_co_u32_e64 v0, s[18:19], 0, v1, s[18:19]
	s_lshr_b32 s6, s6, 24
	v_accvgpr_write_b32 a34, v0
	v_mov_b32_e32 v0, 0xffffff00
	s_add_i32 s6, s70, s6
	v_lshl_add_u32 v0, v30, 8, v0
	s_movk_i32 s18, 0x100
	v_pk_mov_b32 v[60:61], 0, 0
	v_accvgpr_write_b32 a12, v18
	s_ashr_i32 s66, s6, 8
	v_cmp_ge_i32_e64 s[6:7], v3, v2
	v_cmp_eq_u32_e32 vcc, 64, v2
	v_cmp_ne_u32_e64 s[10:11], 64, v2
	v_ashrrev_i32_e32 v1, 31, v0
	v_add_co_u32_e64 v34, s[18:19], s18, v0
	v_and_b32_e32 v56, 0xffffffc0, v2
	s_mov_b32 s42, -1
	v_accvgpr_write_b32 a22, v60
	v_accvgpr_read_b32 v2, a24
	v_accvgpr_write_b32 a13, v19
	v_accvgpr_write_b32 a14, v20
	;; [unrolled: 1-line block ×3, first 2 shown]
	v_mov_b32_e32 v37, 0
	v_addc_co_u32_e64 v46, s[18:19], 0, v1, s[18:19]
	v_ashrrev_i32_e32 v47, 31, v56
	s_mov_b64 s[34:35], 0
	s_movk_i32 s67, 0x270e
	s_xor_b64 s[36:37], vcc, -1
	s_movk_i32 s68, 0x7f
	s_movk_i32 s69, 0x80
	s_mov_b64 s[38:39], 0x7f800000
	s_mov_b64 s[40:41], 0x43e00001
	s_movk_i32 s71, 0x7a
	s_mov_b32 s43, 0xffffff
	s_mov_b64 s[44:45], 0xffffff
	s_mov_b32 s72, 0xc0c0500
	s_mov_b32 s73, 0x8000
	;; [unrolled: 1-line block ×3, first 2 shown]
	v_bfrev_b32_e32 v50, 60
	v_accvgpr_write_b32 a23, v61
	v_accvgpr_read_b32 v3, a25
	s_trap 2
	s_branch .LBB2_2518
.LBB2_2516:                             ;   in Loop: Header=BB2_2518 Depth=1
	s_or_b64 exec, exec, s[18:19]
.LBB2_2517:                             ;   in Loop: Header=BB2_2518 Depth=1
	s_or_b64 exec, exec, s[20:21]
	v_accvgpr_read_b32 v2, a24
	v_add_co_u32_e32 v60, vcc, v60, v2
	v_accvgpr_read_b32 v23, a5
	v_addc_co_u32_e32 v61, vcc, 0, v61, vcc
	v_accvgpr_read_b32 v22, a4
	v_cmp_ge_u64_e32 vcc, v[60:61], v[22:23]
	v_accvgpr_read_b32 v3, a25
	s_or_b64 s[34:35], vcc, s[34:35]
	s_andn2_b64 exec, exec, s[34:35]
	s_cbranch_execz .LBB2_4972
.LBB2_2518:                             ; =>This Loop Header: Depth=1
                                        ;     Child Loop BB2_2529 Depth 2
                                        ;     Child Loop BB2_2551 Depth 2
	;; [unrolled: 1-line block ×10, first 2 shown]
	v_sub_co_u32_e32 v0, vcc, v22, v60
	v_subb_co_u32_e32 v1, vcc, v23, v61, vcc
	v_cmp_lt_u64_e32 vcc, v[2:3], v[0:1]
	v_cndmask_b32_e64 v39, v1, 0, vcc
	v_cndmask_b32_e32 v38, v0, v2, vcc
	v_add_u32_e32 v0, 15, v38
	v_cmp_eq_u64_e32 vcc, 0, v[38:39]
	v_accvgpr_write_b32 a4, v22
	v_and_b32_e32 v0, 0x7ffffff0, v0
	s_or_b64 s[46:47], s[6:7], vcc
	v_accvgpr_write_b32 a5, v23
	v_max_i32_e32 v35, s66, v0
	s_xor_b64 s[18:19], s[46:47], -1
	v_mov_b32_e32 v0, v37
	s_and_saveexec_b64 s[48:49], s[18:19]
	s_cbranch_execz .LBB2_4926
; %bb.2519:                             ;   in Loop: Header=BB2_2518 Depth=1
	s_and_saveexec_b64 s[18:19], s[4:5]
	s_cbranch_execz .LBB2_2521
; %bb.2520:                             ;   in Loop: Header=BB2_2518 Depth=1
	s_trap 2
	ds_read2_b64 v[0:3], v0 offset1:1
	v_accvgpr_read_b32 v4, a6
	v_accvgpr_read_b32 v5, a7
	v_add_co_u32_e32 v6, vcc, v60, v4
	v_addc_co_u32_e32 v7, vcc, v61, v5, vcc
	s_waitcnt lgkmcnt(0)
	ds_read_b64 v[4:5], v0
	v_add_co_u32_e32 v0, vcc, v0, v6
	v_addc_co_u32_e32 v1, vcc, v1, v7, vcc
	ds_write_b64 v0, v[0:1]
	v_add_co_u32_e32 v0, vcc, v2, v6
	v_addc_co_u32_e32 v1, vcc, v3, v7, vcc
	ds_write_b64 v0, v[0:1]
	s_waitcnt lgkmcnt(0)
	v_add_co_u32_e32 v0, vcc, v4, v6
	v_addc_co_u32_e32 v1, vcc, v5, v7, vcc
	v_cmp_ne_u64_e32 vcc, 0, v[4:5]
	v_cndmask_b32_e32 v1, 0, v1, vcc
	v_cndmask_b32_e32 v0, 0, v0, vcc
	ds_write_b64 v0, v[0:1]
.LBB2_2521:                             ;   in Loop: Header=BB2_2518 Depth=1
	s_or_b64 exec, exec, s[18:19]
	v_and_b32_e32 v0, 4, v59
	v_cmp_ne_u32_e32 vcc, 0, v0
	s_mov_b64 s[20:21], -1
	s_and_saveexec_b64 s[18:19], vcc
	s_cbranch_execnz .LBB2_2524
; %bb.2522:                             ;   in Loop: Header=BB2_2518 Depth=1
	s_or_b64 exec, exec, s[18:19]
	s_xor_b64 s[18:19], s[20:21], -1
	s_and_saveexec_b64 s[20:21], s[18:19]
	s_cbranch_execnz .LBB2_2535
.LBB2_2523:                             ;   in Loop: Header=BB2_2518 Depth=1
	s_or_b64 exec, exec, s[20:21]
	s_and_saveexec_b64 s[18:19], s[10:11]
	s_cbranch_execnz .LBB2_2544
	s_branch .LBB2_2562
.LBB2_2524:                             ;   in Loop: Header=BB2_2518 Depth=1
	v_accvgpr_read_b32 v0, a12
	v_accvgpr_read_b32 v2, a14
	;; [unrolled: 1-line block ×3, first 2 shown]
	v_add_co_u32_e32 v2, vcc, 1, v2
	v_addc_co_u32_e32 v3, vcc, 0, v3, vcc
	v_cmp_lt_u64_e32 vcc, v[28:29], v[2:3]
	v_mov_b32_e32 v0, 1
	v_accvgpr_read_b32 v1, a13
	s_and_saveexec_b64 s[20:21], vcc
	s_cbranch_execz .LBB2_2534
; %bb.2525:                             ;   in Loop: Header=BB2_2518 Depth=1
	s_mov_b64 s[50:51], 0
	v_mov_b32_e32 v0, 0
                                        ; implicit-def: $sgpr52_sgpr53
	s_branch .LBB2_2529
.LBB2_2526:                             ;   in Loop: Header=BB2_2529 Depth=2
	s_or_b64 exec, exec, s[60:61]
	v_mov_b32_e32 v1, 0
	s_orn2_b64 s[58:59], s[58:59], exec
.LBB2_2527:                             ;   in Loop: Header=BB2_2529 Depth=2
	s_or_b64 exec, exec, s[56:57]
	s_andn2_b64 vcc, s[52:53], exec
	s_and_b64 s[52:53], s[58:59], exec
	s_or_b64 s[52:53], vcc, s[52:53]
	v_mov_b32_e32 v0, v1
.LBB2_2528:                             ;   in Loop: Header=BB2_2529 Depth=2
	s_or_b64 exec, exec, s[54:55]
	s_waitcnt vmcnt(0) lgkmcnt(0)
	v_cmp_ge_u64_e32 vcc, v[28:29], v[2:3]
	s_xor_b64 s[54:55], s[52:53], -1
	s_or_b64 vcc, s[54:55], vcc
	s_and_b64 vcc, exec, vcc
	s_or_b64 s[50:51], vcc, s[50:51]
	s_andn2_b64 exec, exec, s[50:51]
	s_cbranch_execz .LBB2_2533
.LBB2_2529:                             ;   Parent Loop BB2_2518 Depth=1
                                        ; =>  This Inner Loop Header: Depth=2
	v_accvgpr_read_b32 v4, a16
	v_accvgpr_read_b32 v5, a17
	s_sleep 1
	flat_load_dwordx2 v[28:29], v[4:5] glc
	v_and_b32_e32 v1, 64, v59
	v_cmp_eq_u32_e32 vcc, 0, v1
	s_andn2_b64 s[52:53], s[52:53], exec
	s_and_saveexec_b64 s[54:55], vcc
	s_cbranch_execz .LBB2_2528
; %bb.2530:                             ;   in Loop: Header=BB2_2529 Depth=2
	v_add_u32_e32 v1, 1, v0
	v_cmp_lt_i32_e32 vcc, s67, v0
	s_mov_b64 s[58:59], -1
	s_and_saveexec_b64 s[56:57], vcc
	s_cbranch_execz .LBB2_2527
; %bb.2531:                             ;   in Loop: Header=BB2_2529 Depth=2
	s_trap 2
	ds_read_b64 v[0:1], v0
	s_waitcnt vmcnt(0) lgkmcnt(0)
	flat_load_dword v0, v[0:1] glc
	s_waitcnt vmcnt(0) lgkmcnt(0)
	buffer_invl2
	buffer_wbinvl1_vol
	v_cmp_ne_u32_e32 vcc, 0, v0
	s_and_saveexec_b64 s[60:61], vcc
	s_cbranch_execz .LBB2_2526
; %bb.2532:                             ;   in Loop: Header=BB2_2529 Depth=2
	v_or_b32_e32 v59, 64, v59
	s_xor_b64 s[58:59], exec, -1
	ds_write_b32 v0, v0
	s_trap 2
	s_branch .LBB2_2526
.LBB2_2533:                             ;   in Loop: Header=BB2_2518 Depth=1
	s_or_b64 exec, exec, s[50:51]
	v_and_b32_e32 v0, 4, v59
.LBB2_2534:                             ;   in Loop: Header=BB2_2518 Depth=1
	s_or_b64 exec, exec, s[20:21]
	v_cmp_eq_u32_e32 vcc, 0, v0
	s_orn2_b64 s[20:21], vcc, exec
	;;#ASMSTART
	s_wakeup
	;;#ASMEND
	s_or_b64 exec, exec, s[18:19]
	s_xor_b64 s[18:19], s[20:21], -1
	s_and_saveexec_b64 s[20:21], s[18:19]
	s_cbranch_execz .LBB2_2523
.LBB2_2535:                             ;   in Loop: Header=BB2_2518 Depth=1
	v_and_b32_e32 v0, 0x100, v59
	v_cmp_ne_u32_e32 vcc, 0, v0
	v_accvgpr_read_b32 v0, a12
	v_accvgpr_read_b32 v2, a14
	;; [unrolled: 1-line block ×3, first 2 shown]
	v_and_b32_e32 v0, 7, v2
	s_mov_b64 s[18:19], -1
	v_accvgpr_read_b32 v1, a13
                                        ; implicit-def: $vgpr2_vgpr3
	s_and_saveexec_b64 s[50:51], vcc
	s_cbranch_execz .LBB2_2539
; %bb.2536:                             ;   in Loop: Header=BB2_2518 Depth=1
	v_accvgpr_read_b32 v2, a12
	v_accvgpr_read_b32 v3, a13
	v_mad_u64_u32 v[10:11], s[18:19], v0, 24, v[2:3]
	flat_load_dword v1, v[10:11]
	v_accvgpr_read_b32 v4, a14
	v_accvgpr_read_b32 v5, a15
                                        ; implicit-def: $vgpr2_vgpr3
	s_waitcnt vmcnt(0) lgkmcnt(0)
	v_cmp_ne_u32_e32 vcc, 1, v1
	v_cmp_eq_u32_e64 s[18:19], 1, v1
	s_and_saveexec_b64 s[52:53], s[18:19]
	s_cbranch_execz .LBB2_2538
; %bb.2537:                             ;   in Loop: Header=BB2_2518 Depth=1
	flat_load_dword v2, v[10:11] offset:4 glc
	s_waitcnt vmcnt(0) lgkmcnt(0)
	v_ashrrev_i32_e32 v3, 31, v2
.LBB2_2538:                             ;   in Loop: Header=BB2_2518 Depth=1
	s_or_b64 exec, exec, s[52:53]
	s_orn2_b64 s[18:19], vcc, exec
.LBB2_2539:                             ;   in Loop: Header=BB2_2518 Depth=1
	s_or_b64 exec, exec, s[50:51]
	s_and_saveexec_b64 vcc, s[18:19]
; %bb.2540:                             ;   in Loop: Header=BB2_2518 Depth=1
	v_accvgpr_read_b32 v2, a18
	v_mad_i64_i32 v[2:3], s[18:19], v0, v2, 0
; %bb.2541:                             ;   in Loop: Header=BB2_2518 Depth=1
	s_or_b64 exec, exec, vcc
	v_accvgpr_read_b32 v0, a20
	v_accvgpr_read_b32 v1, a21
	v_add_co_u32_e32 v0, vcc, v0, v2
	v_addc_co_u32_e32 v1, vcc, v1, v3, vcc
	ds_write_b64 v0, v[0:1] offset:728
	v_and_b32_e32 v0, 0x2000, v59
	v_cmp_ne_u32_e32 vcc, 0, v0
	s_and_saveexec_b64 s[18:19], vcc
	s_cbranch_execz .LBB2_2543
; %bb.2542:                             ;   in Loop: Header=BB2_2518 Depth=1
	ds_read_b64 v[0:1], v0 offset:584
	s_waitcnt lgkmcnt(0)
	v_add_co_u32_e32 v0, vcc, 1, v0
	v_addc_co_u32_e32 v1, vcc, 0, v1, vcc
	ds_write_b64 v0, v[0:1] offset:584
.LBB2_2543:                             ;   in Loop: Header=BB2_2518 Depth=1
	s_or_b64 exec, exec, s[18:19]
	v_accvgpr_read_b32 v0, a12
	v_accvgpr_read_b32 v2, a14
	;; [unrolled: 1-line block ×3, first 2 shown]
	v_add_co_u32_e32 v2, vcc, 1, v2
	v_addc_co_u32_e32 v3, vcc, 0, v3, vcc
	v_accvgpr_read_b32 v1, a13
	v_accvgpr_write_b32 a15, v3
	v_accvgpr_write_b32 a14, v2
	;; [unrolled: 1-line block ×4, first 2 shown]
	s_or_b64 exec, exec, s[20:21]
	s_and_saveexec_b64 s[18:19], s[10:11]
	s_cbranch_execz .LBB2_2562
.LBB2_2544:                             ;   in Loop: Header=BB2_2518 Depth=1
	s_and_saveexec_b64 s[20:21], s[30:31]
	s_xor_b64 s[20:21], exec, s[20:21]
	s_cbranch_execz .LBB2_2559
; %bb.2545:                             ;   in Loop: Header=BB2_2518 Depth=1
	s_and_saveexec_b64 s[50:51], s[12:13]
	s_cbranch_execz .LBB2_2558
; %bb.2546:                             ;   in Loop: Header=BB2_2518 Depth=1
	s_mov_b64 s[54:55], exec
	v_mbcnt_lo_u32_b32 v0, s54, 0
	v_mbcnt_hi_u32_b32 v0, s55, v0
	v_cmp_eq_u32_e32 vcc, 0, v0
	s_waitcnt vmcnt(0) lgkmcnt(0)
	buffer_wbinvl1_vol
	s_and_saveexec_b64 s[52:53], vcc
	s_cbranch_execz .LBB2_2548
; %bb.2547:                             ;   in Loop: Header=BB2_2518 Depth=1
	s_bcnt1_i32_b64 vcc_lo, s[54:55]
	v_mov_b32_e32 v36, vcc_lo
	ds_add_u64 v0, v[36:37]
	s_trap 2
.LBB2_2548:                             ;   in Loop: Header=BB2_2518 Depth=1
	s_or_b64 exec, exec, s[52:53]
	s_trap 2
	ds_read_b64 v[0:1], v0
	v_accvgpr_read_b32 v2, a22
	v_accvgpr_read_b32 v3, a23
	v_add_co_u32_e32 v2, vcc, v2, v30
	v_addc_co_u32_e32 v3, vcc, 0, v3, vcc
	v_accvgpr_write_b32 a23, v3
	v_accvgpr_write_b32 a22, v2
	s_waitcnt lgkmcnt(0)
	v_cmp_lt_u64_e32 vcc, v[0:1], v[2:3]
	s_and_saveexec_b64 s[52:53], vcc
	s_cbranch_execz .LBB2_2557
; %bb.2549:                             ;   in Loop: Header=BB2_2518 Depth=1
	s_mov_b32 s64, 0
	s_mov_b64 s[54:55], 0
                                        ; implicit-def: $sgpr56_sgpr57
                                        ; implicit-def: $sgpr58_sgpr59
	s_branch .LBB2_2551
.LBB2_2550:                             ;   in Loop: Header=BB2_2551 Depth=2
	s_or_b64 exec, exec, s[62:63]
	s_and_b64 vcc, exec, vcc
	s_or_b64 s[54:55], vcc, s[54:55]
	s_andn2_b64 vcc, s[56:57], exec
	s_and_b64 s[56:57], s[58:59], exec
	s_or_b64 s[56:57], vcc, s[56:57]
	s_andn2_b64 exec, exec, s[54:55]
	s_cbranch_execz .LBB2_2555
.LBB2_2551:                             ;   Parent Loop BB2_2518 Depth=1
                                        ; =>  This Inner Loop Header: Depth=2
	s_add_i32 s64, s64, 1
	s_cmpk_lg_i32 s64, 0x2710
	s_cselect_b64 s[60:61], -1, 0
	s_and_b64 vcc, exec, s[60:61]
                                        ; implicit-def: $sgpr62_sgpr63
	s_cbranch_vccnz .LBB2_2553
; %bb.2552:                             ;   in Loop: Header=BB2_2551 Depth=2
	s_trap 2
	ds_read_b64 v[0:1], v0
	s_andn2_b64 s[60:61], s[60:61], exec
	s_mov_b32 s64, 0
	s_mov_b64 s[62:63], -1
	s_waitcnt lgkmcnt(0)
	flat_load_dword v0, v[0:1] glc
	s_waitcnt vmcnt(0) lgkmcnt(0)
	buffer_invl2
	buffer_wbinvl1_vol
	v_cmp_eq_u32_e32 vcc, 0, v0
	s_and_b64 vcc, vcc, exec
	s_or_b64 s[60:61], s[60:61], vcc
.LBB2_2553:                             ;   in Loop: Header=BB2_2551 Depth=2
	s_andn2_b64 s[58:59], s[58:59], exec
	s_and_b64 s[62:63], s[62:63], exec
	s_mov_b64 vcc, -1
	s_or_b64 s[58:59], s[58:59], s[62:63]
	s_and_saveexec_b64 s[62:63], s[60:61]
	s_cbranch_execz .LBB2_2550
; %bb.2554:                             ;   in Loop: Header=BB2_2551 Depth=2
	s_sleep 1
	s_trap 2
	ds_read_b64 v[0:1], v0
	v_accvgpr_read_b32 v2, a22
	v_accvgpr_read_b32 v3, a23
	s_andn2_b64 s[58:59], s[58:59], exec
	s_waitcnt lgkmcnt(0)
	v_cmp_ge_u64_e32 vcc, v[0:1], v[2:3]
	s_orn2_b64 vcc, vcc, exec
	s_branch .LBB2_2550
.LBB2_2555:                             ;   in Loop: Header=BB2_2518 Depth=1
	s_or_b64 exec, exec, s[54:55]
	s_and_saveexec_b64 vcc, s[56:57]
	s_xor_b64 vcc, exec, vcc
	s_cbranch_execz .LBB2_2557
; %bb.2556:                             ;   in Loop: Header=BB2_2518 Depth=1
	v_mov_b32_e32 v0, 1
	ds_write_b32 v0, v0
	s_trap 2
.LBB2_2557:                             ;   in Loop: Header=BB2_2518 Depth=1
	s_or_b64 exec, exec, s[52:53]
	;;#ASMSTART
	s_wakeup
	;;#ASMEND
.LBB2_2558:                             ;   in Loop: Header=BB2_2518 Depth=1
	s_or_b64 exec, exec, s[50:51]
.LBB2_2559:                             ;   in Loop: Header=BB2_2518 Depth=1
	s_andn2_saveexec_b64 s[20:21], s[20:21]
	s_cbranch_execz .LBB2_2561
; %bb.2560:                             ;   in Loop: Header=BB2_2518 Depth=1
	s_waitcnt vmcnt(0) lgkmcnt(0)
	buffer_wbinvl1_vol
	s_barrier
.LBB2_2561:                             ;   in Loop: Header=BB2_2518 Depth=1
	s_or_b64 exec, exec, s[20:21]
.LBB2_2562:                             ;   in Loop: Header=BB2_2518 Depth=1
	s_or_b64 exec, exec, s[18:19]
	s_trap 2
	ds_read_b32 v0, v0
	v_and_b32_e32 v1, 0x4000, v59
	v_cmp_ne_u32_e32 vcc, 0, v1
	s_and_b64 s[20:21], s[36:37], vcc
	s_and_saveexec_b64 s[18:19], s[20:21]
	s_cbranch_execz .LBB2_2581
; %bb.2563:                             ;   in Loop: Header=BB2_2518 Depth=1
	s_and_saveexec_b64 s[20:21], s[30:31]
	s_xor_b64 s[20:21], exec, s[20:21]
	s_cbranch_execz .LBB2_2578
; %bb.2564:                             ;   in Loop: Header=BB2_2518 Depth=1
	s_and_saveexec_b64 s[50:51], s[12:13]
	s_cbranch_execz .LBB2_2577
; %bb.2565:                             ;   in Loop: Header=BB2_2518 Depth=1
	s_mov_b64 s[54:55], exec
	v_mbcnt_lo_u32_b32 v1, s54, 0
	v_mbcnt_hi_u32_b32 v1, s55, v1
	v_cmp_eq_u32_e32 vcc, 0, v1
	s_waitcnt vmcnt(0) lgkmcnt(0)
	buffer_wbinvl1_vol
	s_and_saveexec_b64 s[52:53], vcc
	s_cbranch_execz .LBB2_2567
; %bb.2566:                             ;   in Loop: Header=BB2_2518 Depth=1
	s_bcnt1_i32_b64 vcc_lo, s[54:55]
	v_mov_b32_e32 v36, vcc_lo
	ds_add_u64 v0, v[36:37]
	s_trap 2
.LBB2_2567:                             ;   in Loop: Header=BB2_2518 Depth=1
	s_or_b64 exec, exec, s[52:53]
	s_trap 2
	ds_read_b64 v[2:3], v0
	v_accvgpr_read_b32 v4, a22
	v_accvgpr_read_b32 v5, a23
	v_add_co_u32_e32 v4, vcc, v4, v30
	v_addc_co_u32_e32 v5, vcc, 0, v5, vcc
	v_accvgpr_write_b32 a23, v5
	v_accvgpr_write_b32 a22, v4
	s_waitcnt lgkmcnt(0)
	v_cmp_lt_u64_e32 vcc, v[2:3], v[4:5]
	s_and_saveexec_b64 s[52:53], vcc
	s_cbranch_execz .LBB2_2576
; %bb.2568:                             ;   in Loop: Header=BB2_2518 Depth=1
	s_mov_b32 s64, 0
	s_mov_b64 s[54:55], 0
                                        ; implicit-def: $sgpr56_sgpr57
                                        ; implicit-def: $sgpr58_sgpr59
	s_branch .LBB2_2570
.LBB2_2569:                             ;   in Loop: Header=BB2_2570 Depth=2
	s_or_b64 exec, exec, s[62:63]
	s_and_b64 vcc, exec, vcc
	s_or_b64 s[54:55], vcc, s[54:55]
	s_andn2_b64 vcc, s[56:57], exec
	s_and_b64 s[56:57], s[58:59], exec
	s_or_b64 s[56:57], vcc, s[56:57]
	s_andn2_b64 exec, exec, s[54:55]
	s_cbranch_execz .LBB2_2574
.LBB2_2570:                             ;   Parent Loop BB2_2518 Depth=1
                                        ; =>  This Inner Loop Header: Depth=2
	s_add_i32 s64, s64, 1
	s_cmpk_lg_i32 s64, 0x2710
	s_cselect_b64 s[60:61], -1, 0
	s_and_b64 vcc, exec, s[60:61]
                                        ; implicit-def: $sgpr62_sgpr63
	s_cbranch_vccnz .LBB2_2572
; %bb.2571:                             ;   in Loop: Header=BB2_2570 Depth=2
	s_trap 2
	ds_read_b64 v[2:3], v0
	s_andn2_b64 s[60:61], s[60:61], exec
	s_mov_b32 s64, 0
	s_mov_b64 s[62:63], -1
	s_waitcnt lgkmcnt(0)
	flat_load_dword v1, v[2:3] glc
	s_waitcnt vmcnt(0) lgkmcnt(0)
	buffer_invl2
	buffer_wbinvl1_vol
	v_cmp_eq_u32_e32 vcc, 0, v1
	s_and_b64 vcc, vcc, exec
	s_or_b64 s[60:61], s[60:61], vcc
.LBB2_2572:                             ;   in Loop: Header=BB2_2570 Depth=2
	s_andn2_b64 s[58:59], s[58:59], exec
	s_and_b64 s[62:63], s[62:63], exec
	s_mov_b64 vcc, -1
	s_or_b64 s[58:59], s[58:59], s[62:63]
	s_and_saveexec_b64 s[62:63], s[60:61]
	s_cbranch_execz .LBB2_2569
; %bb.2573:                             ;   in Loop: Header=BB2_2570 Depth=2
	s_sleep 1
	s_trap 2
	ds_read_b64 v[2:3], v0
	v_accvgpr_read_b32 v4, a22
	v_accvgpr_read_b32 v5, a23
	s_andn2_b64 s[58:59], s[58:59], exec
	s_waitcnt lgkmcnt(0)
	v_cmp_ge_u64_e32 vcc, v[2:3], v[4:5]
	s_orn2_b64 vcc, vcc, exec
	s_branch .LBB2_2569
.LBB2_2574:                             ;   in Loop: Header=BB2_2518 Depth=1
	s_or_b64 exec, exec, s[54:55]
	s_and_saveexec_b64 vcc, s[56:57]
	s_xor_b64 vcc, exec, vcc
	s_cbranch_execz .LBB2_2576
; %bb.2575:                             ;   in Loop: Header=BB2_2518 Depth=1
	v_mov_b32_e32 v1, 1
	ds_write_b32 v0, v1
	s_trap 2
.LBB2_2576:                             ;   in Loop: Header=BB2_2518 Depth=1
	s_or_b64 exec, exec, s[52:53]
	;;#ASMSTART
	s_wakeup
	;;#ASMEND
.LBB2_2577:                             ;   in Loop: Header=BB2_2518 Depth=1
	s_or_b64 exec, exec, s[50:51]
.LBB2_2578:                             ;   in Loop: Header=BB2_2518 Depth=1
	s_andn2_saveexec_b64 s[20:21], s[20:21]
	s_cbranch_execz .LBB2_2580
; %bb.2579:                             ;   in Loop: Header=BB2_2518 Depth=1
	s_waitcnt vmcnt(0) lgkmcnt(0)
	buffer_wbinvl1_vol
	s_barrier
.LBB2_2580:                             ;   in Loop: Header=BB2_2518 Depth=1
	s_or_b64 exec, exec, s[20:21]
.LBB2_2581:                             ;   in Loop: Header=BB2_2518 Depth=1
	s_or_b64 exec, exec, s[18:19]
	s_trap 2
	s_waitcnt lgkmcnt(0)
	ds_read_b64 v[2:3], v0
	v_min_u32_e32 v35, v35, v38
	s_waitcnt lgkmcnt(0)
	v_readfirstlane_b32 s18, v2
	v_readfirstlane_b32 s19, v3
	s_cmp_eq_u64 s[18:19], 0
	s_cselect_b64 s[18:19], -1, 0
	s_or_b64 s[20:21], s[18:19], s[18:19]
	s_mov_b64 s[18:19], 0
	s_and_b64 vcc, exec, s[20:21]
	s_cbranch_vccnz .LBB2_4902
; %bb.2582:                             ;   in Loop: Header=BB2_2518 Depth=1
	s_mov_b64 s[20:21], -1
	s_and_saveexec_b64 s[18:19], s[14:15]
	s_cbranch_execz .LBB2_2584
; %bb.2583:                             ;   in Loop: Header=BB2_2518 Depth=1
	ds_read_b32 v1, v0 offset:720
	s_waitcnt lgkmcnt(0)
	v_and_b32_e32 v1, 15, v1
	v_cmp_eq_u32_e32 vcc, 0, v1
	s_orn2_b64 s[20:21], vcc, exec
.LBB2_2584:                             ;   in Loop: Header=BB2_2518 Depth=1
	s_or_b64 exec, exec, s[18:19]
	s_and_saveexec_b64 s[18:19], s[16:17]
	s_cbranch_execz .LBB2_2586
; %bb.2585:                             ;   in Loop: Header=BB2_2518 Depth=1
	ds_read_b32 v1, v0 offset:784
	s_waitcnt lgkmcnt(0)
	v_and_b32_e32 v1, 15, v1
	v_cmp_eq_u32_e32 vcc, 0, v1
	s_and_b64 vcc, s[20:21], vcc
	s_andn2_b64 s[20:21], s[20:21], exec
	s_and_b64 vcc, vcc, exec
	s_or_b64 s[20:21], s[20:21], vcc
.LBB2_2586:                             ;   in Loop: Header=BB2_2518 Depth=1
	s_or_b64 exec, exec, s[18:19]
	v_cmp_eq_u32_e32 vcc, 0, v0
	s_xor_b64 s[20:21], s[20:21], -1
	v_cndmask_b32_e32 v39, 0, v35, vcc
	v_cndmask_b32_e64 v0, 0, 1, s[20:21]
	v_mov_b32_e32 v4, 0
	s_mov_b64 s[18:19], -1
	;;#ASMSTART
	;;#ASMEND
	v_cmp_ne_u32_e32 vcc, 0, v0
	v_mov_b32_e32 v5, v39
	v_accvgpr_read_b32 v6, a3
	v_mov_b32_e32 v2, v31
	s_cbranch_vccz .LBB2_2588
; %bb.2587:                             ;   in Loop: Header=BB2_2518 Depth=1
	s_and_saveexec_b64 s[20:21], s[18:19]
	s_cbranch_execnz .LBB2_4633
	s_branch .LBB2_4901
.LBB2_2588:                             ;   in Loop: Header=BB2_2518 Depth=1
	v_lshrrev_b32_e32 v0, 11, v39
	v_sub_u32_e32 v53, v0, v31
	v_accvgpr_write_b32 a33, v33
	v_accvgpr_write_b32 a32, v32
	;; [unrolled: 1-line block ×3, first 2 shown]
	v_cmp_lt_i32_e32 vcc, 0, v53
	s_and_saveexec_b64 s[20:21], vcc
	s_cbranch_execz .LBB2_3944
; %bb.2589:                             ;   in Loop: Header=BB2_2518 Depth=1
	s_trap 2
	ds_read_b128 v[0:3], v0
	v_accvgpr_read_b32 v4, a28
	v_accvgpr_read_b32 v5, a29
	v_accvgpr_write_b32 a40, v60
	v_accvgpr_write_b32 a43, v39
	s_waitcnt lgkmcnt(0)
	ds_read_b64 v[6:7], v0
	v_add_co_u32_e32 v40, vcc, v0, v4
	v_addc_co_u32_e32 v41, vcc, v1, v5, vcc
	v_add_co_u32_e32 v42, vcc, v2, v4
	s_waitcnt lgkmcnt(0)
	v_readfirstlane_b32 s18, v6
	v_addc_co_u32_e32 v43, vcc, v3, v5, vcc
	s_and_b32 s19, s18, 7
	v_add_co_u32_e32 v44, vcc, v6, v4
	s_flbit_i32_b32 s19, s19
	v_addc_co_u32_e32 v45, vcc, v7, v5, vcc
	s_min_u32 s19, s19, 32
	s_and_b32 vcc_lo, s18, 0x7f
	s_bfe_u32 vcc_hi, s18, 0x40003
	s_sub_i32 s50, s19, 28
	s_sub_i32 s19, 29, s19
	s_cmp_lt_u32 vcc_lo, 8
	s_cselect_b32 s19, s19, vcc_hi
	s_cselect_b32 vcc_hi, s50, 0
	s_lshl_b32 s18, s18, 24
	s_lshl_b32 s19, s19, 23
	v_lshlrev_b64 v[0:1], vcc_hi, v[6:7]
	s_and_b32 s18, s18, 0x80000000
	s_add_i32 s19, s19, 0x3c000000
	v_lshlrev_b32_e32 v0, 20, v0
	s_or_b32 s18, s18, s19
	v_and_b32_e32 v0, 0x700000, v0
	s_cmpk_lg_i32 vcc_lo, 0x7f
	v_or_b32_e32 v0, s18, v0
	s_cselect_b64 vcc, -1, 0
	v_mov_b32_e32 v1, 0x7f800001
	v_cndmask_b32_e32 v0, v1, v0, vcc
	v_accvgpr_write_b32 a39, v35
	v_accvgpr_write_b32 a42, v38
	;; [unrolled: 1-line block ×10, first 2 shown]
	s_mov_b64 s[50:51], 0
	s_branch .LBB2_2591
.LBB2_2590:                             ;   in Loop: Header=BB2_2591 Depth=2
	s_or_b64 exec, exec, s[18:19]
	v_lshlrev_b32_e32 v3, 8, v24
	v_perm_b32 v3, v3, v61, s72
	v_lshl_or_b32 v3, v38, 16, v3
	v_lshl_or_b32 v47, v6, 24, v3
	v_and_b32_e32 v3, 0xff, v27
	v_lshlrev_b32_e32 v1, 8, v1
	v_lshlrev_b32_e32 v6, 24, v60
	;; [unrolled: 1-line block ×3, first 2 shown]
	v_perm_b32 v1, v1, v55, s72
	v_or3_b32 v46, v6, v3, v1
	v_and_b32_e32 v1, 0xff, v8
	v_lshlrev_b32_e32 v3, 24, v4
	v_lshlrev_b32_e32 v4, 8, v7
	v_lshlrev_b32_e32 v1, 16, v1
	v_perm_b32 v4, v4, v5, s72
	v_or3_b32 v48, v3, v1, v4
	v_lshlrev_b32_e32 v1, 8, v15
	v_perm_b32 v1, v1, v9, s72
	v_lshl_or_b32 v1, v18, 16, v1
	v_lshl_or_b32 v49, v16, 24, v1
	v_lshlrev_b32_e32 v1, 8, v14
	v_perm_b32 v1, v1, v21, s72
	v_lshl_or_b32 v1, v31, 16, v1
	v_lshl_or_b32 v5, v11, 24, v1
	v_and_b32_e32 v1, 0xff, v25
	v_lshlrev_b32_e32 v4, 8, v20
	v_lshlrev_b32_e32 v3, 24, v30
	;; [unrolled: 1-line block ×3, first 2 shown]
	v_perm_b32 v4, v4, v17, s72
	v_or3_b32 v4, v3, v1, v4
	v_and_b32_e32 v1, 0xff, v34
	v_lshlrev_b32_e32 v3, 8, v33
	v_lshlrev_b32_e32 v0, 24, v0
	;; [unrolled: 1-line block ×3, first 2 shown]
	v_perm_b32 v3, v3, v32, s72
	v_or3_b32 v6, v0, v1, v3
	v_lshlrev_b32_e32 v0, 8, v10
	v_perm_b32 v0, v0, v19, s72
	v_lshl_or_b32 v0, v26, 16, v0
	v_accvgpr_read_b32 v1, a30
	v_lshl_or_b32 v7, v2, 24, v0
	v_add_co_u32_e32 v40, vcc, v40, v1
	v_accvgpr_read_b32 v2, a31
	v_addc_co_u32_e32 v41, vcc, v41, v2, vcc
	v_add_co_u32_e32 v42, vcc, v42, v1
	v_accvgpr_read_b32 v0, a26
	v_addc_co_u32_e32 v43, vcc, v43, v2, vcc
	v_sub_u32_e32 v53, v53, v0
	v_cmp_gt_i32_e32 vcc, 1, v53
	global_store_dwordx4 v[44:45], v[46:49], off glc slc
	global_store_dwordx4 v[44:45], v[4:7], off offset:1024 glc slc
	s_or_b64 s[50:51], vcc, s[50:51]
	v_add_co_u32_e32 v44, vcc, v44, v1
	v_addc_co_u32_e32 v45, vcc, v45, v2, vcc
	s_andn2_b64 exec, exec, s[50:51]
	s_cbranch_execz .LBB2_3943
.LBB2_2591:                             ;   Parent Loop BB2_2518 Depth=1
                                        ; =>  This Inner Loop Header: Depth=2
	v_accvgpr_read_b32 v0, a44
	v_cmp_lt_i16_sdwa s[18:19], v0, s69 src0_sel:BYTE_0 src1_sel:DWORD
	s_and_b64 vcc, exec, s[18:19]
	s_cbranch_vccnz .LBB2_2595
; %bb.2592:                             ;   in Loop: Header=BB2_2591 Depth=2
	v_cmp_eq_u16_sdwa vcc, v0, s69 src0_sel:BYTE_0 src1_sel:DWORD
	s_mov_b64 s[18:19], -1
	s_and_b64 vcc, exec, vcc
                                        ; implicit-def: $sgpr52
	s_cbranch_vccz .LBB2_2594
; %bb.2593:                             ;   in Loop: Header=BB2_2591 Depth=2
	s_mov_b64 s[18:19], 0
	s_brev_b32 s52, 1
.LBB2_2594:                             ;   in Loop: Header=BB2_2591 Depth=2
	s_branch .LBB2_2597
.LBB2_2595:                             ;   in Loop: Header=BB2_2591 Depth=2
	s_mov_b64 s[18:19], 0
                                        ; implicit-def: $sgpr52
	s_cbranch_execz .LBB2_2597
; %bb.2596:                             ;   in Loop: Header=BB2_2591 Depth=2
	v_cmp_ne_u16_sdwa s[18:19], v0, v37 src0_sel:BYTE_0 src1_sel:DWORD
	s_mov_b32 s52, 0
.LBB2_2597:                             ;   in Loop: Header=BB2_2591 Depth=2
	s_andn2_b64 vcc, exec, s[18:19]
	v_mov_b32_e32 v7, s52
	s_cbranch_vccnz .LBB2_2599
; %bb.2598:                             ;   in Loop: Header=BB2_2591 Depth=2
	v_accvgpr_read_b32 v7, a45
.LBB2_2599:                             ;   in Loop: Header=BB2_2591 Depth=2
	global_load_dwordx4 v[10:13], v[40:41], off glc slc
	v_mov_b32_e32 v0, 0
	s_waitcnt vmcnt(0)
	v_cmp_ne_u16_sdwa vcc, v10, v37 src0_sel:BYTE_0 src1_sel:DWORD
	s_and_saveexec_b64 s[18:19], vcc
	s_cbranch_execz .LBB2_2605
; %bb.2600:                             ;   in Loop: Header=BB2_2591 Depth=2
	v_cmp_ne_u16_sdwa vcc, v10, s69 src0_sel:BYTE_0 src1_sel:DWORD
	v_bfrev_b32_e32 v0, 1
	s_and_saveexec_b64 s[52:53], vcc
	s_cbranch_execz .LBB2_2604
; %bb.2601:                             ;   in Loop: Header=BB2_2591 Depth=2
	v_and_b32_e32 v1, 0x7f, v10
	v_cmp_ne_u32_e32 vcc, s68, v1
	v_mov_b32_e32 v0, 0x7f800001
	s_and_saveexec_b64 s[54:55], vcc
	s_cbranch_execz .LBB2_2603
; %bb.2602:                             ;   in Loop: Header=BB2_2591 Depth=2
	v_and_b32_e32 v0, 7, v10
	v_ffbh_u32_e32 v0, v0
	v_min_u32_e32 v0, 32, v0
	v_lshrrev_b32_e32 v2, 3, v1
	v_subrev_u32_e32 v3, 28, v0
	v_sub_u32_e32 v0, 29, v0
	v_cmp_gt_u32_e32 vcc, 8, v1
	v_cndmask_b32_e32 v2, v2, v0, vcc
	v_cndmask_b32_e32 v0, 0, v3, vcc
	v_lshlrev_b64 v[0:1], v0, v[10:11]
	v_lshlrev_b32_e32 v0, 20, v0
	v_lshlrev_b32_e32 v1, 24, v10
	v_and_b32_e32 v0, 0x700000, v0
	v_and_b32_e32 v1, 0x80000000, v1
	v_lshl_add_u32 v2, v2, 23, v50
	v_or3_b32 v0, v1, v2, v0
.LBB2_2603:                             ;   in Loop: Header=BB2_2591 Depth=2
	s_or_b64 exec, exec, s[54:55]
.LBB2_2604:                             ;   in Loop: Header=BB2_2591 Depth=2
	s_or_b64 exec, exec, s[52:53]
.LBB2_2605:                             ;   in Loop: Header=BB2_2591 Depth=2
	s_or_b64 exec, exec, s[18:19]
	v_mul_f32_e32 v2, v7, v0
	v_and_b32_sdwa v0, v2, s69 dst_sel:DWORD dst_unused:UNUSED_PAD src0_sel:BYTE_3 src1_sel:DWORD
	v_and_b32_e32 v4, 0x7f800000, v2
	v_mov_b32_e32 v5, v37
	v_and_b32_e32 v36, 0x7fffff, v2
	v_or_b32_e32 v1, 0x7e, v0
	v_cmp_ne_u64_e32 vcc, s[38:39], v[4:5]
	s_and_saveexec_b64 s[18:19], vcc
	s_xor_b64 s[52:53], exec, s[18:19]
	s_cbranch_execz .LBB2_2615
; %bb.2606:                             ;   in Loop: Header=BB2_2591 Depth=2
	v_and_b32_e32 v4, 0x7fffffff, v2
	v_mov_b32_e32 v5, v37
	v_cmp_gt_u64_e32 vcc, s[40:41], v[4:5]
	s_and_saveexec_b64 s[54:55], vcc
	s_cbranch_execz .LBB2_2614
; %bb.2607:                             ;   in Loop: Header=BB2_2591 Depth=2
	v_cmp_ne_u32_e32 vcc, 0, v2
	v_mov_b32_e32 v1, 0
	s_and_saveexec_b64 s[56:57], vcc
	s_cbranch_execz .LBB2_2613
; %bb.2608:                             ;   in Loop: Header=BB2_2591 Depth=2
	v_bfe_u32 v1, v2, 23, 8
	v_sub_u32_e32 v3, 0x79, v1
	v_cmp_gt_u32_e32 vcc, s71, v1
	v_add_u32_e32 v2, 0xffffff81, v1
	v_cndmask_b32_e32 v3, 0, v3, vcc
	v_cmp_eq_u32_e32 vcc, 0, v1
	v_mov_b32_e32 v1, 0xffffff82
	v_cndmask_b32_e32 v1, v2, v1, vcc
	v_mov_b32_e32 v2, 0x78
	v_or_b32_e32 v4, 0x800000, v36
	v_cndmask_b32_e32 v5, v3, v2, vcc
	v_cndmask_b32_e32 v36, v4, v36, vcc
	v_add_u32_e32 v2, 20, v5
	v_lshlrev_b64 v[2:3], v2, -1
	v_add_u32_e32 v4, 19, v5
	v_lshrrev_b64 v[14:15], v5, v[36:37]
	v_not_b32_e32 v3, v3
	v_not_b32_e32 v2, v2
	v_lshlrev_b64 v[8:9], v4, 1
	v_lshrrev_b32_e32 v4, 23, v14
	v_and_b32_e32 v3, 0, v3
	v_and_b32_e32 v2, v36, v2
	v_add3_u32 v5, v5, v1, v4
	v_bfe_u32 v1, v14, 20, 1
	v_add_u32_e32 v1, -1, v1
	v_cmp_eq_u64_e32 vcc, v[2:3], v[8:9]
	v_cndmask_b32_e32 v1, 0, v1, vcc
	v_add_u32_e32 v1, v1, v14
	v_and_b32_e32 v1, 0xfffff, v1
	v_add_co_u32_e32 v2, vcc, v1, v14
	v_add_u32_e32 v4, 6, v5
	v_addc_co_u32_e32 v3, vcc, 0, v15, vcc
	v_cmp_ne_u32_e32 vcc, 0, v4
                                        ; implicit-def: $vgpr1
	s_and_saveexec_b64 s[18:19], vcc
	s_xor_b64 s[18:19], exec, s[18:19]
; %bb.2609:                             ;   in Loop: Header=BB2_2591 Depth=2
	v_add_u32_e32 v1, 7, v5
	v_cmp_lt_u64_e32 vcc, s[44:45], v[2:3]
	v_cndmask_b32_e32 v1, v4, v1, vcc
	v_cndmask_b32_e64 v4, 0, 1, vcc
	v_lshrrev_b64 v[2:3], v4, v[2:3]
; %bb.2610:                             ;   in Loop: Header=BB2_2591 Depth=2
	s_andn2_saveexec_b64 s[18:19], s[18:19]
; %bb.2611:                             ;   in Loop: Header=BB2_2591 Depth=2
	v_bfe_u32 v1, v2, 23, 1
; %bb.2612:                             ;   in Loop: Header=BB2_2591 Depth=2
	s_or_b64 exec, exec, s[18:19]
	v_lshrrev_b64 v[2:3], 20, v[2:3]
	v_cmp_gt_i32_e32 vcc, 16, v1
	v_cndmask_b32_e32 v3, 0, v3, vcc
	v_cndmask_b32_e32 v2, 7, v2, vcc
	v_cmp_eq_u32_e32 vcc, 0, v1
	v_min_i32_e32 v1, 15, v1
	v_cmp_eq_u64_e64 s[18:19], 0, v[2:3]
	v_lshlrev_b32_e32 v1, 3, v1
	v_and_or_b32 v1, v2, 7, v1
	s_and_b64 s[18:19], vcc, s[18:19]
	v_cndmask_b32_e64 v1, v1, 0, s[18:19]
	v_or_b32_e32 v1, v1, v0
.LBB2_2613:                             ;   in Loop: Header=BB2_2591 Depth=2
	s_or_b64 exec, exec, s[56:57]
.LBB2_2614:                             ;   in Loop: Header=BB2_2591 Depth=2
	s_or_b64 exec, exec, s[54:55]
                                        ; implicit-def: $vgpr2
.LBB2_2615:                             ;   in Loop: Header=BB2_2591 Depth=2
	s_andn2_saveexec_b64 s[18:19], s[52:53]
; %bb.2616:                             ;   in Loop: Header=BB2_2591 Depth=2
	v_or_b32_sdwa v0, v2, s68 dst_sel:DWORD dst_unused:UNUSED_PAD src0_sel:BYTE_3 src1_sel:DWORD
	v_cmp_eq_u64_e32 vcc, 0, v[36:37]
	v_cndmask_b32_e32 v1, v0, v1, vcc
; %bb.2617:                             ;   in Loop: Header=BB2_2591 Depth=2
	s_or_b64 exec, exec, s[18:19]
	v_lshrrev_b16_e32 v2, 8, v10
	v_cmp_ne_u16_e32 vcc, 0, v2
	v_mov_b32_e32 v0, 0
	s_and_saveexec_b64 s[18:19], vcc
	s_cbranch_execz .LBB2_2623
; %bb.2618:                             ;   in Loop: Header=BB2_2591 Depth=2
	v_cmp_ne_u16_e32 vcc, s69, v2
	v_bfrev_b32_e32 v0, 1
	s_and_saveexec_b64 s[52:53], vcc
	s_cbranch_execz .LBB2_2622
; %bb.2619:                             ;   in Loop: Header=BB2_2591 Depth=2
	v_and_b32_e32 v3, 0x7f, v2
	v_cmp_ne_u32_e32 vcc, s68, v3
	v_mov_b32_e32 v0, 0x7f800001
	s_and_saveexec_b64 s[54:55], vcc
	s_cbranch_execz .LBB2_2621
; %bb.2620:                             ;   in Loop: Header=BB2_2591 Depth=2
	v_and_b32_e32 v0, 7, v2
	v_ffbh_u32_e32 v4, v0
	v_min_u32_e32 v8, 32, v4
	v_subrev_u32_e32 v4, 28, v8
	v_lshlrev_b64 v[4:5], v4, v[2:3]
	v_lshrrev_b32_e32 v6, 3, v3
	v_sub_u32_e32 v2, 29, v8
	v_and_b32_e32 v4, 7, v4
	v_cmp_gt_u32_e32 vcc, 8, v3
	v_cndmask_b32_e32 v2, v6, v2, vcc
	v_cndmask_b32_e32 v0, v0, v4, vcc
	v_lshlrev_b32_e32 v3, 16, v10
	v_lshlrev_b32_e32 v0, 20, v0
	v_and_b32_e32 v3, 0x80000000, v3
	v_lshl_add_u32 v2, v2, 23, v50
	v_or3_b32 v0, v3, v2, v0
.LBB2_2621:                             ;   in Loop: Header=BB2_2591 Depth=2
	s_or_b64 exec, exec, s[54:55]
.LBB2_2622:                             ;   in Loop: Header=BB2_2591 Depth=2
	s_or_b64 exec, exec, s[52:53]
.LBB2_2623:                             ;   in Loop: Header=BB2_2591 Depth=2
	s_or_b64 exec, exec, s[18:19]
	v_mul_f32_e32 v2, v7, v0
	v_and_b32_sdwa v0, v2, s69 dst_sel:DWORD dst_unused:UNUSED_PAD src0_sel:BYTE_3 src1_sel:DWORD
	v_and_b32_e32 v4, 0x7f800000, v2
	v_mov_b32_e32 v5, v37
	v_and_b32_e32 v36, 0x7fffff, v2
	v_or_b32_e32 v9, 0x7e, v0
	v_cmp_ne_u64_e32 vcc, s[38:39], v[4:5]
	s_and_saveexec_b64 s[18:19], vcc
	s_xor_b64 s[52:53], exec, s[18:19]
	s_cbranch_execz .LBB2_2633
; %bb.2624:                             ;   in Loop: Header=BB2_2591 Depth=2
	v_and_b32_e32 v4, 0x7fffffff, v2
	v_mov_b32_e32 v5, v37
	v_cmp_gt_u64_e32 vcc, s[40:41], v[4:5]
	s_and_saveexec_b64 s[54:55], vcc
	s_cbranch_execz .LBB2_2632
; %bb.2625:                             ;   in Loop: Header=BB2_2591 Depth=2
	v_cmp_ne_u32_e32 vcc, 0, v2
	v_mov_b32_e32 v9, 0
	s_and_saveexec_b64 s[56:57], vcc
	s_cbranch_execz .LBB2_2631
; %bb.2626:                             ;   in Loop: Header=BB2_2591 Depth=2
	v_bfe_u32 v2, v2, 23, 8
	v_sub_u32_e32 v4, 0x79, v2
	v_cmp_gt_u32_e32 vcc, s71, v2
	v_add_u32_e32 v3, 0xffffff81, v2
	v_cndmask_b32_e32 v4, 0, v4, vcc
	v_cmp_eq_u32_e32 vcc, 0, v2
	v_mov_b32_e32 v2, 0xffffff82
	v_cndmask_b32_e32 v6, v3, v2, vcc
	v_mov_b32_e32 v2, 0x78
	v_or_b32_e32 v5, 0x800000, v36
	v_cndmask_b32_e32 v4, v4, v2, vcc
	v_cndmask_b32_e32 v36, v5, v36, vcc
	v_add_u32_e32 v2, 20, v4
	v_lshlrev_b64 v[2:3], v2, -1
	v_add_u32_e32 v5, 19, v4
	v_lshrrev_b64 v[14:15], v4, v[36:37]
	v_not_b32_e32 v3, v3
	v_not_b32_e32 v2, v2
	v_lshlrev_b64 v[8:9], v5, 1
	v_lshrrev_b32_e32 v5, 23, v14
	v_and_b32_e32 v3, 0, v3
	v_and_b32_e32 v2, v36, v2
	v_add3_u32 v6, v4, v6, v5
	v_bfe_u32 v4, v14, 20, 1
	v_add_u32_e32 v4, -1, v4
	v_cmp_eq_u64_e32 vcc, v[2:3], v[8:9]
	v_cndmask_b32_e32 v2, 0, v4, vcc
	v_add_u32_e32 v2, v2, v14
	v_and_b32_e32 v2, 0xfffff, v2
	v_add_co_u32_e32 v2, vcc, v2, v14
	v_add_u32_e32 v5, 6, v6
	v_addc_co_u32_e32 v3, vcc, 0, v15, vcc
	v_cmp_ne_u32_e32 vcc, 0, v5
                                        ; implicit-def: $vgpr4
	s_and_saveexec_b64 s[18:19], vcc
	s_xor_b64 s[18:19], exec, s[18:19]
; %bb.2627:                             ;   in Loop: Header=BB2_2591 Depth=2
	v_add_u32_e32 v4, 7, v6
	v_cmp_lt_u64_e32 vcc, s[44:45], v[2:3]
	v_cndmask_b32_e32 v4, v5, v4, vcc
	v_cndmask_b32_e64 v5, 0, 1, vcc
	v_lshrrev_b64 v[2:3], v5, v[2:3]
; %bb.2628:                             ;   in Loop: Header=BB2_2591 Depth=2
	s_andn2_saveexec_b64 s[18:19], s[18:19]
; %bb.2629:                             ;   in Loop: Header=BB2_2591 Depth=2
	v_bfe_u32 v4, v2, 23, 1
; %bb.2630:                             ;   in Loop: Header=BB2_2591 Depth=2
	s_or_b64 exec, exec, s[18:19]
	v_lshrrev_b64 v[2:3], 20, v[2:3]
	v_cmp_gt_i32_e32 vcc, 16, v4
	v_cndmask_b32_e32 v3, 0, v3, vcc
	v_cndmask_b32_e32 v2, 7, v2, vcc
	v_cmp_eq_u64_e64 s[18:19], 0, v[2:3]
	v_min_i32_e32 v3, 15, v4
	v_cmp_eq_u32_e32 vcc, 0, v4
	v_lshlrev_b32_e32 v3, 3, v3
	v_and_or_b32 v2, v2, 7, v3
	s_and_b64 s[18:19], vcc, s[18:19]
	v_cndmask_b32_e64 v2, v2, 0, s[18:19]
	v_or_b32_e32 v9, v2, v0
.LBB2_2631:                             ;   in Loop: Header=BB2_2591 Depth=2
	s_or_b64 exec, exec, s[56:57]
.LBB2_2632:                             ;   in Loop: Header=BB2_2591 Depth=2
	s_or_b64 exec, exec, s[54:55]
                                        ; implicit-def: $vgpr2
.LBB2_2633:                             ;   in Loop: Header=BB2_2591 Depth=2
	s_andn2_saveexec_b64 s[18:19], s[52:53]
; %bb.2634:                             ;   in Loop: Header=BB2_2591 Depth=2
	v_or_b32_sdwa v0, v2, s68 dst_sel:DWORD dst_unused:UNUSED_PAD src0_sel:BYTE_3 src1_sel:DWORD
	v_cmp_eq_u64_e32 vcc, 0, v[36:37]
	v_cndmask_b32_e32 v9, v0, v9, vcc
; %bb.2635:                             ;   in Loop: Header=BB2_2591 Depth=2
	s_or_b64 exec, exec, s[18:19]
	v_lshrrev_b32_e32 v2, 16, v10
	v_cmp_ne_u16_sdwa vcc, v2, v37 src0_sel:BYTE_0 src1_sel:DWORD
	v_mov_b32_e32 v0, 0
	s_and_saveexec_b64 s[18:19], vcc
	s_cbranch_execz .LBB2_2641
; %bb.2636:                             ;   in Loop: Header=BB2_2591 Depth=2
	v_cmp_ne_u16_sdwa vcc, v2, s69 src0_sel:BYTE_0 src1_sel:DWORD
	v_bfrev_b32_e32 v0, 1
	s_and_saveexec_b64 s[52:53], vcc
	s_cbranch_execz .LBB2_2640
; %bb.2637:                             ;   in Loop: Header=BB2_2591 Depth=2
	v_bfe_u32 v3, v10, 16, 7
	v_cmp_ne_u32_e32 vcc, s68, v3
	v_mov_b32_e32 v0, 0x7f800001
	s_and_saveexec_b64 s[54:55], vcc
	s_cbranch_execz .LBB2_2639
; %bb.2638:                             ;   in Loop: Header=BB2_2591 Depth=2
	v_and_b32_e32 v0, 7, v2
	v_ffbh_u32_e32 v4, v0
	v_min_u32_e32 v8, 32, v4
	v_subrev_u32_e32 v4, 28, v8
	v_lshlrev_b64 v[4:5], v4, v[2:3]
	v_lshrrev_b32_e32 v6, 3, v3
	v_sub_u32_e32 v5, 29, v8
	v_and_b32_e32 v4, 7, v4
	v_cmp_gt_u32_e32 vcc, 8, v3
	v_cndmask_b32_e32 v3, v6, v5, vcc
	v_cndmask_b32_e32 v0, v0, v4, vcc
	v_lshlrev_b32_e32 v2, 24, v2
	v_lshlrev_b32_e32 v0, 20, v0
	v_and_b32_e32 v2, 0x80000000, v2
	v_lshl_add_u32 v3, v3, 23, v50
	v_or3_b32 v0, v2, v3, v0
.LBB2_2639:                             ;   in Loop: Header=BB2_2591 Depth=2
	s_or_b64 exec, exec, s[54:55]
.LBB2_2640:                             ;   in Loop: Header=BB2_2591 Depth=2
	s_or_b64 exec, exec, s[52:53]
.LBB2_2641:                             ;   in Loop: Header=BB2_2591 Depth=2
	s_or_b64 exec, exec, s[18:19]
	v_mul_f32_e32 v3, v7, v0
	v_and_b32_sdwa v0, v3, s69 dst_sel:DWORD dst_unused:UNUSED_PAD src0_sel:BYTE_3 src1_sel:DWORD
	v_and_b32_e32 v4, 0x7f800000, v3
	v_mov_b32_e32 v5, v37
	v_and_b32_e32 v36, 0x7fffff, v3
	v_or_b32_e32 v2, 0x7e, v0
	v_cmp_ne_u64_e32 vcc, s[38:39], v[4:5]
	s_and_saveexec_b64 s[18:19], vcc
	s_xor_b64 s[52:53], exec, s[18:19]
	s_cbranch_execz .LBB2_2651
; %bb.2642:                             ;   in Loop: Header=BB2_2591 Depth=2
	v_and_b32_e32 v4, 0x7fffffff, v3
	v_mov_b32_e32 v5, v37
	v_cmp_gt_u64_e32 vcc, s[40:41], v[4:5]
	s_and_saveexec_b64 s[54:55], vcc
	s_cbranch_execz .LBB2_2650
; %bb.2643:                             ;   in Loop: Header=BB2_2591 Depth=2
	v_cmp_ne_u32_e32 vcc, 0, v3
	v_mov_b32_e32 v2, 0
	s_and_saveexec_b64 s[56:57], vcc
	s_cbranch_execz .LBB2_2649
; %bb.2644:                             ;   in Loop: Header=BB2_2591 Depth=2
	v_bfe_u32 v2, v3, 23, 8
	v_sub_u32_e32 v4, 0x79, v2
	v_cmp_gt_u32_e32 vcc, s71, v2
	v_add_u32_e32 v3, 0xffffff81, v2
	v_cndmask_b32_e32 v4, 0, v4, vcc
	v_cmp_eq_u32_e32 vcc, 0, v2
	v_mov_b32_e32 v2, 0xffffff82
	v_cndmask_b32_e32 v6, v3, v2, vcc
	v_mov_b32_e32 v2, 0x78
	v_or_b32_e32 v5, 0x800000, v36
	v_cndmask_b32_e32 v4, v4, v2, vcc
	v_cndmask_b32_e32 v36, v5, v36, vcc
	v_add_u32_e32 v2, 20, v4
	v_lshlrev_b64 v[2:3], v2, -1
	v_add_u32_e32 v5, 19, v4
	v_lshrrev_b64 v[16:17], v4, v[36:37]
	v_not_b32_e32 v3, v3
	v_not_b32_e32 v2, v2
	v_lshlrev_b64 v[14:15], v5, 1
	v_lshrrev_b32_e32 v5, 23, v16
	v_and_b32_e32 v3, 0, v3
	v_and_b32_e32 v2, v36, v2
	v_add3_u32 v6, v4, v6, v5
	v_bfe_u32 v4, v16, 20, 1
	v_add_u32_e32 v4, -1, v4
	v_cmp_eq_u64_e32 vcc, v[2:3], v[14:15]
	v_cndmask_b32_e32 v2, 0, v4, vcc
	v_add_u32_e32 v2, v2, v16
	v_and_b32_e32 v2, 0xfffff, v2
	v_add_co_u32_e32 v2, vcc, v2, v16
	v_add_u32_e32 v5, 6, v6
	v_addc_co_u32_e32 v3, vcc, 0, v17, vcc
	v_cmp_ne_u32_e32 vcc, 0, v5
                                        ; implicit-def: $vgpr4
	s_and_saveexec_b64 s[18:19], vcc
	s_xor_b64 s[18:19], exec, s[18:19]
; %bb.2645:                             ;   in Loop: Header=BB2_2591 Depth=2
	v_add_u32_e32 v4, 7, v6
	v_cmp_lt_u64_e32 vcc, s[44:45], v[2:3]
	v_cndmask_b32_e32 v4, v5, v4, vcc
	v_cndmask_b32_e64 v5, 0, 1, vcc
	v_lshrrev_b64 v[2:3], v5, v[2:3]
; %bb.2646:                             ;   in Loop: Header=BB2_2591 Depth=2
	s_andn2_saveexec_b64 s[18:19], s[18:19]
; %bb.2647:                             ;   in Loop: Header=BB2_2591 Depth=2
	v_bfe_u32 v4, v2, 23, 1
; %bb.2648:                             ;   in Loop: Header=BB2_2591 Depth=2
	s_or_b64 exec, exec, s[18:19]
	v_lshrrev_b64 v[2:3], 20, v[2:3]
	v_cmp_gt_i32_e32 vcc, 16, v4
	v_cndmask_b32_e32 v3, 0, v3, vcc
	v_cndmask_b32_e32 v2, 7, v2, vcc
	v_cmp_eq_u64_e64 s[18:19], 0, v[2:3]
	v_min_i32_e32 v3, 15, v4
	v_cmp_eq_u32_e32 vcc, 0, v4
	v_lshlrev_b32_e32 v3, 3, v3
	v_and_or_b32 v2, v2, 7, v3
	s_and_b64 s[18:19], vcc, s[18:19]
	v_cndmask_b32_e64 v2, v2, 0, s[18:19]
	v_or_b32_e32 v2, v2, v0
.LBB2_2649:                             ;   in Loop: Header=BB2_2591 Depth=2
	s_or_b64 exec, exec, s[56:57]
.LBB2_2650:                             ;   in Loop: Header=BB2_2591 Depth=2
	s_or_b64 exec, exec, s[54:55]
                                        ; implicit-def: $vgpr3
.LBB2_2651:                             ;   in Loop: Header=BB2_2591 Depth=2
	s_andn2_saveexec_b64 s[18:19], s[52:53]
; %bb.2652:                             ;   in Loop: Header=BB2_2591 Depth=2
	v_or_b32_sdwa v0, v3, s68 dst_sel:DWORD dst_unused:UNUSED_PAD src0_sel:BYTE_3 src1_sel:DWORD
	v_cmp_eq_u64_e32 vcc, 0, v[36:37]
	v_cndmask_b32_e32 v2, v0, v2, vcc
; %bb.2653:                             ;   in Loop: Header=BB2_2591 Depth=2
	s_or_b64 exec, exec, s[18:19]
	v_cmp_lt_u32_e32 vcc, s43, v10
	v_mov_b32_e32 v0, 0
	s_and_saveexec_b64 s[18:19], vcc
	s_cbranch_execz .LBB2_2659
; %bb.2654:                             ;   in Loop: Header=BB2_2591 Depth=2
	v_lshrrev_b32_e32 v14, 24, v10
	v_cmp_ne_u32_e32 vcc, s69, v14
	v_bfrev_b32_e32 v0, 1
	s_and_saveexec_b64 s[52:53], vcc
	s_cbranch_execz .LBB2_2658
; %bb.2655:                             ;   in Loop: Header=BB2_2591 Depth=2
	v_bfe_u32 v3, v10, 24, 7
	v_cmp_ne_u32_e32 vcc, s68, v3
	v_mov_b32_e32 v0, 0x7f800001
	s_and_saveexec_b64 s[54:55], vcc
	s_cbranch_execz .LBB2_2657
; %bb.2656:                             ;   in Loop: Header=BB2_2591 Depth=2
	v_and_b32_e32 v0, 7, v14
	v_ffbh_u32_e32 v4, v0
	v_min_u32_e32 v8, 32, v4
	v_subrev_u32_e32 v4, 28, v8
	v_lshlrev_b64 v[4:5], v4, v[14:15]
	v_lshrrev_b32_e32 v6, 3, v3
	v_sub_u32_e32 v5, 29, v8
	v_and_b32_e32 v4, 7, v4
	v_cmp_gt_u32_e32 vcc, 8, v3
	v_cndmask_b32_e32 v3, v6, v5, vcc
	v_cndmask_b32_e32 v0, v0, v4, vcc
	v_lshlrev_b32_e32 v4, 24, v14
	v_lshlrev_b32_e32 v0, 20, v0
	v_and_b32_e32 v4, 0x80000000, v4
	v_lshl_add_u32 v3, v3, 23, v50
	v_or3_b32 v0, v4, v3, v0
.LBB2_2657:                             ;   in Loop: Header=BB2_2591 Depth=2
	s_or_b64 exec, exec, s[54:55]
.LBB2_2658:                             ;   in Loop: Header=BB2_2591 Depth=2
	s_or_b64 exec, exec, s[52:53]
.LBB2_2659:                             ;   in Loop: Header=BB2_2591 Depth=2
	s_or_b64 exec, exec, s[18:19]
	v_mul_f32_e32 v3, v7, v0
	v_and_b32_sdwa v0, v3, s69 dst_sel:DWORD dst_unused:UNUSED_PAD src0_sel:BYTE_3 src1_sel:DWORD
	v_and_b32_e32 v4, 0x7f800000, v3
	v_mov_b32_e32 v5, v37
	v_and_b32_e32 v36, 0x7fffff, v3
	v_or_b32_e32 v38, 0x7e, v0
	v_cmp_ne_u64_e32 vcc, s[38:39], v[4:5]
	s_and_saveexec_b64 s[18:19], vcc
	s_xor_b64 s[52:53], exec, s[18:19]
	s_cbranch_execz .LBB2_2669
; %bb.2660:                             ;   in Loop: Header=BB2_2591 Depth=2
	v_and_b32_e32 v4, 0x7fffffff, v3
	v_mov_b32_e32 v5, v37
	v_cmp_gt_u64_e32 vcc, s[40:41], v[4:5]
	s_and_saveexec_b64 s[54:55], vcc
	s_cbranch_execz .LBB2_2668
; %bb.2661:                             ;   in Loop: Header=BB2_2591 Depth=2
	v_cmp_ne_u32_e32 vcc, 0, v3
	v_mov_b32_e32 v38, 0
	s_and_saveexec_b64 s[56:57], vcc
	s_cbranch_execz .LBB2_2667
; %bb.2662:                             ;   in Loop: Header=BB2_2591 Depth=2
	v_bfe_u32 v3, v3, 23, 8
	v_sub_u32_e32 v5, 0x79, v3
	v_cmp_gt_u32_e32 vcc, s71, v3
	v_add_u32_e32 v4, 0xffffff81, v3
	v_cndmask_b32_e32 v5, 0, v5, vcc
	v_cmp_eq_u32_e32 vcc, 0, v3
	v_mov_b32_e32 v3, 0xffffff82
	v_cndmask_b32_e32 v3, v4, v3, vcc
	v_mov_b32_e32 v4, 0x78
	v_cndmask_b32_e32 v8, v5, v4, vcc
	v_add_u32_e32 v4, 20, v8
	v_or_b32_e32 v6, 0x800000, v36
	v_lshlrev_b64 v[4:5], v4, -1
	v_cndmask_b32_e32 v36, v6, v36, vcc
	v_not_b32_e32 v4, v4
	v_and_b32_e32 v14, v36, v4
	v_add_u32_e32 v4, 19, v8
	v_lshrrev_b64 v[18:19], v8, v[36:37]
	v_not_b32_e32 v5, v5
	v_lshlrev_b64 v[16:17], v4, 1
	v_lshrrev_b32_e32 v4, 23, v18
	v_and_b32_e32 v15, 0, v5
	v_add3_u32 v5, v8, v3, v4
	v_bfe_u32 v3, v18, 20, 1
	v_add_u32_e32 v3, -1, v3
	v_cmp_eq_u64_e32 vcc, v[14:15], v[16:17]
	v_cndmask_b32_e32 v3, 0, v3, vcc
	v_add_u32_e32 v3, v3, v18
	v_and_b32_e32 v3, 0xfffff, v3
	v_add_co_u32_e32 v14, vcc, v3, v18
	v_add_u32_e32 v4, 6, v5
	v_addc_co_u32_e32 v15, vcc, 0, v19, vcc
	v_cmp_ne_u32_e32 vcc, 0, v4
                                        ; implicit-def: $vgpr3
	s_and_saveexec_b64 s[18:19], vcc
	s_xor_b64 s[18:19], exec, s[18:19]
; %bb.2663:                             ;   in Loop: Header=BB2_2591 Depth=2
	v_add_u32_e32 v3, 7, v5
	v_cmp_lt_u64_e32 vcc, s[44:45], v[14:15]
	v_cndmask_b32_e32 v3, v4, v3, vcc
	v_cndmask_b32_e64 v4, 0, 1, vcc
	v_lshrrev_b64 v[14:15], v4, v[14:15]
; %bb.2664:                             ;   in Loop: Header=BB2_2591 Depth=2
	s_andn2_saveexec_b64 s[18:19], s[18:19]
; %bb.2665:                             ;   in Loop: Header=BB2_2591 Depth=2
	v_bfe_u32 v3, v14, 23, 1
; %bb.2666:                             ;   in Loop: Header=BB2_2591 Depth=2
	s_or_b64 exec, exec, s[18:19]
	v_lshrrev_b64 v[4:5], 20, v[14:15]
	v_cmp_gt_i32_e32 vcc, 16, v3
	v_cndmask_b32_e32 v5, 0, v5, vcc
	v_cndmask_b32_e32 v4, 7, v4, vcc
	v_cmp_eq_u32_e32 vcc, 0, v3
	v_min_i32_e32 v3, 15, v3
	v_cmp_eq_u64_e64 s[18:19], 0, v[4:5]
	v_lshlrev_b32_e32 v3, 3, v3
	v_and_or_b32 v3, v4, 7, v3
	s_and_b64 s[18:19], vcc, s[18:19]
	v_cndmask_b32_e64 v3, v3, 0, s[18:19]
	v_or_b32_e32 v38, v3, v0
.LBB2_2667:                             ;   in Loop: Header=BB2_2591 Depth=2
	s_or_b64 exec, exec, s[56:57]
.LBB2_2668:                             ;   in Loop: Header=BB2_2591 Depth=2
	s_or_b64 exec, exec, s[54:55]
                                        ; implicit-def: $vgpr3
.LBB2_2669:                             ;   in Loop: Header=BB2_2591 Depth=2
	s_andn2_saveexec_b64 s[18:19], s[52:53]
; %bb.2670:                             ;   in Loop: Header=BB2_2591 Depth=2
	v_or_b32_sdwa v0, v3, s68 dst_sel:DWORD dst_unused:UNUSED_PAD src0_sel:BYTE_3 src1_sel:DWORD
	v_cmp_eq_u64_e32 vcc, 0, v[36:37]
	v_cndmask_b32_e32 v38, v0, v38, vcc
; %bb.2671:                             ;   in Loop: Header=BB2_2591 Depth=2
	s_or_b64 exec, exec, s[18:19]
	v_mov_b32_e32 v36, v11
	v_cmp_ne_u16_sdwa vcc, v11, v37 src0_sel:BYTE_0 src1_sel:DWORD
	v_mov_b32_e32 v0, 0
	s_and_saveexec_b64 s[18:19], vcc
	s_cbranch_execz .LBB2_2677
; %bb.2672:                             ;   in Loop: Header=BB2_2591 Depth=2
	v_cmp_ne_u16_sdwa vcc, v11, s69 src0_sel:BYTE_0 src1_sel:DWORD
	v_bfrev_b32_e32 v0, 1
	s_and_saveexec_b64 s[52:53], vcc
	s_cbranch_execz .LBB2_2676
; %bb.2673:                             ;   in Loop: Header=BB2_2591 Depth=2
	v_and_b32_e32 v3, 0x7f, v11
	v_cmp_ne_u32_e32 vcc, s68, v3
	v_mov_b32_e32 v0, 0x7f800001
	s_and_saveexec_b64 s[54:55], vcc
	s_cbranch_execz .LBB2_2675
; %bb.2674:                             ;   in Loop: Header=BB2_2591 Depth=2
	v_and_b32_e32 v0, 7, v11
	v_ffbh_u32_e32 v0, v0
	v_min_u32_e32 v0, 32, v0
	v_subrev_u32_e32 v5, 28, v0
	v_cmp_gt_u32_e32 vcc, 8, v3
	v_lshrrev_b32_e32 v4, 3, v3
	v_sub_u32_e32 v0, 29, v0
	v_cndmask_b32_e32 v3, 0, v5, vcc
	v_cndmask_b32_e32 v0, v4, v0, vcc
	v_lshlrev_b64 v[4:5], v3, v[36:37]
	v_lshlrev_b32_e32 v3, 20, v4
	v_lshlrev_b32_e32 v4, 24, v36
	v_and_b32_e32 v3, 0x700000, v3
	v_and_b32_e32 v4, 0x80000000, v4
	v_lshl_add_u32 v0, v0, 23, v50
	v_or3_b32 v0, v4, v0, v3
.LBB2_2675:                             ;   in Loop: Header=BB2_2591 Depth=2
	s_or_b64 exec, exec, s[54:55]
.LBB2_2676:                             ;   in Loop: Header=BB2_2591 Depth=2
	s_or_b64 exec, exec, s[52:53]
.LBB2_2677:                             ;   in Loop: Header=BB2_2591 Depth=2
	s_or_b64 exec, exec, s[18:19]
	v_mul_f32_e32 v3, v7, v0
	v_and_b32_sdwa v0, v3, s69 dst_sel:DWORD dst_unused:UNUSED_PAD src0_sel:BYTE_3 src1_sel:DWORD
	v_and_b32_e32 v4, 0x7f800000, v3
	v_mov_b32_e32 v5, v37
	v_and_b32_e32 v14, 0x7fffff, v3
	v_mov_b32_e32 v15, v37
	v_or_b32_e32 v54, 0x7e, v0
	v_cmp_ne_u64_e32 vcc, s[38:39], v[4:5]
	s_and_saveexec_b64 s[18:19], vcc
	s_xor_b64 s[52:53], exec, s[18:19]
	s_cbranch_execz .LBB2_2687
; %bb.2678:                             ;   in Loop: Header=BB2_2591 Depth=2
	v_and_b32_e32 v4, 0x7fffffff, v3
	v_mov_b32_e32 v5, v37
	v_cmp_gt_u64_e32 vcc, s[40:41], v[4:5]
	s_and_saveexec_b64 s[54:55], vcc
	s_cbranch_execz .LBB2_2686
; %bb.2679:                             ;   in Loop: Header=BB2_2591 Depth=2
	v_cmp_ne_u32_e32 vcc, 0, v3
	v_mov_b32_e32 v54, 0
	s_and_saveexec_b64 s[56:57], vcc
	s_cbranch_execz .LBB2_2685
; %bb.2680:                             ;   in Loop: Header=BB2_2591 Depth=2
	v_bfe_u32 v3, v3, 23, 8
	v_sub_u32_e32 v5, 0x79, v3
	v_cmp_gt_u32_e32 vcc, s71, v3
	v_add_u32_e32 v4, 0xffffff81, v3
	v_cndmask_b32_e32 v5, 0, v5, vcc
	v_cmp_eq_u32_e32 vcc, 0, v3
	v_mov_b32_e32 v3, 0xffffff82
	v_cndmask_b32_e32 v3, v4, v3, vcc
	v_mov_b32_e32 v4, 0x78
	v_cndmask_b32_e32 v8, v5, v4, vcc
	v_add_u32_e32 v4, 20, v8
	v_or_b32_e32 v6, 0x800000, v14
	v_lshlrev_b64 v[4:5], v4, -1
	v_cndmask_b32_e32 v14, v6, v14, vcc
	v_not_b32_e32 v4, v4
	v_and_b32_e32 v16, v14, v4
	v_add_u32_e32 v4, 19, v8
	v_lshrrev_b64 v[14:15], v8, v[14:15]
	v_not_b32_e32 v5, v5
	v_lshlrev_b64 v[18:19], v4, 1
	v_lshrrev_b32_e32 v4, 23, v14
	v_and_b32_e32 v17, 0, v5
	v_add3_u32 v5, v8, v3, v4
	v_bfe_u32 v3, v14, 20, 1
	v_add_u32_e32 v3, -1, v3
	v_cmp_eq_u64_e32 vcc, v[16:17], v[18:19]
	v_cndmask_b32_e32 v3, 0, v3, vcc
	v_add_u32_e32 v3, v3, v14
	v_and_b32_e32 v3, 0xfffff, v3
	v_add_co_u32_e32 v14, vcc, v3, v14
	v_add_u32_e32 v4, 6, v5
	v_addc_co_u32_e32 v15, vcc, 0, v15, vcc
	v_cmp_ne_u32_e32 vcc, 0, v4
                                        ; implicit-def: $vgpr3
	s_and_saveexec_b64 s[18:19], vcc
	s_xor_b64 s[18:19], exec, s[18:19]
; %bb.2681:                             ;   in Loop: Header=BB2_2591 Depth=2
	v_add_u32_e32 v3, 7, v5
	v_cmp_lt_u64_e32 vcc, s[44:45], v[14:15]
	v_cndmask_b32_e32 v3, v4, v3, vcc
	v_cndmask_b32_e64 v4, 0, 1, vcc
	v_lshrrev_b64 v[14:15], v4, v[14:15]
; %bb.2682:                             ;   in Loop: Header=BB2_2591 Depth=2
	s_andn2_saveexec_b64 s[18:19], s[18:19]
; %bb.2683:                             ;   in Loop: Header=BB2_2591 Depth=2
	v_bfe_u32 v3, v14, 23, 1
; %bb.2684:                             ;   in Loop: Header=BB2_2591 Depth=2
	s_or_b64 exec, exec, s[18:19]
	v_lshrrev_b64 v[4:5], 20, v[14:15]
	v_cmp_gt_i32_e32 vcc, 16, v3
	v_cndmask_b32_e32 v5, 0, v5, vcc
	v_cndmask_b32_e32 v4, 7, v4, vcc
	v_cmp_eq_u32_e32 vcc, 0, v3
	v_min_i32_e32 v3, 15, v3
	v_cmp_eq_u64_e64 s[18:19], 0, v[4:5]
	v_lshlrev_b32_e32 v3, 3, v3
	v_and_or_b32 v3, v4, 7, v3
	s_and_b64 s[18:19], vcc, s[18:19]
	v_cndmask_b32_e64 v3, v3, 0, s[18:19]
	v_or_b32_e32 v54, v3, v0
.LBB2_2685:                             ;   in Loop: Header=BB2_2591 Depth=2
	s_or_b64 exec, exec, s[56:57]
.LBB2_2686:                             ;   in Loop: Header=BB2_2591 Depth=2
	s_or_b64 exec, exec, s[54:55]
                                        ; implicit-def: $vgpr3
                                        ; implicit-def: $vgpr14_vgpr15
.LBB2_2687:                             ;   in Loop: Header=BB2_2591 Depth=2
	s_andn2_saveexec_b64 s[18:19], s[52:53]
; %bb.2688:                             ;   in Loop: Header=BB2_2591 Depth=2
	v_or_b32_sdwa v0, v3, s68 dst_sel:DWORD dst_unused:UNUSED_PAD src0_sel:BYTE_3 src1_sel:DWORD
	v_cmp_eq_u64_e32 vcc, 0, v[14:15]
	v_cndmask_b32_e32 v54, v0, v54, vcc
; %bb.2689:                             ;   in Loop: Header=BB2_2591 Depth=2
	s_or_b64 exec, exec, s[18:19]
	v_lshrrev_b16_e32 v14, 8, v36
	v_cmp_ne_u16_e32 vcc, 0, v14
	v_mov_b32_e32 v0, 0
	s_and_saveexec_b64 s[18:19], vcc
	s_cbranch_execz .LBB2_2695
; %bb.2690:                             ;   in Loop: Header=BB2_2591 Depth=2
	v_cmp_ne_u16_e32 vcc, s69, v14
	v_bfrev_b32_e32 v0, 1
	s_and_saveexec_b64 s[52:53], vcc
	s_cbranch_execz .LBB2_2694
; %bb.2691:                             ;   in Loop: Header=BB2_2591 Depth=2
	v_and_b32_e32 v3, 0x7f, v14
	v_cmp_ne_u32_e32 vcc, s68, v3
	v_mov_b32_e32 v0, 0x7f800001
	s_and_saveexec_b64 s[54:55], vcc
	s_cbranch_execz .LBB2_2693
; %bb.2692:                             ;   in Loop: Header=BB2_2591 Depth=2
	v_and_b32_e32 v0, 7, v14
	v_ffbh_u32_e32 v4, v0
	v_min_u32_e32 v8, 32, v4
	v_subrev_u32_e32 v4, 28, v8
	v_lshlrev_b64 v[4:5], v4, v[14:15]
	v_lshrrev_b32_e32 v6, 3, v3
	v_sub_u32_e32 v5, 29, v8
	v_and_b32_e32 v4, 7, v4
	v_cmp_gt_u32_e32 vcc, 8, v3
	v_cndmask_b32_e32 v3, v6, v5, vcc
	v_cndmask_b32_e32 v0, v0, v4, vcc
	v_lshlrev_b32_e32 v4, 16, v36
	v_lshlrev_b32_e32 v0, 20, v0
	v_and_b32_e32 v4, 0x80000000, v4
	v_lshl_add_u32 v3, v3, 23, v50
	v_or3_b32 v0, v4, v3, v0
.LBB2_2693:                             ;   in Loop: Header=BB2_2591 Depth=2
	s_or_b64 exec, exec, s[54:55]
.LBB2_2694:                             ;   in Loop: Header=BB2_2591 Depth=2
	s_or_b64 exec, exec, s[52:53]
.LBB2_2695:                             ;   in Loop: Header=BB2_2591 Depth=2
	s_or_b64 exec, exec, s[18:19]
	v_mul_f32_e32 v3, v7, v0
	v_and_b32_sdwa v0, v3, s69 dst_sel:DWORD dst_unused:UNUSED_PAD src0_sel:BYTE_3 src1_sel:DWORD
	v_and_b32_e32 v4, 0x7f800000, v3
	v_mov_b32_e32 v5, v37
	v_and_b32_e32 v36, 0x7fffff, v3
	v_or_b32_e32 v6, 0x7e, v0
	v_cmp_ne_u64_e32 vcc, s[38:39], v[4:5]
	s_and_saveexec_b64 s[18:19], vcc
	s_xor_b64 s[52:53], exec, s[18:19]
	s_cbranch_execz .LBB2_2705
; %bb.2696:                             ;   in Loop: Header=BB2_2591 Depth=2
	v_and_b32_e32 v4, 0x7fffffff, v3
	v_mov_b32_e32 v5, v37
	v_cmp_gt_u64_e32 vcc, s[40:41], v[4:5]
	s_and_saveexec_b64 s[54:55], vcc
	s_cbranch_execz .LBB2_2704
; %bb.2697:                             ;   in Loop: Header=BB2_2591 Depth=2
	v_cmp_ne_u32_e32 vcc, 0, v3
	v_mov_b32_e32 v6, 0
	s_and_saveexec_b64 s[56:57], vcc
	s_cbranch_execz .LBB2_2703
; %bb.2698:                             ;   in Loop: Header=BB2_2591 Depth=2
	v_bfe_u32 v3, v3, 23, 8
	v_sub_u32_e32 v5, 0x79, v3
	v_cmp_gt_u32_e32 vcc, s71, v3
	v_add_u32_e32 v4, 0xffffff81, v3
	v_cndmask_b32_e32 v5, 0, v5, vcc
	v_cmp_eq_u32_e32 vcc, 0, v3
	v_mov_b32_e32 v3, 0xffffff82
	v_cndmask_b32_e32 v3, v4, v3, vcc
	v_mov_b32_e32 v4, 0x78
	v_cndmask_b32_e32 v8, v5, v4, vcc
	v_add_u32_e32 v4, 20, v8
	v_or_b32_e32 v6, 0x800000, v36
	v_lshlrev_b64 v[4:5], v4, -1
	v_cndmask_b32_e32 v36, v6, v36, vcc
	v_not_b32_e32 v4, v4
	v_and_b32_e32 v14, v36, v4
	v_add_u32_e32 v4, 19, v8
	v_lshrrev_b64 v[18:19], v8, v[36:37]
	v_not_b32_e32 v5, v5
	v_lshlrev_b64 v[16:17], v4, 1
	v_lshrrev_b32_e32 v4, 23, v18
	v_and_b32_e32 v15, 0, v5
	v_add3_u32 v5, v8, v3, v4
	v_bfe_u32 v3, v18, 20, 1
	v_add_u32_e32 v3, -1, v3
	v_cmp_eq_u64_e32 vcc, v[14:15], v[16:17]
	v_cndmask_b32_e32 v3, 0, v3, vcc
	v_add_u32_e32 v3, v3, v18
	v_and_b32_e32 v3, 0xfffff, v3
	v_add_co_u32_e32 v14, vcc, v3, v18
	v_add_u32_e32 v4, 6, v5
	v_addc_co_u32_e32 v15, vcc, 0, v19, vcc
	v_cmp_ne_u32_e32 vcc, 0, v4
                                        ; implicit-def: $vgpr3
	s_and_saveexec_b64 s[18:19], vcc
	s_xor_b64 s[18:19], exec, s[18:19]
; %bb.2699:                             ;   in Loop: Header=BB2_2591 Depth=2
	v_add_u32_e32 v3, 7, v5
	v_cmp_lt_u64_e32 vcc, s[44:45], v[14:15]
	v_cndmask_b32_e32 v3, v4, v3, vcc
	v_cndmask_b32_e64 v4, 0, 1, vcc
	v_lshrrev_b64 v[14:15], v4, v[14:15]
; %bb.2700:                             ;   in Loop: Header=BB2_2591 Depth=2
	s_andn2_saveexec_b64 s[18:19], s[18:19]
; %bb.2701:                             ;   in Loop: Header=BB2_2591 Depth=2
	v_bfe_u32 v3, v14, 23, 1
; %bb.2702:                             ;   in Loop: Header=BB2_2591 Depth=2
	s_or_b64 exec, exec, s[18:19]
	v_lshrrev_b64 v[4:5], 20, v[14:15]
	v_cmp_gt_i32_e32 vcc, 16, v3
	v_cndmask_b32_e32 v5, 0, v5, vcc
	v_cndmask_b32_e32 v4, 7, v4, vcc
	v_cmp_eq_u32_e32 vcc, 0, v3
	v_min_i32_e32 v3, 15, v3
	v_lshlrev_b32_e32 v3, 3, v3
	v_cmp_eq_u64_e64 s[18:19], 0, v[4:5]
	v_and_b32_e32 v3, 0xf8, v3
	v_and_or_b32 v3, v4, 7, v3
	s_and_b64 s[18:19], vcc, s[18:19]
	v_cndmask_b32_e64 v3, v3, 0, s[18:19]
	v_or_b32_e32 v6, v3, v0
.LBB2_2703:                             ;   in Loop: Header=BB2_2591 Depth=2
	s_or_b64 exec, exec, s[56:57]
.LBB2_2704:                             ;   in Loop: Header=BB2_2591 Depth=2
	s_or_b64 exec, exec, s[54:55]
                                        ; implicit-def: $vgpr3
.LBB2_2705:                             ;   in Loop: Header=BB2_2591 Depth=2
	s_andn2_saveexec_b64 s[18:19], s[52:53]
; %bb.2706:                             ;   in Loop: Header=BB2_2591 Depth=2
	v_or_b32_sdwa v0, v3, s68 dst_sel:DWORD dst_unused:UNUSED_PAD src0_sel:BYTE_3 src1_sel:DWORD
	v_cmp_eq_u64_e32 vcc, 0, v[36:37]
	v_cndmask_b32_e32 v6, v0, v6, vcc
; %bb.2707:                             ;   in Loop: Header=BB2_2591 Depth=2
	s_or_b64 exec, exec, s[18:19]
	v_lshrrev_b32_e32 v14, 16, v11
	v_cmp_ne_u16_sdwa vcc, v14, v37 src0_sel:BYTE_0 src1_sel:DWORD
	v_mov_b32_e32 v0, 0
	s_and_saveexec_b64 s[18:19], vcc
	s_cbranch_execz .LBB2_2713
; %bb.2708:                             ;   in Loop: Header=BB2_2591 Depth=2
	v_cmp_ne_u16_sdwa vcc, v14, s69 src0_sel:BYTE_0 src1_sel:DWORD
	v_bfrev_b32_e32 v0, 1
	s_and_saveexec_b64 s[52:53], vcc
	s_cbranch_execz .LBB2_2712
; %bb.2709:                             ;   in Loop: Header=BB2_2591 Depth=2
	v_bfe_u32 v3, v11, 16, 7
	v_cmp_ne_u32_e32 vcc, s68, v3
	v_mov_b32_e32 v0, 0x7f800001
	s_and_saveexec_b64 s[54:55], vcc
	s_cbranch_execz .LBB2_2711
; %bb.2710:                             ;   in Loop: Header=BB2_2591 Depth=2
	v_and_b32_e32 v0, 7, v14
	v_ffbh_u32_e32 v4, v0
	v_min_u32_e32 v15, 32, v4
	v_subrev_u32_e32 v4, 28, v15
	v_lshlrev_b64 v[4:5], v4, v[14:15]
	v_lshrrev_b32_e32 v8, 3, v3
	v_sub_u32_e32 v5, 29, v15
	v_and_b32_e32 v4, 7, v4
	v_cmp_gt_u32_e32 vcc, 8, v3
	v_cndmask_b32_e32 v3, v8, v5, vcc
	v_cndmask_b32_e32 v0, v0, v4, vcc
	v_lshlrev_b32_e32 v4, 24, v14
	v_lshlrev_b32_e32 v0, 20, v0
	v_and_b32_e32 v4, 0x80000000, v4
	v_lshl_add_u32 v3, v3, 23, v50
	v_or3_b32 v0, v4, v3, v0
.LBB2_2711:                             ;   in Loop: Header=BB2_2591 Depth=2
	s_or_b64 exec, exec, s[54:55]
.LBB2_2712:                             ;   in Loop: Header=BB2_2591 Depth=2
	s_or_b64 exec, exec, s[52:53]
.LBB2_2713:                             ;   in Loop: Header=BB2_2591 Depth=2
	s_or_b64 exec, exec, s[18:19]
	v_mul_f32_e32 v3, v7, v0
	v_and_b32_sdwa v0, v3, s69 dst_sel:DWORD dst_unused:UNUSED_PAD src0_sel:BYTE_3 src1_sel:DWORD
	v_and_b32_e32 v4, 0x7f800000, v3
	v_mov_b32_e32 v5, v37
	v_and_b32_e32 v36, 0x7fffff, v3
	v_or_b32_e32 v8, 0x7e, v0
	v_cmp_ne_u64_e32 vcc, s[38:39], v[4:5]
	s_and_saveexec_b64 s[18:19], vcc
	s_xor_b64 s[52:53], exec, s[18:19]
	s_cbranch_execz .LBB2_2723
; %bb.2714:                             ;   in Loop: Header=BB2_2591 Depth=2
	v_and_b32_e32 v4, 0x7fffffff, v3
	v_mov_b32_e32 v5, v37
	v_cmp_gt_u64_e32 vcc, s[40:41], v[4:5]
	s_and_saveexec_b64 s[54:55], vcc
	s_cbranch_execz .LBB2_2722
; %bb.2715:                             ;   in Loop: Header=BB2_2591 Depth=2
	v_cmp_ne_u32_e32 vcc, 0, v3
	v_mov_b32_e32 v8, 0
	s_and_saveexec_b64 s[56:57], vcc
	s_cbranch_execz .LBB2_2721
; %bb.2716:                             ;   in Loop: Header=BB2_2591 Depth=2
	v_bfe_u32 v3, v3, 23, 8
	v_sub_u32_e32 v5, 0x79, v3
	v_cmp_gt_u32_e32 vcc, s71, v3
	v_add_u32_e32 v4, 0xffffff81, v3
	v_cndmask_b32_e32 v5, 0, v5, vcc
	v_cmp_eq_u32_e32 vcc, 0, v3
	v_mov_b32_e32 v3, 0xffffff82
	v_cndmask_b32_e32 v3, v4, v3, vcc
	v_mov_b32_e32 v4, 0x78
	v_cndmask_b32_e32 v20, v5, v4, vcc
	v_add_u32_e32 v4, 20, v20
	v_or_b32_e32 v8, 0x800000, v36
	v_lshlrev_b64 v[4:5], v4, -1
	v_cndmask_b32_e32 v36, v8, v36, vcc
	v_not_b32_e32 v4, v4
	v_and_b32_e32 v14, v36, v4
	v_add_u32_e32 v4, 19, v20
	v_lshrrev_b64 v[18:19], v20, v[36:37]
	v_not_b32_e32 v5, v5
	v_lshlrev_b64 v[16:17], v4, 1
	v_lshrrev_b32_e32 v4, 23, v18
	v_and_b32_e32 v15, 0, v5
	v_add3_u32 v5, v20, v3, v4
	v_bfe_u32 v3, v18, 20, 1
	v_add_u32_e32 v3, -1, v3
	v_cmp_eq_u64_e32 vcc, v[14:15], v[16:17]
	v_cndmask_b32_e32 v3, 0, v3, vcc
	v_add_u32_e32 v3, v3, v18
	v_and_b32_e32 v3, 0xfffff, v3
	v_add_co_u32_e32 v14, vcc, v3, v18
	v_add_u32_e32 v4, 6, v5
	v_addc_co_u32_e32 v15, vcc, 0, v19, vcc
	v_cmp_ne_u32_e32 vcc, 0, v4
                                        ; implicit-def: $vgpr3
	s_and_saveexec_b64 s[18:19], vcc
	s_xor_b64 s[18:19], exec, s[18:19]
; %bb.2717:                             ;   in Loop: Header=BB2_2591 Depth=2
	v_add_u32_e32 v3, 7, v5
	v_cmp_lt_u64_e32 vcc, s[44:45], v[14:15]
	v_cndmask_b32_e32 v3, v4, v3, vcc
	v_cndmask_b32_e64 v4, 0, 1, vcc
	v_lshrrev_b64 v[14:15], v4, v[14:15]
; %bb.2718:                             ;   in Loop: Header=BB2_2591 Depth=2
	s_andn2_saveexec_b64 s[18:19], s[18:19]
; %bb.2719:                             ;   in Loop: Header=BB2_2591 Depth=2
	v_bfe_u32 v3, v14, 23, 1
; %bb.2720:                             ;   in Loop: Header=BB2_2591 Depth=2
	s_or_b64 exec, exec, s[18:19]
	v_lshrrev_b64 v[4:5], 20, v[14:15]
	v_cmp_gt_i32_e32 vcc, 16, v3
	v_cndmask_b32_e32 v5, 0, v5, vcc
	v_cndmask_b32_e32 v4, 7, v4, vcc
	v_cmp_eq_u32_e32 vcc, 0, v3
	v_min_i32_e32 v3, 15, v3
	v_lshlrev_b32_e32 v3, 3, v3
	v_cmp_eq_u64_e64 s[18:19], 0, v[4:5]
	v_and_b32_e32 v3, 0xf8, v3
	v_and_or_b32 v3, v4, 7, v3
	s_and_b64 s[18:19], vcc, s[18:19]
	v_cndmask_b32_e64 v3, v3, 0, s[18:19]
	v_or_b32_e32 v8, v3, v0
.LBB2_2721:                             ;   in Loop: Header=BB2_2591 Depth=2
	s_or_b64 exec, exec, s[56:57]
.LBB2_2722:                             ;   in Loop: Header=BB2_2591 Depth=2
	s_or_b64 exec, exec, s[54:55]
                                        ; implicit-def: $vgpr3
.LBB2_2723:                             ;   in Loop: Header=BB2_2591 Depth=2
	s_andn2_saveexec_b64 s[18:19], s[52:53]
; %bb.2724:                             ;   in Loop: Header=BB2_2591 Depth=2
	v_or_b32_sdwa v0, v3, s68 dst_sel:DWORD dst_unused:UNUSED_PAD src0_sel:BYTE_3 src1_sel:DWORD
	v_cmp_eq_u64_e32 vcc, 0, v[36:37]
	v_cndmask_b32_e32 v8, v0, v8, vcc
; %bb.2725:                             ;   in Loop: Header=BB2_2591 Depth=2
	s_or_b64 exec, exec, s[18:19]
	v_cmp_lt_u64_e32 vcc, s[42:43], v[10:11]
	v_mov_b32_e32 v0, 0
	s_and_saveexec_b64 s[18:19], vcc
	s_cbranch_execz .LBB2_2731
; %bb.2726:                             ;   in Loop: Header=BB2_2591 Depth=2
	v_lshrrev_b32_e32 v10, 24, v11
	v_cmp_ne_u32_e32 vcc, s69, v10
	v_bfrev_b32_e32 v0, 1
	s_and_saveexec_b64 s[52:53], vcc
	s_cbranch_execz .LBB2_2730
; %bb.2727:                             ;   in Loop: Header=BB2_2591 Depth=2
	v_bfe_u32 v3, v11, 24, 7
	v_cmp_ne_u32_e32 vcc, s68, v3
	v_mov_b32_e32 v0, 0x7f800001
	s_and_saveexec_b64 s[54:55], vcc
	s_cbranch_execz .LBB2_2729
; %bb.2728:                             ;   in Loop: Header=BB2_2591 Depth=2
	v_and_b32_e32 v0, 7, v10
	v_ffbh_u32_e32 v4, v0
	v_min_u32_e32 v14, 32, v4
	v_lshrrev_b32_e32 v11, 3, v3
	v_subrev_u32_e32 v4, 28, v14
	v_lshlrev_b64 v[4:5], v4, v[10:11]
	v_sub_u32_e32 v5, 29, v14
	v_and_b32_e32 v4, 7, v4
	v_cmp_gt_u32_e32 vcc, 8, v3
	v_cndmask_b32_e32 v3, v11, v5, vcc
	v_cndmask_b32_e32 v0, v0, v4, vcc
	v_lshlrev_b32_e32 v4, 24, v10
	v_lshlrev_b32_e32 v0, 20, v0
	v_and_b32_e32 v4, 0x80000000, v4
	v_lshl_add_u32 v3, v3, 23, v50
	v_or3_b32 v0, v4, v3, v0
.LBB2_2729:                             ;   in Loop: Header=BB2_2591 Depth=2
	s_or_b64 exec, exec, s[54:55]
.LBB2_2730:                             ;   in Loop: Header=BB2_2591 Depth=2
	s_or_b64 exec, exec, s[52:53]
.LBB2_2731:                             ;   in Loop: Header=BB2_2591 Depth=2
	s_or_b64 exec, exec, s[18:19]
	v_mul_f32_e32 v3, v7, v0
	v_and_b32_sdwa v0, v3, s69 dst_sel:DWORD dst_unused:UNUSED_PAD src0_sel:BYTE_3 src1_sel:DWORD
	v_and_b32_e32 v4, 0x7f800000, v3
	v_mov_b32_e32 v5, v37
	v_and_b32_e32 v36, 0x7fffff, v3
	v_or_b32_e32 v25, 0x7e, v0
	v_cmp_ne_u64_e32 vcc, s[38:39], v[4:5]
	s_and_saveexec_b64 s[18:19], vcc
	s_xor_b64 s[52:53], exec, s[18:19]
	s_cbranch_execz .LBB2_2741
; %bb.2732:                             ;   in Loop: Header=BB2_2591 Depth=2
	v_and_b32_e32 v4, 0x7fffffff, v3
	v_mov_b32_e32 v5, v37
	v_cmp_gt_u64_e32 vcc, s[40:41], v[4:5]
	s_and_saveexec_b64 s[54:55], vcc
	s_cbranch_execz .LBB2_2740
; %bb.2733:                             ;   in Loop: Header=BB2_2591 Depth=2
	v_cmp_ne_u32_e32 vcc, 0, v3
	v_mov_b32_e32 v25, 0
	s_and_saveexec_b64 s[56:57], vcc
	s_cbranch_execz .LBB2_2739
; %bb.2734:                             ;   in Loop: Header=BB2_2591 Depth=2
	v_bfe_u32 v3, v3, 23, 8
	v_sub_u32_e32 v5, 0x79, v3
	v_cmp_gt_u32_e32 vcc, s71, v3
	v_add_u32_e32 v4, 0xffffff81, v3
	v_cndmask_b32_e32 v5, 0, v5, vcc
	v_cmp_eq_u32_e32 vcc, 0, v3
	v_mov_b32_e32 v3, 0xffffff82
	v_cndmask_b32_e32 v3, v4, v3, vcc
	v_mov_b32_e32 v4, 0x78
	v_cndmask_b32_e32 v18, v5, v4, vcc
	v_add_u32_e32 v4, 20, v18
	v_or_b32_e32 v10, 0x800000, v36
	v_lshlrev_b64 v[4:5], v4, -1
	v_cndmask_b32_e32 v36, v10, v36, vcc
	v_not_b32_e32 v4, v4
	v_and_b32_e32 v10, v36, v4
	v_add_u32_e32 v4, 19, v18
	v_lshrrev_b64 v[16:17], v18, v[36:37]
	v_not_b32_e32 v5, v5
	v_lshlrev_b64 v[14:15], v4, 1
	v_lshrrev_b32_e32 v4, 23, v16
	v_and_b32_e32 v11, 0, v5
	v_add3_u32 v5, v18, v3, v4
	v_bfe_u32 v3, v16, 20, 1
	v_add_u32_e32 v3, -1, v3
	v_cmp_eq_u64_e32 vcc, v[10:11], v[14:15]
	v_cndmask_b32_e32 v3, 0, v3, vcc
	v_add_u32_e32 v3, v3, v16
	v_and_b32_e32 v3, 0xfffff, v3
	v_add_co_u32_e32 v10, vcc, v3, v16
	v_add_u32_e32 v4, 6, v5
	v_addc_co_u32_e32 v11, vcc, 0, v17, vcc
	v_cmp_ne_u32_e32 vcc, 0, v4
                                        ; implicit-def: $vgpr3
	s_and_saveexec_b64 s[18:19], vcc
	s_xor_b64 s[18:19], exec, s[18:19]
; %bb.2735:                             ;   in Loop: Header=BB2_2591 Depth=2
	v_add_u32_e32 v3, 7, v5
	v_cmp_lt_u64_e32 vcc, s[44:45], v[10:11]
	v_cndmask_b32_e32 v3, v4, v3, vcc
	v_cndmask_b32_e64 v4, 0, 1, vcc
	v_lshrrev_b64 v[10:11], v4, v[10:11]
; %bb.2736:                             ;   in Loop: Header=BB2_2591 Depth=2
	s_andn2_saveexec_b64 s[18:19], s[18:19]
; %bb.2737:                             ;   in Loop: Header=BB2_2591 Depth=2
	v_bfe_u32 v3, v10, 23, 1
; %bb.2738:                             ;   in Loop: Header=BB2_2591 Depth=2
	s_or_b64 exec, exec, s[18:19]
	v_lshrrev_b64 v[4:5], 20, v[10:11]
	v_cmp_gt_i32_e32 vcc, 16, v3
	v_cndmask_b32_e32 v5, 0, v5, vcc
	v_cndmask_b32_e32 v4, 7, v4, vcc
	v_cmp_eq_u32_e32 vcc, 0, v3
	v_min_i32_e32 v3, 15, v3
	v_lshlrev_b32_e32 v3, 3, v3
	v_cmp_eq_u64_e64 s[18:19], 0, v[4:5]
	v_and_b32_e32 v3, 0xf8, v3
	v_and_or_b32 v3, v4, 7, v3
	s_and_b64 s[18:19], vcc, s[18:19]
	v_cndmask_b32_e64 v3, v3, 0, s[18:19]
	v_or_b32_e32 v25, v3, v0
.LBB2_2739:                             ;   in Loop: Header=BB2_2591 Depth=2
	s_or_b64 exec, exec, s[56:57]
.LBB2_2740:                             ;   in Loop: Header=BB2_2591 Depth=2
	s_or_b64 exec, exec, s[54:55]
                                        ; implicit-def: $vgpr3
.LBB2_2741:                             ;   in Loop: Header=BB2_2591 Depth=2
	s_andn2_saveexec_b64 s[18:19], s[52:53]
; %bb.2742:                             ;   in Loop: Header=BB2_2591 Depth=2
	v_or_b32_sdwa v0, v3, s68 dst_sel:DWORD dst_unused:UNUSED_PAD src0_sel:BYTE_3 src1_sel:DWORD
	v_cmp_eq_u64_e32 vcc, 0, v[36:37]
	v_cndmask_b32_e32 v25, v0, v25, vcc
; %bb.2743:                             ;   in Loop: Header=BB2_2591 Depth=2
	s_or_b64 exec, exec, s[18:19]
	v_cmp_ne_u16_sdwa vcc, v12, v37 src0_sel:BYTE_0 src1_sel:DWORD
	v_mov_b32_e32 v0, 0
	s_and_saveexec_b64 s[18:19], vcc
	s_cbranch_execz .LBB2_2749
; %bb.2744:                             ;   in Loop: Header=BB2_2591 Depth=2
	v_cmp_ne_u16_sdwa vcc, v12, s69 src0_sel:BYTE_0 src1_sel:DWORD
	v_bfrev_b32_e32 v0, 1
	s_and_saveexec_b64 s[52:53], vcc
	s_cbranch_execz .LBB2_2748
; %bb.2745:                             ;   in Loop: Header=BB2_2591 Depth=2
	v_and_b32_e32 v3, 0x7f, v12
	v_cmp_ne_u32_e32 vcc, s68, v3
	v_mov_b32_e32 v0, 0x7f800001
	s_and_saveexec_b64 s[54:55], vcc
	s_cbranch_execz .LBB2_2747
; %bb.2746:                             ;   in Loop: Header=BB2_2591 Depth=2
	v_and_b32_e32 v0, 7, v12
	v_ffbh_u32_e32 v0, v0
	v_min_u32_e32 v0, 32, v0
	v_subrev_u32_e32 v5, 28, v0
	v_cmp_gt_u32_e32 vcc, 8, v3
	v_lshrrev_b32_e32 v4, 3, v3
	v_sub_u32_e32 v0, 29, v0
	v_cndmask_b32_e32 v3, 0, v5, vcc
	v_cndmask_b32_e32 v0, v4, v0, vcc
	v_lshlrev_b64 v[4:5], v3, v[12:13]
	v_lshlrev_b32_e32 v3, 20, v4
	v_lshlrev_b32_e32 v4, 24, v12
	v_and_b32_e32 v3, 0x700000, v3
	v_and_b32_e32 v4, 0x80000000, v4
	v_lshl_add_u32 v0, v0, 23, v50
	v_or3_b32 v0, v4, v0, v3
.LBB2_2747:                             ;   in Loop: Header=BB2_2591 Depth=2
	s_or_b64 exec, exec, s[54:55]
.LBB2_2748:                             ;   in Loop: Header=BB2_2591 Depth=2
	s_or_b64 exec, exec, s[52:53]
.LBB2_2749:                             ;   in Loop: Header=BB2_2591 Depth=2
	s_or_b64 exec, exec, s[18:19]
	v_mul_f32_e32 v3, v7, v0
	v_and_b32_sdwa v0, v3, s69 dst_sel:DWORD dst_unused:UNUSED_PAD src0_sel:BYTE_3 src1_sel:DWORD
	v_and_b32_e32 v10, 0x7f800000, v3
	v_mov_b32_e32 v11, v37
	v_and_b32_e32 v36, 0x7fffff, v3
	v_or_b32_e32 v5, 0x7e, v0
	v_cmp_ne_u64_e32 vcc, s[38:39], v[10:11]
	s_and_saveexec_b64 s[18:19], vcc
	s_xor_b64 s[52:53], exec, s[18:19]
	s_cbranch_execz .LBB2_2759
; %bb.2750:                             ;   in Loop: Header=BB2_2591 Depth=2
	v_and_b32_e32 v10, 0x7fffffff, v3
	v_mov_b32_e32 v11, v37
	v_cmp_gt_u64_e32 vcc, s[40:41], v[10:11]
	s_and_saveexec_b64 s[54:55], vcc
	s_cbranch_execz .LBB2_2758
; %bb.2751:                             ;   in Loop: Header=BB2_2591 Depth=2
	v_cmp_ne_u32_e32 vcc, 0, v3
	v_mov_b32_e32 v5, 0
	s_and_saveexec_b64 s[56:57], vcc
	s_cbranch_execz .LBB2_2757
; %bb.2752:                             ;   in Loop: Header=BB2_2591 Depth=2
	v_bfe_u32 v3, v3, 23, 8
	v_sub_u32_e32 v5, 0x79, v3
	v_cmp_gt_u32_e32 vcc, s71, v3
	v_add_u32_e32 v4, 0xffffff81, v3
	v_cndmask_b32_e32 v5, 0, v5, vcc
	v_cmp_eq_u32_e32 vcc, 0, v3
	v_mov_b32_e32 v3, 0xffffff82
	v_cndmask_b32_e32 v3, v4, v3, vcc
	v_mov_b32_e32 v4, 0x78
	v_cndmask_b32_e32 v18, v5, v4, vcc
	v_add_u32_e32 v4, 20, v18
	v_or_b32_e32 v10, 0x800000, v36
	v_lshlrev_b64 v[4:5], v4, -1
	v_cndmask_b32_e32 v36, v10, v36, vcc
	v_not_b32_e32 v4, v4
	v_and_b32_e32 v10, v36, v4
	v_add_u32_e32 v4, 19, v18
	v_lshrrev_b64 v[16:17], v18, v[36:37]
	v_not_b32_e32 v5, v5
	v_lshlrev_b64 v[14:15], v4, 1
	v_lshrrev_b32_e32 v4, 23, v16
	v_and_b32_e32 v11, 0, v5
	v_add3_u32 v5, v18, v3, v4
	v_bfe_u32 v3, v16, 20, 1
	v_add_u32_e32 v3, -1, v3
	v_cmp_eq_u64_e32 vcc, v[10:11], v[14:15]
	v_cndmask_b32_e32 v3, 0, v3, vcc
	v_add_u32_e32 v3, v3, v16
	v_and_b32_e32 v3, 0xfffff, v3
	v_add_co_u32_e32 v10, vcc, v3, v16
	v_add_u32_e32 v4, 6, v5
	v_addc_co_u32_e32 v11, vcc, 0, v17, vcc
	v_cmp_ne_u32_e32 vcc, 0, v4
                                        ; implicit-def: $vgpr3
	s_and_saveexec_b64 s[18:19], vcc
	s_xor_b64 s[18:19], exec, s[18:19]
; %bb.2753:                             ;   in Loop: Header=BB2_2591 Depth=2
	v_add_u32_e32 v3, 7, v5
	v_cmp_lt_u64_e32 vcc, s[44:45], v[10:11]
	v_cndmask_b32_e32 v3, v4, v3, vcc
	v_cndmask_b32_e64 v4, 0, 1, vcc
	v_lshrrev_b64 v[10:11], v4, v[10:11]
; %bb.2754:                             ;   in Loop: Header=BB2_2591 Depth=2
	s_andn2_saveexec_b64 s[18:19], s[18:19]
; %bb.2755:                             ;   in Loop: Header=BB2_2591 Depth=2
	v_bfe_u32 v3, v10, 23, 1
; %bb.2756:                             ;   in Loop: Header=BB2_2591 Depth=2
	s_or_b64 exec, exec, s[18:19]
	v_lshrrev_b64 v[4:5], 20, v[10:11]
	v_cmp_gt_i32_e32 vcc, 16, v3
	v_cndmask_b32_e32 v5, 0, v5, vcc
	v_cndmask_b32_e32 v4, 7, v4, vcc
	v_cmp_eq_u32_e32 vcc, 0, v3
	v_min_i32_e32 v3, 15, v3
	v_cmp_eq_u64_e64 s[18:19], 0, v[4:5]
	v_lshlrev_b32_e32 v3, 3, v3
	v_and_or_b32 v3, v4, 7, v3
	s_and_b64 s[18:19], vcc, s[18:19]
	v_cndmask_b32_e64 v3, v3, 0, s[18:19]
	v_or_b32_e32 v5, v3, v0
.LBB2_2757:                             ;   in Loop: Header=BB2_2591 Depth=2
	s_or_b64 exec, exec, s[56:57]
.LBB2_2758:                             ;   in Loop: Header=BB2_2591 Depth=2
	s_or_b64 exec, exec, s[54:55]
                                        ; implicit-def: $vgpr3
.LBB2_2759:                             ;   in Loop: Header=BB2_2591 Depth=2
	s_andn2_saveexec_b64 s[18:19], s[52:53]
; %bb.2760:                             ;   in Loop: Header=BB2_2591 Depth=2
	v_or_b32_sdwa v0, v3, s68 dst_sel:DWORD dst_unused:UNUSED_PAD src0_sel:BYTE_3 src1_sel:DWORD
	v_cmp_eq_u64_e32 vcc, 0, v[36:37]
	v_cndmask_b32_e32 v5, v0, v5, vcc
; %bb.2761:                             ;   in Loop: Header=BB2_2591 Depth=2
	s_or_b64 exec, exec, s[18:19]
	v_lshrrev_b16_e32 v10, 8, v12
	v_cmp_ne_u16_e32 vcc, 0, v10
	v_mov_b32_e32 v0, 0
	s_and_saveexec_b64 s[18:19], vcc
	s_cbranch_execz .LBB2_2767
; %bb.2762:                             ;   in Loop: Header=BB2_2591 Depth=2
	v_cmp_ne_u16_e32 vcc, s69, v10
	v_bfrev_b32_e32 v0, 1
	s_and_saveexec_b64 s[52:53], vcc
	s_cbranch_execz .LBB2_2766
; %bb.2763:                             ;   in Loop: Header=BB2_2591 Depth=2
	v_and_b32_e32 v3, 0x7f, v10
	v_cmp_ne_u32_e32 vcc, s68, v3
	v_mov_b32_e32 v0, 0x7f800001
	s_and_saveexec_b64 s[54:55], vcc
	s_cbranch_execz .LBB2_2765
; %bb.2764:                             ;   in Loop: Header=BB2_2591 Depth=2
	v_and_b32_e32 v0, 7, v10
	v_ffbh_u32_e32 v11, v0
	v_min_u32_e32 v14, 32, v11
	v_subrev_u32_e32 v11, 28, v14
	v_lshlrev_b64 v[10:11], v11, v[10:11]
	v_lshrrev_b32_e32 v4, 3, v3
	v_sub_u32_e32 v11, 29, v14
	v_and_b32_e32 v10, 7, v10
	v_cmp_gt_u32_e32 vcc, 8, v3
	v_cndmask_b32_e32 v3, v4, v11, vcc
	v_cndmask_b32_e32 v0, v0, v10, vcc
	v_lshlrev_b32_e32 v4, 16, v12
	v_lshlrev_b32_e32 v0, 20, v0
	v_and_b32_e32 v4, 0x80000000, v4
	v_lshl_add_u32 v3, v3, 23, v50
	v_or3_b32 v0, v4, v3, v0
.LBB2_2765:                             ;   in Loop: Header=BB2_2591 Depth=2
	s_or_b64 exec, exec, s[54:55]
.LBB2_2766:                             ;   in Loop: Header=BB2_2591 Depth=2
	s_or_b64 exec, exec, s[52:53]
.LBB2_2767:                             ;   in Loop: Header=BB2_2591 Depth=2
	s_or_b64 exec, exec, s[18:19]
	v_mul_f32_e32 v3, v7, v0
	v_and_b32_sdwa v0, v3, s69 dst_sel:DWORD dst_unused:UNUSED_PAD src0_sel:BYTE_3 src1_sel:DWORD
	v_and_b32_e32 v10, 0x7f800000, v3
	v_mov_b32_e32 v11, v37
	v_and_b32_e32 v36, 0x7fffff, v3
	v_or_b32_e32 v20, 0x7e, v0
	v_cmp_ne_u64_e32 vcc, s[38:39], v[10:11]
	s_and_saveexec_b64 s[18:19], vcc
	s_xor_b64 s[52:53], exec, s[18:19]
	s_cbranch_execz .LBB2_2777
; %bb.2768:                             ;   in Loop: Header=BB2_2591 Depth=2
	v_and_b32_e32 v10, 0x7fffffff, v3
	v_mov_b32_e32 v11, v37
	v_cmp_gt_u64_e32 vcc, s[40:41], v[10:11]
	s_and_saveexec_b64 s[54:55], vcc
	s_cbranch_execz .LBB2_2776
; %bb.2769:                             ;   in Loop: Header=BB2_2591 Depth=2
	v_cmp_ne_u32_e32 vcc, 0, v3
	v_mov_b32_e32 v20, 0
	s_and_saveexec_b64 s[56:57], vcc
	s_cbranch_execz .LBB2_2775
; %bb.2770:                             ;   in Loop: Header=BB2_2591 Depth=2
	v_bfe_u32 v3, v3, 23, 8
	v_sub_u32_e32 v10, 0x79, v3
	v_cmp_gt_u32_e32 vcc, s71, v3
	v_add_u32_e32 v4, 0xffffff81, v3
	v_cndmask_b32_e32 v10, 0, v10, vcc
	v_cmp_eq_u32_e32 vcc, 0, v3
	v_mov_b32_e32 v3, 0xffffff82
	v_cndmask_b32_e32 v3, v4, v3, vcc
	v_mov_b32_e32 v4, 0x78
	v_or_b32_e32 v11, 0x800000, v36
	v_cndmask_b32_e32 v4, v10, v4, vcc
	v_cndmask_b32_e32 v36, v11, v36, vcc
	v_add_u32_e32 v10, 20, v4
	v_lshlrev_b64 v[10:11], v10, -1
	v_add_u32_e32 v14, 19, v4
	v_lshrrev_b64 v[18:19], v4, v[36:37]
	v_not_b32_e32 v11, v11
	v_not_b32_e32 v10, v10
	v_lshlrev_b64 v[16:17], v14, 1
	v_lshrrev_b32_e32 v14, 23, v18
	v_and_b32_e32 v11, 0, v11
	v_and_b32_e32 v10, v36, v10
	v_add3_u32 v14, v4, v3, v14
	v_bfe_u32 v3, v18, 20, 1
	v_add_u32_e32 v3, -1, v3
	v_cmp_eq_u64_e32 vcc, v[10:11], v[16:17]
	v_cndmask_b32_e32 v3, 0, v3, vcc
	v_add_u32_e32 v3, v3, v18
	v_and_b32_e32 v3, 0xfffff, v3
	v_add_co_u32_e32 v10, vcc, v3, v18
	v_add_u32_e32 v4, 6, v14
	v_addc_co_u32_e32 v11, vcc, 0, v19, vcc
	v_cmp_ne_u32_e32 vcc, 0, v4
                                        ; implicit-def: $vgpr3
	s_and_saveexec_b64 s[18:19], vcc
	s_xor_b64 s[18:19], exec, s[18:19]
; %bb.2771:                             ;   in Loop: Header=BB2_2591 Depth=2
	v_add_u32_e32 v3, 7, v14
	v_cmp_lt_u64_e32 vcc, s[44:45], v[10:11]
	v_cndmask_b32_e32 v3, v4, v3, vcc
	v_cndmask_b32_e64 v4, 0, 1, vcc
	v_lshrrev_b64 v[10:11], v4, v[10:11]
; %bb.2772:                             ;   in Loop: Header=BB2_2591 Depth=2
	s_andn2_saveexec_b64 s[18:19], s[18:19]
; %bb.2773:                             ;   in Loop: Header=BB2_2591 Depth=2
	v_bfe_u32 v3, v10, 23, 1
; %bb.2774:                             ;   in Loop: Header=BB2_2591 Depth=2
	s_or_b64 exec, exec, s[18:19]
	v_lshrrev_b64 v[10:11], 20, v[10:11]
	v_cmp_gt_i32_e32 vcc, 16, v3
	v_cndmask_b32_e32 v11, 0, v11, vcc
	v_cndmask_b32_e32 v10, 7, v10, vcc
	v_cmp_eq_u32_e32 vcc, 0, v3
	v_min_i32_e32 v3, 15, v3
	v_cmp_eq_u64_e64 s[18:19], 0, v[10:11]
	v_lshlrev_b32_e32 v3, 3, v3
	v_and_or_b32 v3, v10, 7, v3
	s_and_b64 s[18:19], vcc, s[18:19]
	v_cndmask_b32_e64 v3, v3, 0, s[18:19]
	v_or_b32_e32 v20, v3, v0
.LBB2_2775:                             ;   in Loop: Header=BB2_2591 Depth=2
	s_or_b64 exec, exec, s[56:57]
.LBB2_2776:                             ;   in Loop: Header=BB2_2591 Depth=2
	s_or_b64 exec, exec, s[54:55]
                                        ; implicit-def: $vgpr3
.LBB2_2777:                             ;   in Loop: Header=BB2_2591 Depth=2
	s_andn2_saveexec_b64 s[18:19], s[52:53]
; %bb.2778:                             ;   in Loop: Header=BB2_2591 Depth=2
	v_or_b32_sdwa v0, v3, s68 dst_sel:DWORD dst_unused:UNUSED_PAD src0_sel:BYTE_3 src1_sel:DWORD
	v_cmp_eq_u64_e32 vcc, 0, v[36:37]
	v_cndmask_b32_e32 v20, v0, v20, vcc
; %bb.2779:                             ;   in Loop: Header=BB2_2591 Depth=2
	s_or_b64 exec, exec, s[18:19]
	v_lshrrev_b32_e32 v10, 16, v12
	v_cmp_ne_u16_sdwa vcc, v10, v37 src0_sel:BYTE_0 src1_sel:DWORD
	v_mov_b32_e32 v0, 0
	s_and_saveexec_b64 s[18:19], vcc
	s_cbranch_execz .LBB2_2785
; %bb.2780:                             ;   in Loop: Header=BB2_2591 Depth=2
	v_cmp_ne_u16_sdwa vcc, v10, s69 src0_sel:BYTE_0 src1_sel:DWORD
	v_bfrev_b32_e32 v0, 1
	s_and_saveexec_b64 s[52:53], vcc
	s_cbranch_execz .LBB2_2784
; %bb.2781:                             ;   in Loop: Header=BB2_2591 Depth=2
	v_bfe_u32 v3, v12, 16, 7
	v_cmp_ne_u32_e32 vcc, s68, v3
	v_mov_b32_e32 v0, 0x7f800001
	s_and_saveexec_b64 s[54:55], vcc
	s_cbranch_execz .LBB2_2783
; %bb.2782:                             ;   in Loop: Header=BB2_2591 Depth=2
	v_and_b32_e32 v0, 7, v10
	v_ffbh_u32_e32 v11, v0
	v_min_u32_e32 v11, 32, v11
	v_subrev_u32_e32 v14, 28, v11
	v_lshlrev_b64 v[14:15], v14, v[10:11]
	v_lshrrev_b32_e32 v4, 3, v3
	v_sub_u32_e32 v11, 29, v11
	v_and_b32_e32 v14, 7, v14
	v_cmp_gt_u32_e32 vcc, 8, v3
	v_cndmask_b32_e32 v3, v4, v11, vcc
	v_cndmask_b32_e32 v0, v0, v14, vcc
	v_lshlrev_b32_e32 v4, 24, v10
	v_lshlrev_b32_e32 v0, 20, v0
	v_and_b32_e32 v4, 0x80000000, v4
	v_lshl_add_u32 v3, v3, 23, v50
	v_or3_b32 v0, v4, v3, v0
.LBB2_2783:                             ;   in Loop: Header=BB2_2591 Depth=2
	s_or_b64 exec, exec, s[54:55]
.LBB2_2784:                             ;   in Loop: Header=BB2_2591 Depth=2
	s_or_b64 exec, exec, s[52:53]
.LBB2_2785:                             ;   in Loop: Header=BB2_2591 Depth=2
	s_or_b64 exec, exec, s[18:19]
	v_mul_f32_e32 v3, v7, v0
	v_and_b32_sdwa v0, v3, s69 dst_sel:DWORD dst_unused:UNUSED_PAD src0_sel:BYTE_3 src1_sel:DWORD
	v_and_b32_e32 v10, 0x7f800000, v3
	v_mov_b32_e32 v11, v37
	v_and_b32_e32 v36, 0x7fffff, v3
	v_or_b32_e32 v58, 0x7e, v0
	v_cmp_ne_u64_e32 vcc, s[38:39], v[10:11]
	s_and_saveexec_b64 s[18:19], vcc
	s_xor_b64 s[52:53], exec, s[18:19]
	s_cbranch_execz .LBB2_2795
; %bb.2786:                             ;   in Loop: Header=BB2_2591 Depth=2
	v_and_b32_e32 v10, 0x7fffffff, v3
	v_mov_b32_e32 v11, v37
	v_cmp_gt_u64_e32 vcc, s[40:41], v[10:11]
	s_and_saveexec_b64 s[54:55], vcc
	s_cbranch_execz .LBB2_2794
; %bb.2787:                             ;   in Loop: Header=BB2_2591 Depth=2
	v_cmp_ne_u32_e32 vcc, 0, v3
	v_mov_b32_e32 v58, 0
	s_and_saveexec_b64 s[56:57], vcc
	s_cbranch_execz .LBB2_2793
; %bb.2788:                             ;   in Loop: Header=BB2_2591 Depth=2
	v_bfe_u32 v3, v3, 23, 8
	v_sub_u32_e32 v10, 0x79, v3
	v_cmp_gt_u32_e32 vcc, s71, v3
	v_add_u32_e32 v4, 0xffffff81, v3
	v_cndmask_b32_e32 v10, 0, v10, vcc
	v_cmp_eq_u32_e32 vcc, 0, v3
	v_mov_b32_e32 v3, 0xffffff82
	v_cndmask_b32_e32 v3, v4, v3, vcc
	v_mov_b32_e32 v4, 0x78
	v_or_b32_e32 v11, 0x800000, v36
	v_cndmask_b32_e32 v4, v10, v4, vcc
	v_cndmask_b32_e32 v36, v11, v36, vcc
	v_add_u32_e32 v10, 20, v4
	v_lshlrev_b64 v[10:11], v10, -1
	v_add_u32_e32 v14, 19, v4
	v_lshrrev_b64 v[18:19], v4, v[36:37]
	v_not_b32_e32 v11, v11
	v_not_b32_e32 v10, v10
	v_lshlrev_b64 v[16:17], v14, 1
	v_lshrrev_b32_e32 v14, 23, v18
	v_and_b32_e32 v11, 0, v11
	v_and_b32_e32 v10, v36, v10
	v_add3_u32 v14, v4, v3, v14
	v_bfe_u32 v3, v18, 20, 1
	v_add_u32_e32 v3, -1, v3
	v_cmp_eq_u64_e32 vcc, v[10:11], v[16:17]
	v_cndmask_b32_e32 v3, 0, v3, vcc
	v_add_u32_e32 v3, v3, v18
	v_and_b32_e32 v3, 0xfffff, v3
	v_add_co_u32_e32 v10, vcc, v3, v18
	v_add_u32_e32 v4, 6, v14
	v_addc_co_u32_e32 v11, vcc, 0, v19, vcc
	v_cmp_ne_u32_e32 vcc, 0, v4
                                        ; implicit-def: $vgpr3
	s_and_saveexec_b64 s[18:19], vcc
	s_xor_b64 s[18:19], exec, s[18:19]
; %bb.2789:                             ;   in Loop: Header=BB2_2591 Depth=2
	v_add_u32_e32 v3, 7, v14
	v_cmp_lt_u64_e32 vcc, s[44:45], v[10:11]
	v_cndmask_b32_e32 v3, v4, v3, vcc
	v_cndmask_b32_e64 v4, 0, 1, vcc
	v_lshrrev_b64 v[10:11], v4, v[10:11]
; %bb.2790:                             ;   in Loop: Header=BB2_2591 Depth=2
	s_andn2_saveexec_b64 s[18:19], s[18:19]
; %bb.2791:                             ;   in Loop: Header=BB2_2591 Depth=2
	v_bfe_u32 v3, v10, 23, 1
; %bb.2792:                             ;   in Loop: Header=BB2_2591 Depth=2
	s_or_b64 exec, exec, s[18:19]
	v_lshrrev_b64 v[10:11], 20, v[10:11]
	v_cmp_gt_i32_e32 vcc, 16, v3
	v_cndmask_b32_e32 v11, 0, v11, vcc
	v_cndmask_b32_e32 v10, 7, v10, vcc
	v_cmp_eq_u32_e32 vcc, 0, v3
	v_min_i32_e32 v3, 15, v3
	v_cmp_eq_u64_e64 s[18:19], 0, v[10:11]
	v_lshlrev_b32_e32 v3, 3, v3
	v_and_or_b32 v3, v10, 7, v3
	s_and_b64 s[18:19], vcc, s[18:19]
	v_cndmask_b32_e64 v3, v3, 0, s[18:19]
	v_or_b32_e32 v58, v3, v0
.LBB2_2793:                             ;   in Loop: Header=BB2_2591 Depth=2
	s_or_b64 exec, exec, s[56:57]
.LBB2_2794:                             ;   in Loop: Header=BB2_2591 Depth=2
	s_or_b64 exec, exec, s[54:55]
                                        ; implicit-def: $vgpr3
.LBB2_2795:                             ;   in Loop: Header=BB2_2591 Depth=2
	s_andn2_saveexec_b64 s[18:19], s[52:53]
; %bb.2796:                             ;   in Loop: Header=BB2_2591 Depth=2
	v_or_b32_sdwa v0, v3, s68 dst_sel:DWORD dst_unused:UNUSED_PAD src0_sel:BYTE_3 src1_sel:DWORD
	v_cmp_eq_u64_e32 vcc, 0, v[36:37]
	v_cndmask_b32_e32 v58, v0, v58, vcc
; %bb.2797:                             ;   in Loop: Header=BB2_2591 Depth=2
	s_or_b64 exec, exec, s[18:19]
	v_cmp_lt_u32_e32 vcc, s43, v12
	v_mov_b32_e32 v0, 0
	s_and_saveexec_b64 s[18:19], vcc
	s_cbranch_execz .LBB2_2803
; %bb.2798:                             ;   in Loop: Header=BB2_2591 Depth=2
	v_lshrrev_b32_e32 v10, 24, v12
	v_cmp_ne_u32_e32 vcc, s69, v10
	v_bfrev_b32_e32 v0, 1
	s_and_saveexec_b64 s[52:53], vcc
	s_cbranch_execz .LBB2_2802
; %bb.2799:                             ;   in Loop: Header=BB2_2591 Depth=2
	v_bfe_u32 v3, v12, 24, 7
	v_cmp_ne_u32_e32 vcc, s68, v3
	v_mov_b32_e32 v0, 0x7f800001
	s_and_saveexec_b64 s[54:55], vcc
	s_cbranch_execz .LBB2_2801
; %bb.2800:                             ;   in Loop: Header=BB2_2591 Depth=2
	v_and_b32_e32 v0, 7, v10
	v_ffbh_u32_e32 v11, v0
	v_min_u32_e32 v11, 32, v11
	v_subrev_u32_e32 v14, 28, v11
	v_lshlrev_b64 v[14:15], v14, v[10:11]
	v_lshrrev_b32_e32 v4, 3, v3
	v_sub_u32_e32 v11, 29, v11
	v_and_b32_e32 v14, 7, v14
	v_cmp_gt_u32_e32 vcc, 8, v3
	v_cndmask_b32_e32 v3, v4, v11, vcc
	v_cndmask_b32_e32 v0, v0, v14, vcc
	v_lshlrev_b32_e32 v4, 24, v10
	v_lshlrev_b32_e32 v0, 20, v0
	v_and_b32_e32 v4, 0x80000000, v4
	v_lshl_add_u32 v3, v3, 23, v50
	v_or3_b32 v0, v4, v3, v0
.LBB2_2801:                             ;   in Loop: Header=BB2_2591 Depth=2
	s_or_b64 exec, exec, s[54:55]
.LBB2_2802:                             ;   in Loop: Header=BB2_2591 Depth=2
	s_or_b64 exec, exec, s[52:53]
.LBB2_2803:                             ;   in Loop: Header=BB2_2591 Depth=2
	s_or_b64 exec, exec, s[18:19]
	v_mul_f32_e32 v3, v7, v0
	v_and_b32_sdwa v0, v3, s69 dst_sel:DWORD dst_unused:UNUSED_PAD src0_sel:BYTE_3 src1_sel:DWORD
	v_and_b32_e32 v10, 0x7f800000, v3
	v_mov_b32_e32 v11, v37
	v_and_b32_e32 v36, 0x7fffff, v3
	v_or_b32_e32 v4, 0x7e, v0
	v_cmp_ne_u64_e32 vcc, s[38:39], v[10:11]
	s_and_saveexec_b64 s[18:19], vcc
	s_xor_b64 s[52:53], exec, s[18:19]
	s_cbranch_execz .LBB2_2813
; %bb.2804:                             ;   in Loop: Header=BB2_2591 Depth=2
	v_and_b32_e32 v10, 0x7fffffff, v3
	v_mov_b32_e32 v11, v37
	v_cmp_gt_u64_e32 vcc, s[40:41], v[10:11]
	s_and_saveexec_b64 s[54:55], vcc
	s_cbranch_execz .LBB2_2812
; %bb.2805:                             ;   in Loop: Header=BB2_2591 Depth=2
	v_cmp_ne_u32_e32 vcc, 0, v3
	v_mov_b32_e32 v4, 0
	s_and_saveexec_b64 s[56:57], vcc
	s_cbranch_execz .LBB2_2811
; %bb.2806:                             ;   in Loop: Header=BB2_2591 Depth=2
	v_bfe_u32 v3, v3, 23, 8
	v_sub_u32_e32 v10, 0x79, v3
	v_cmp_gt_u32_e32 vcc, s71, v3
	v_add_u32_e32 v4, 0xffffff81, v3
	v_cndmask_b32_e32 v10, 0, v10, vcc
	v_cmp_eq_u32_e32 vcc, 0, v3
	v_mov_b32_e32 v3, 0xffffff82
	v_cndmask_b32_e32 v3, v4, v3, vcc
	v_mov_b32_e32 v4, 0x78
	v_or_b32_e32 v11, 0x800000, v36
	v_cndmask_b32_e32 v4, v10, v4, vcc
	v_cndmask_b32_e32 v36, v11, v36, vcc
	v_add_u32_e32 v10, 20, v4
	v_lshlrev_b64 v[10:11], v10, -1
	v_add_u32_e32 v14, 19, v4
	v_lshrrev_b64 v[18:19], v4, v[36:37]
	v_not_b32_e32 v11, v11
	v_not_b32_e32 v10, v10
	v_lshlrev_b64 v[16:17], v14, 1
	v_lshrrev_b32_e32 v14, 23, v18
	v_and_b32_e32 v11, 0, v11
	v_and_b32_e32 v10, v36, v10
	v_add3_u32 v14, v4, v3, v14
	v_bfe_u32 v3, v18, 20, 1
	v_add_u32_e32 v3, -1, v3
	v_cmp_eq_u64_e32 vcc, v[10:11], v[16:17]
	v_cndmask_b32_e32 v3, 0, v3, vcc
	v_add_u32_e32 v3, v3, v18
	v_and_b32_e32 v3, 0xfffff, v3
	v_add_co_u32_e32 v10, vcc, v3, v18
	v_add_u32_e32 v4, 6, v14
	v_addc_co_u32_e32 v11, vcc, 0, v19, vcc
	v_cmp_ne_u32_e32 vcc, 0, v4
                                        ; implicit-def: $vgpr3
	s_and_saveexec_b64 s[18:19], vcc
	s_xor_b64 s[18:19], exec, s[18:19]
; %bb.2807:                             ;   in Loop: Header=BB2_2591 Depth=2
	v_add_u32_e32 v3, 7, v14
	v_cmp_lt_u64_e32 vcc, s[44:45], v[10:11]
	v_cndmask_b32_e32 v3, v4, v3, vcc
	v_cndmask_b32_e64 v4, 0, 1, vcc
	v_lshrrev_b64 v[10:11], v4, v[10:11]
; %bb.2808:                             ;   in Loop: Header=BB2_2591 Depth=2
	s_andn2_saveexec_b64 s[18:19], s[18:19]
; %bb.2809:                             ;   in Loop: Header=BB2_2591 Depth=2
	v_bfe_u32 v3, v10, 23, 1
; %bb.2810:                             ;   in Loop: Header=BB2_2591 Depth=2
	s_or_b64 exec, exec, s[18:19]
	v_lshrrev_b64 v[10:11], 20, v[10:11]
	v_cmp_gt_i32_e32 vcc, 16, v3
	v_cndmask_b32_e32 v11, 0, v11, vcc
	v_cndmask_b32_e32 v10, 7, v10, vcc
	v_cmp_eq_u32_e32 vcc, 0, v3
	v_min_i32_e32 v3, 15, v3
	v_cmp_eq_u64_e64 s[18:19], 0, v[10:11]
	v_lshlrev_b32_e32 v3, 3, v3
	v_and_or_b32 v3, v10, 7, v3
	s_and_b64 s[18:19], vcc, s[18:19]
	v_cndmask_b32_e64 v3, v3, 0, s[18:19]
	v_or_b32_e32 v4, v3, v0
.LBB2_2811:                             ;   in Loop: Header=BB2_2591 Depth=2
	s_or_b64 exec, exec, s[56:57]
.LBB2_2812:                             ;   in Loop: Header=BB2_2591 Depth=2
	s_or_b64 exec, exec, s[54:55]
                                        ; implicit-def: $vgpr3
.LBB2_2813:                             ;   in Loop: Header=BB2_2591 Depth=2
	s_andn2_saveexec_b64 s[18:19], s[52:53]
; %bb.2814:                             ;   in Loop: Header=BB2_2591 Depth=2
	v_or_b32_sdwa v0, v3, s68 dst_sel:DWORD dst_unused:UNUSED_PAD src0_sel:BYTE_3 src1_sel:DWORD
	v_cmp_eq_u64_e32 vcc, 0, v[36:37]
	v_cndmask_b32_e32 v4, v0, v4, vcc
; %bb.2815:                             ;   in Loop: Header=BB2_2591 Depth=2
	s_or_b64 exec, exec, s[18:19]
	v_mov_b32_e32 v36, v13
	v_cmp_ne_u16_sdwa vcc, v13, v37 src0_sel:BYTE_0 src1_sel:DWORD
	v_mov_b32_e32 v0, 0
	s_and_saveexec_b64 s[18:19], vcc
	s_cbranch_execz .LBB2_2821
; %bb.2816:                             ;   in Loop: Header=BB2_2591 Depth=2
	v_cmp_ne_u16_sdwa vcc, v13, s69 src0_sel:BYTE_0 src1_sel:DWORD
	v_bfrev_b32_e32 v0, 1
	s_and_saveexec_b64 s[52:53], vcc
	s_cbranch_execz .LBB2_2820
; %bb.2817:                             ;   in Loop: Header=BB2_2591 Depth=2
	v_and_b32_e32 v3, 0x7f, v13
	v_cmp_ne_u32_e32 vcc, s68, v3
	v_mov_b32_e32 v0, 0x7f800001
	s_and_saveexec_b64 s[54:55], vcc
	s_cbranch_execz .LBB2_2819
; %bb.2818:                             ;   in Loop: Header=BB2_2591 Depth=2
	v_and_b32_e32 v0, 7, v13
	v_ffbh_u32_e32 v0, v0
	v_min_u32_e32 v0, 32, v0
	v_subrev_u32_e32 v11, 28, v0
	v_cmp_gt_u32_e32 vcc, 8, v3
	v_lshrrev_b32_e32 v10, 3, v3
	v_sub_u32_e32 v0, 29, v0
	v_cndmask_b32_e32 v3, 0, v11, vcc
	v_cndmask_b32_e32 v0, v10, v0, vcc
	v_lshlrev_b64 v[10:11], v3, v[36:37]
	v_lshlrev_b32_e32 v3, 20, v10
	v_lshlrev_b32_e32 v10, 24, v36
	v_and_b32_e32 v3, 0x700000, v3
	v_and_b32_e32 v10, 0x80000000, v10
	v_lshl_add_u32 v0, v0, 23, v50
	v_or3_b32 v0, v10, v0, v3
.LBB2_2819:                             ;   in Loop: Header=BB2_2591 Depth=2
	s_or_b64 exec, exec, s[54:55]
.LBB2_2820:                             ;   in Loop: Header=BB2_2591 Depth=2
	s_or_b64 exec, exec, s[52:53]
.LBB2_2821:                             ;   in Loop: Header=BB2_2591 Depth=2
	s_or_b64 exec, exec, s[18:19]
	v_mul_f32_e32 v3, v7, v0
	v_and_b32_sdwa v0, v3, s69 dst_sel:DWORD dst_unused:UNUSED_PAD src0_sel:BYTE_3 src1_sel:DWORD
	v_and_b32_e32 v14, 0x7f800000, v3
	v_mov_b32_e32 v15, v37
	v_and_b32_e32 v10, 0x7fffff, v3
	v_mov_b32_e32 v11, v37
	v_or_b32_e32 v31, 0x7e, v0
	v_cmp_ne_u64_e32 vcc, s[38:39], v[14:15]
	s_and_saveexec_b64 s[18:19], vcc
	s_xor_b64 s[52:53], exec, s[18:19]
	s_cbranch_execz .LBB2_2831
; %bb.2822:                             ;   in Loop: Header=BB2_2591 Depth=2
	v_and_b32_e32 v14, 0x7fffffff, v3
	v_mov_b32_e32 v15, v37
	v_cmp_gt_u64_e32 vcc, s[40:41], v[14:15]
	s_and_saveexec_b64 s[54:55], vcc
	s_cbranch_execz .LBB2_2830
; %bb.2823:                             ;   in Loop: Header=BB2_2591 Depth=2
	v_cmp_ne_u32_e32 vcc, 0, v3
	v_mov_b32_e32 v31, 0
	s_and_saveexec_b64 s[56:57], vcc
	s_cbranch_execz .LBB2_2829
; %bb.2824:                             ;   in Loop: Header=BB2_2591 Depth=2
	v_bfe_u32 v3, v3, 23, 8
	v_sub_u32_e32 v15, 0x79, v3
	v_cmp_gt_u32_e32 vcc, s71, v3
	v_add_u32_e32 v14, 0xffffff81, v3
	v_cndmask_b32_e32 v15, 0, v15, vcc
	v_cmp_eq_u32_e32 vcc, 0, v3
	v_mov_b32_e32 v3, 0xffffff82
	v_cndmask_b32_e32 v3, v14, v3, vcc
	v_mov_b32_e32 v14, 0x78
	v_cndmask_b32_e32 v21, v15, v14, vcc
	v_add_u32_e32 v14, 20, v21
	v_or_b32_e32 v16, 0x800000, v10
	v_lshlrev_b64 v[14:15], v14, -1
	v_cndmask_b32_e32 v10, v16, v10, vcc
	v_not_b32_e32 v14, v14
	v_and_b32_e32 v16, v10, v14
	v_add_u32_e32 v14, 19, v21
	v_lshrrev_b64 v[10:11], v21, v[10:11]
	v_not_b32_e32 v15, v15
	v_lshlrev_b64 v[18:19], v14, 1
	v_lshrrev_b32_e32 v14, 23, v10
	v_and_b32_e32 v17, 0, v15
	v_add3_u32 v15, v21, v3, v14
	v_bfe_u32 v3, v10, 20, 1
	v_add_u32_e32 v3, -1, v3
	v_cmp_eq_u64_e32 vcc, v[16:17], v[18:19]
	v_cndmask_b32_e32 v3, 0, v3, vcc
	v_add_u32_e32 v3, v3, v10
	v_and_b32_e32 v3, 0xfffff, v3
	v_add_co_u32_e32 v10, vcc, v3, v10
	v_add_u32_e32 v14, 6, v15
	v_addc_co_u32_e32 v11, vcc, 0, v11, vcc
	v_cmp_ne_u32_e32 vcc, 0, v14
                                        ; implicit-def: $vgpr3
	s_and_saveexec_b64 s[18:19], vcc
	s_xor_b64 s[18:19], exec, s[18:19]
; %bb.2825:                             ;   in Loop: Header=BB2_2591 Depth=2
	v_add_u32_e32 v3, 7, v15
	v_cmp_lt_u64_e32 vcc, s[44:45], v[10:11]
	v_cndmask_b32_e32 v3, v14, v3, vcc
	v_cndmask_b32_e64 v14, 0, 1, vcc
	v_lshrrev_b64 v[10:11], v14, v[10:11]
; %bb.2826:                             ;   in Loop: Header=BB2_2591 Depth=2
	s_andn2_saveexec_b64 s[18:19], s[18:19]
; %bb.2827:                             ;   in Loop: Header=BB2_2591 Depth=2
	v_bfe_u32 v3, v10, 23, 1
; %bb.2828:                             ;   in Loop: Header=BB2_2591 Depth=2
	s_or_b64 exec, exec, s[18:19]
	v_lshrrev_b64 v[10:11], 20, v[10:11]
	v_cmp_gt_i32_e32 vcc, 16, v3
	v_cndmask_b32_e32 v11, 0, v11, vcc
	v_cndmask_b32_e32 v10, 7, v10, vcc
	v_cmp_eq_u32_e32 vcc, 0, v3
	v_min_i32_e32 v3, 15, v3
	v_cmp_eq_u64_e64 s[18:19], 0, v[10:11]
	v_lshlrev_b32_e32 v3, 3, v3
	v_and_or_b32 v3, v10, 7, v3
	s_and_b64 s[18:19], vcc, s[18:19]
	v_cndmask_b32_e64 v3, v3, 0, s[18:19]
	v_or_b32_e32 v31, v3, v0
.LBB2_2829:                             ;   in Loop: Header=BB2_2591 Depth=2
	s_or_b64 exec, exec, s[56:57]
.LBB2_2830:                             ;   in Loop: Header=BB2_2591 Depth=2
	s_or_b64 exec, exec, s[54:55]
                                        ; implicit-def: $vgpr3
                                        ; implicit-def: $vgpr10_vgpr11
.LBB2_2831:                             ;   in Loop: Header=BB2_2591 Depth=2
	s_andn2_saveexec_b64 s[18:19], s[52:53]
; %bb.2832:                             ;   in Loop: Header=BB2_2591 Depth=2
	v_or_b32_sdwa v0, v3, s68 dst_sel:DWORD dst_unused:UNUSED_PAD src0_sel:BYTE_3 src1_sel:DWORD
	v_cmp_eq_u64_e32 vcc, 0, v[10:11]
	v_cndmask_b32_e32 v31, v0, v31, vcc
; %bb.2833:                             ;   in Loop: Header=BB2_2591 Depth=2
	s_or_b64 exec, exec, s[18:19]
	v_lshrrev_b16_e32 v10, 8, v36
	v_cmp_ne_u16_e32 vcc, 0, v10
	v_mov_b32_e32 v0, 0
	s_and_saveexec_b64 s[18:19], vcc
	s_cbranch_execz .LBB2_2839
; %bb.2834:                             ;   in Loop: Header=BB2_2591 Depth=2
	v_cmp_ne_u16_e32 vcc, s69, v10
	v_bfrev_b32_e32 v0, 1
	s_and_saveexec_b64 s[52:53], vcc
	s_cbranch_execz .LBB2_2838
; %bb.2835:                             ;   in Loop: Header=BB2_2591 Depth=2
	v_and_b32_e32 v3, 0x7f, v10
	v_cmp_ne_u32_e32 vcc, s68, v3
	v_mov_b32_e32 v0, 0x7f800001
	s_and_saveexec_b64 s[54:55], vcc
	s_cbranch_execz .LBB2_2837
; %bb.2836:                             ;   in Loop: Header=BB2_2591 Depth=2
	v_and_b32_e32 v0, 7, v10
	v_ffbh_u32_e32 v11, v0
	v_min_u32_e32 v15, 32, v11
	v_subrev_u32_e32 v11, 28, v15
	v_lshlrev_b64 v[10:11], v11, v[10:11]
	v_lshrrev_b32_e32 v14, 3, v3
	v_sub_u32_e32 v11, 29, v15
	v_and_b32_e32 v10, 7, v10
	v_cmp_gt_u32_e32 vcc, 8, v3
	v_cndmask_b32_e32 v3, v14, v11, vcc
	v_cndmask_b32_e32 v0, v0, v10, vcc
	v_lshlrev_b32_e32 v10, 16, v36
	v_lshlrev_b32_e32 v0, 20, v0
	v_and_b32_e32 v10, 0x80000000, v10
	v_lshl_add_u32 v3, v3, 23, v50
	v_or3_b32 v0, v10, v3, v0
.LBB2_2837:                             ;   in Loop: Header=BB2_2591 Depth=2
	s_or_b64 exec, exec, s[54:55]
.LBB2_2838:                             ;   in Loop: Header=BB2_2591 Depth=2
	s_or_b64 exec, exec, s[52:53]
.LBB2_2839:                             ;   in Loop: Header=BB2_2591 Depth=2
	s_or_b64 exec, exec, s[18:19]
	v_mul_f32_e32 v3, v7, v0
	v_and_b32_sdwa v0, v3, s69 dst_sel:DWORD dst_unused:UNUSED_PAD src0_sel:BYTE_3 src1_sel:DWORD
	v_and_b32_e32 v10, 0x7f800000, v3
	v_mov_b32_e32 v11, v37
	v_and_b32_e32 v36, 0x7fffff, v3
	v_or_b32_e32 v33, 0x7e, v0
	v_cmp_ne_u64_e32 vcc, s[38:39], v[10:11]
	s_and_saveexec_b64 s[18:19], vcc
	s_xor_b64 s[52:53], exec, s[18:19]
	s_cbranch_execz .LBB2_2849
; %bb.2840:                             ;   in Loop: Header=BB2_2591 Depth=2
	v_and_b32_e32 v10, 0x7fffffff, v3
	v_mov_b32_e32 v11, v37
	v_cmp_gt_u64_e32 vcc, s[40:41], v[10:11]
	s_and_saveexec_b64 s[54:55], vcc
	s_cbranch_execz .LBB2_2848
; %bb.2841:                             ;   in Loop: Header=BB2_2591 Depth=2
	v_cmp_ne_u32_e32 vcc, 0, v3
	v_mov_b32_e32 v33, 0
	s_and_saveexec_b64 s[56:57], vcc
	s_cbranch_execz .LBB2_2847
; %bb.2842:                             ;   in Loop: Header=BB2_2591 Depth=2
	v_bfe_u32 v3, v3, 23, 8
	v_sub_u32_e32 v11, 0x79, v3
	v_cmp_gt_u32_e32 vcc, s71, v3
	v_add_u32_e32 v10, 0xffffff81, v3
	v_cndmask_b32_e32 v11, 0, v11, vcc
	v_cmp_eq_u32_e32 vcc, 0, v3
	v_mov_b32_e32 v3, 0xffffff82
	v_cndmask_b32_e32 v3, v10, v3, vcc
	v_mov_b32_e32 v10, 0x78
	v_or_b32_e32 v14, 0x800000, v36
	v_cndmask_b32_e32 v15, v11, v10, vcc
	v_cndmask_b32_e32 v36, v14, v36, vcc
	v_add_u32_e32 v10, 20, v15
	v_lshlrev_b64 v[10:11], v10, -1
	v_add_u32_e32 v14, 19, v15
	v_lshrrev_b64 v[18:19], v15, v[36:37]
	v_not_b32_e32 v11, v11
	v_not_b32_e32 v10, v10
	v_lshlrev_b64 v[16:17], v14, 1
	v_lshrrev_b32_e32 v14, 23, v18
	v_and_b32_e32 v11, 0, v11
	v_and_b32_e32 v10, v36, v10
	v_add3_u32 v15, v15, v3, v14
	v_bfe_u32 v3, v18, 20, 1
	v_add_u32_e32 v3, -1, v3
	v_cmp_eq_u64_e32 vcc, v[10:11], v[16:17]
	v_cndmask_b32_e32 v3, 0, v3, vcc
	v_add_u32_e32 v3, v3, v18
	v_and_b32_e32 v3, 0xfffff, v3
	v_add_co_u32_e32 v10, vcc, v3, v18
	v_add_u32_e32 v14, 6, v15
	v_addc_co_u32_e32 v11, vcc, 0, v19, vcc
	v_cmp_ne_u32_e32 vcc, 0, v14
                                        ; implicit-def: $vgpr3
	s_and_saveexec_b64 s[18:19], vcc
	s_xor_b64 s[18:19], exec, s[18:19]
; %bb.2843:                             ;   in Loop: Header=BB2_2591 Depth=2
	v_add_u32_e32 v3, 7, v15
	v_cmp_lt_u64_e32 vcc, s[44:45], v[10:11]
	v_cndmask_b32_e32 v3, v14, v3, vcc
	v_cndmask_b32_e64 v14, 0, 1, vcc
	v_lshrrev_b64 v[10:11], v14, v[10:11]
; %bb.2844:                             ;   in Loop: Header=BB2_2591 Depth=2
	s_andn2_saveexec_b64 s[18:19], s[18:19]
; %bb.2845:                             ;   in Loop: Header=BB2_2591 Depth=2
	v_bfe_u32 v3, v10, 23, 1
; %bb.2846:                             ;   in Loop: Header=BB2_2591 Depth=2
	s_or_b64 exec, exec, s[18:19]
	v_lshrrev_b64 v[10:11], 20, v[10:11]
	v_cmp_gt_i32_e32 vcc, 16, v3
	v_cndmask_b32_e32 v11, 0, v11, vcc
	v_cndmask_b32_e32 v10, 7, v10, vcc
	v_cmp_eq_u32_e32 vcc, 0, v3
	v_min_i32_e32 v3, 15, v3
	v_lshlrev_b32_e32 v3, 3, v3
	v_cmp_eq_u64_e64 s[18:19], 0, v[10:11]
	v_and_b32_e32 v3, 0xf8, v3
	v_and_or_b32 v3, v10, 7, v3
	s_and_b64 s[18:19], vcc, s[18:19]
	v_cndmask_b32_e64 v3, v3, 0, s[18:19]
	v_or_b32_e32 v33, v3, v0
.LBB2_2847:                             ;   in Loop: Header=BB2_2591 Depth=2
	s_or_b64 exec, exec, s[56:57]
.LBB2_2848:                             ;   in Loop: Header=BB2_2591 Depth=2
	s_or_b64 exec, exec, s[54:55]
                                        ; implicit-def: $vgpr3
.LBB2_2849:                             ;   in Loop: Header=BB2_2591 Depth=2
	s_andn2_saveexec_b64 s[18:19], s[52:53]
; %bb.2850:                             ;   in Loop: Header=BB2_2591 Depth=2
	v_or_b32_sdwa v0, v3, s68 dst_sel:DWORD dst_unused:UNUSED_PAD src0_sel:BYTE_3 src1_sel:DWORD
	v_cmp_eq_u64_e32 vcc, 0, v[36:37]
	v_cndmask_b32_e32 v33, v0, v33, vcc
; %bb.2851:                             ;   in Loop: Header=BB2_2591 Depth=2
	s_or_b64 exec, exec, s[18:19]
	v_lshrrev_b32_e32 v10, 16, v13
	v_cmp_ne_u16_sdwa vcc, v10, v37 src0_sel:BYTE_0 src1_sel:DWORD
	v_mov_b32_e32 v0, 0
	s_and_saveexec_b64 s[18:19], vcc
	s_cbranch_execz .LBB2_2857
; %bb.2852:                             ;   in Loop: Header=BB2_2591 Depth=2
	v_cmp_ne_u16_sdwa vcc, v10, s69 src0_sel:BYTE_0 src1_sel:DWORD
	v_bfrev_b32_e32 v0, 1
	s_and_saveexec_b64 s[52:53], vcc
	s_cbranch_execz .LBB2_2856
; %bb.2853:                             ;   in Loop: Header=BB2_2591 Depth=2
	v_bfe_u32 v3, v13, 16, 7
	v_cmp_ne_u32_e32 vcc, s68, v3
	v_mov_b32_e32 v0, 0x7f800001
	s_and_saveexec_b64 s[54:55], vcc
	s_cbranch_execz .LBB2_2855
; %bb.2854:                             ;   in Loop: Header=BB2_2591 Depth=2
	v_and_b32_e32 v0, 7, v10
	v_ffbh_u32_e32 v14, v0
	v_min_u32_e32 v16, 32, v14
	v_lshrrev_b32_e32 v11, 3, v3
	v_subrev_u32_e32 v14, 28, v16
	v_lshlrev_b64 v[14:15], v14, v[10:11]
	v_sub_u32_e32 v15, 29, v16
	v_and_b32_e32 v14, 7, v14
	v_cmp_gt_u32_e32 vcc, 8, v3
	v_cndmask_b32_e32 v3, v11, v15, vcc
	v_cndmask_b32_e32 v0, v0, v14, vcc
	v_lshlrev_b32_e32 v10, 24, v10
	v_lshlrev_b32_e32 v0, 20, v0
	v_and_b32_e32 v10, 0x80000000, v10
	v_lshl_add_u32 v3, v3, 23, v50
	v_or3_b32 v0, v10, v3, v0
.LBB2_2855:                             ;   in Loop: Header=BB2_2591 Depth=2
	s_or_b64 exec, exec, s[54:55]
.LBB2_2856:                             ;   in Loop: Header=BB2_2591 Depth=2
	s_or_b64 exec, exec, s[52:53]
.LBB2_2857:                             ;   in Loop: Header=BB2_2591 Depth=2
	s_or_b64 exec, exec, s[18:19]
	v_mul_f32_e32 v3, v7, v0
	v_and_b32_sdwa v0, v3, s69 dst_sel:DWORD dst_unused:UNUSED_PAD src0_sel:BYTE_3 src1_sel:DWORD
	v_and_b32_e32 v10, 0x7f800000, v3
	v_mov_b32_e32 v11, v37
	v_and_b32_e32 v36, 0x7fffff, v3
	v_or_b32_e32 v62, 0x7e, v0
	v_cmp_ne_u64_e32 vcc, s[38:39], v[10:11]
	s_and_saveexec_b64 s[18:19], vcc
	s_xor_b64 s[52:53], exec, s[18:19]
	s_cbranch_execz .LBB2_2867
; %bb.2858:                             ;   in Loop: Header=BB2_2591 Depth=2
	v_and_b32_e32 v10, 0x7fffffff, v3
	v_mov_b32_e32 v11, v37
	v_cmp_gt_u64_e32 vcc, s[40:41], v[10:11]
	s_and_saveexec_b64 s[54:55], vcc
	s_cbranch_execz .LBB2_2866
; %bb.2859:                             ;   in Loop: Header=BB2_2591 Depth=2
	v_cmp_ne_u32_e32 vcc, 0, v3
	v_mov_b32_e32 v62, 0
	s_and_saveexec_b64 s[56:57], vcc
	s_cbranch_execz .LBB2_2865
; %bb.2860:                             ;   in Loop: Header=BB2_2591 Depth=2
	v_bfe_u32 v3, v3, 23, 8
	v_sub_u32_e32 v11, 0x79, v3
	v_cmp_gt_u32_e32 vcc, s71, v3
	v_add_u32_e32 v10, 0xffffff81, v3
	v_cndmask_b32_e32 v11, 0, v11, vcc
	v_cmp_eq_u32_e32 vcc, 0, v3
	v_mov_b32_e32 v3, 0xffffff82
	v_cndmask_b32_e32 v3, v10, v3, vcc
	v_mov_b32_e32 v10, 0x78
	v_or_b32_e32 v14, 0x800000, v36
	v_cndmask_b32_e32 v15, v11, v10, vcc
	v_cndmask_b32_e32 v36, v14, v36, vcc
	v_add_u32_e32 v10, 20, v15
	v_lshlrev_b64 v[10:11], v10, -1
	v_add_u32_e32 v14, 19, v15
	v_lshrrev_b64 v[18:19], v15, v[36:37]
	v_not_b32_e32 v11, v11
	v_not_b32_e32 v10, v10
	v_lshlrev_b64 v[16:17], v14, 1
	v_lshrrev_b32_e32 v14, 23, v18
	v_and_b32_e32 v11, 0, v11
	v_and_b32_e32 v10, v36, v10
	v_add3_u32 v15, v15, v3, v14
	v_bfe_u32 v3, v18, 20, 1
	v_add_u32_e32 v3, -1, v3
	v_cmp_eq_u64_e32 vcc, v[10:11], v[16:17]
	v_cndmask_b32_e32 v3, 0, v3, vcc
	v_add_u32_e32 v3, v3, v18
	v_and_b32_e32 v3, 0xfffff, v3
	v_add_co_u32_e32 v10, vcc, v3, v18
	v_add_u32_e32 v14, 6, v15
	v_addc_co_u32_e32 v11, vcc, 0, v19, vcc
	v_cmp_ne_u32_e32 vcc, 0, v14
                                        ; implicit-def: $vgpr3
	s_and_saveexec_b64 s[18:19], vcc
	s_xor_b64 s[18:19], exec, s[18:19]
; %bb.2861:                             ;   in Loop: Header=BB2_2591 Depth=2
	v_add_u32_e32 v3, 7, v15
	v_cmp_lt_u64_e32 vcc, s[44:45], v[10:11]
	v_cndmask_b32_e32 v3, v14, v3, vcc
	v_cndmask_b32_e64 v14, 0, 1, vcc
	v_lshrrev_b64 v[10:11], v14, v[10:11]
; %bb.2862:                             ;   in Loop: Header=BB2_2591 Depth=2
	s_andn2_saveexec_b64 s[18:19], s[18:19]
; %bb.2863:                             ;   in Loop: Header=BB2_2591 Depth=2
	v_bfe_u32 v3, v10, 23, 1
; %bb.2864:                             ;   in Loop: Header=BB2_2591 Depth=2
	s_or_b64 exec, exec, s[18:19]
	v_lshrrev_b64 v[10:11], 20, v[10:11]
	v_cmp_gt_i32_e32 vcc, 16, v3
	v_cndmask_b32_e32 v11, 0, v11, vcc
	v_cndmask_b32_e32 v10, 7, v10, vcc
	v_cmp_eq_u32_e32 vcc, 0, v3
	v_min_i32_e32 v3, 15, v3
	v_lshlrev_b32_e32 v3, 3, v3
	v_cmp_eq_u64_e64 s[18:19], 0, v[10:11]
	v_and_b32_e32 v3, 0xf8, v3
	v_and_or_b32 v3, v10, 7, v3
	s_and_b64 s[18:19], vcc, s[18:19]
	v_cndmask_b32_e64 v3, v3, 0, s[18:19]
	v_or_b32_e32 v62, v3, v0
.LBB2_2865:                             ;   in Loop: Header=BB2_2591 Depth=2
	s_or_b64 exec, exec, s[56:57]
.LBB2_2866:                             ;   in Loop: Header=BB2_2591 Depth=2
	s_or_b64 exec, exec, s[54:55]
                                        ; implicit-def: $vgpr3
.LBB2_2867:                             ;   in Loop: Header=BB2_2591 Depth=2
	s_andn2_saveexec_b64 s[18:19], s[52:53]
; %bb.2868:                             ;   in Loop: Header=BB2_2591 Depth=2
	v_or_b32_sdwa v0, v3, s68 dst_sel:DWORD dst_unused:UNUSED_PAD src0_sel:BYTE_3 src1_sel:DWORD
	v_cmp_eq_u64_e32 vcc, 0, v[36:37]
	v_cndmask_b32_e32 v62, v0, v62, vcc
; %bb.2869:                             ;   in Loop: Header=BB2_2591 Depth=2
	s_or_b64 exec, exec, s[18:19]
	v_cmp_lt_u64_e32 vcc, s[42:43], v[12:13]
	v_mov_b32_e32 v0, 0
	s_and_saveexec_b64 s[18:19], vcc
	s_cbranch_execz .LBB2_2875
; %bb.2870:                             ;   in Loop: Header=BB2_2591 Depth=2
	v_lshrrev_b32_e32 v10, 24, v13
	v_cmp_ne_u32_e32 vcc, s69, v10
	v_bfrev_b32_e32 v0, 1
	s_and_saveexec_b64 s[52:53], vcc
	s_cbranch_execz .LBB2_2874
; %bb.2871:                             ;   in Loop: Header=BB2_2591 Depth=2
	v_bfe_u32 v3, v13, 24, 7
	v_cmp_ne_u32_e32 vcc, s68, v3
	v_mov_b32_e32 v0, 0x7f800001
	s_and_saveexec_b64 s[54:55], vcc
	s_cbranch_execz .LBB2_2873
; %bb.2872:                             ;   in Loop: Header=BB2_2591 Depth=2
	v_and_b32_e32 v0, 7, v10
	v_ffbh_u32_e32 v12, v0
	v_min_u32_e32 v14, 32, v12
	v_lshrrev_b32_e32 v11, 3, v3
	v_subrev_u32_e32 v12, 28, v14
	v_lshlrev_b64 v[12:13], v12, v[10:11]
	v_sub_u32_e32 v13, 29, v14
	v_and_b32_e32 v12, 7, v12
	v_cmp_gt_u32_e32 vcc, 8, v3
	v_cndmask_b32_e32 v3, v11, v13, vcc
	v_cndmask_b32_e32 v0, v0, v12, vcc
	v_lshlrev_b32_e32 v10, 24, v10
	v_lshlrev_b32_e32 v0, 20, v0
	v_and_b32_e32 v10, 0x80000000, v10
	v_lshl_add_u32 v3, v3, 23, v50
	v_or3_b32 v0, v10, v3, v0
.LBB2_2873:                             ;   in Loop: Header=BB2_2591 Depth=2
	s_or_b64 exec, exec, s[54:55]
.LBB2_2874:                             ;   in Loop: Header=BB2_2591 Depth=2
	s_or_b64 exec, exec, s[52:53]
.LBB2_2875:                             ;   in Loop: Header=BB2_2591 Depth=2
	s_or_b64 exec, exec, s[18:19]
	v_mul_f32_e32 v3, v7, v0
	v_and_b32_sdwa v0, v3, s69 dst_sel:DWORD dst_unused:UNUSED_PAD src0_sel:BYTE_3 src1_sel:DWORD
	v_and_b32_e32 v10, 0x7f800000, v3
	v_mov_b32_e32 v11, v37
	v_and_b32_e32 v36, 0x7fffff, v3
	v_or_b32_e32 v18, 0x7e, v0
	v_cmp_ne_u64_e32 vcc, s[38:39], v[10:11]
	s_and_saveexec_b64 s[18:19], vcc
	s_xor_b64 s[52:53], exec, s[18:19]
	s_cbranch_execz .LBB2_2885
; %bb.2876:                             ;   in Loop: Header=BB2_2591 Depth=2
	v_and_b32_e32 v10, 0x7fffffff, v3
	v_mov_b32_e32 v11, v37
	v_cmp_gt_u64_e32 vcc, s[40:41], v[10:11]
	s_and_saveexec_b64 s[54:55], vcc
	s_cbranch_execz .LBB2_2884
; %bb.2877:                             ;   in Loop: Header=BB2_2591 Depth=2
	v_cmp_ne_u32_e32 vcc, 0, v3
	v_mov_b32_e32 v18, 0
	s_and_saveexec_b64 s[56:57], vcc
	s_cbranch_execz .LBB2_2883
; %bb.2878:                             ;   in Loop: Header=BB2_2591 Depth=2
	v_bfe_u32 v3, v3, 23, 8
	v_sub_u32_e32 v11, 0x79, v3
	v_cmp_gt_u32_e32 vcc, s71, v3
	v_add_u32_e32 v10, 0xffffff81, v3
	v_cndmask_b32_e32 v11, 0, v11, vcc
	v_cmp_eq_u32_e32 vcc, 0, v3
	v_mov_b32_e32 v3, 0xffffff82
	v_cndmask_b32_e32 v3, v10, v3, vcc
	v_mov_b32_e32 v10, 0x78
	v_or_b32_e32 v12, 0x800000, v36
	v_cndmask_b32_e32 v13, v11, v10, vcc
	v_cndmask_b32_e32 v36, v12, v36, vcc
	v_add_u32_e32 v10, 20, v13
	v_lshlrev_b64 v[10:11], v10, -1
	v_add_u32_e32 v12, 19, v13
	v_lshrrev_b64 v[16:17], v13, v[36:37]
	v_not_b32_e32 v11, v11
	v_not_b32_e32 v10, v10
	v_lshlrev_b64 v[14:15], v12, 1
	v_lshrrev_b32_e32 v12, 23, v16
	v_and_b32_e32 v11, 0, v11
	v_and_b32_e32 v10, v36, v10
	v_add3_u32 v13, v13, v3, v12
	v_bfe_u32 v3, v16, 20, 1
	v_add_u32_e32 v3, -1, v3
	v_cmp_eq_u64_e32 vcc, v[10:11], v[14:15]
	v_cndmask_b32_e32 v3, 0, v3, vcc
	v_add_u32_e32 v3, v3, v16
	v_and_b32_e32 v3, 0xfffff, v3
	v_add_co_u32_e32 v10, vcc, v3, v16
	v_add_u32_e32 v12, 6, v13
	v_addc_co_u32_e32 v11, vcc, 0, v17, vcc
	v_cmp_ne_u32_e32 vcc, 0, v12
                                        ; implicit-def: $vgpr3
	s_and_saveexec_b64 s[18:19], vcc
	s_xor_b64 s[18:19], exec, s[18:19]
; %bb.2879:                             ;   in Loop: Header=BB2_2591 Depth=2
	v_add_u32_e32 v3, 7, v13
	v_cmp_lt_u64_e32 vcc, s[44:45], v[10:11]
	v_cndmask_b32_e32 v3, v12, v3, vcc
	v_cndmask_b32_e64 v12, 0, 1, vcc
	v_lshrrev_b64 v[10:11], v12, v[10:11]
; %bb.2880:                             ;   in Loop: Header=BB2_2591 Depth=2
	s_andn2_saveexec_b64 s[18:19], s[18:19]
; %bb.2881:                             ;   in Loop: Header=BB2_2591 Depth=2
	v_bfe_u32 v3, v10, 23, 1
; %bb.2882:                             ;   in Loop: Header=BB2_2591 Depth=2
	s_or_b64 exec, exec, s[18:19]
	v_lshrrev_b64 v[10:11], 20, v[10:11]
	v_cmp_gt_i32_e32 vcc, 16, v3
	v_cndmask_b32_e32 v11, 0, v11, vcc
	v_cndmask_b32_e32 v10, 7, v10, vcc
	v_cmp_eq_u32_e32 vcc, 0, v3
	v_min_i32_e32 v3, 15, v3
	v_lshlrev_b32_e32 v3, 3, v3
	v_cmp_eq_u64_e64 s[18:19], 0, v[10:11]
	v_and_b32_e32 v3, 0xf8, v3
	v_and_or_b32 v3, v10, 7, v3
	s_and_b64 s[18:19], vcc, s[18:19]
	v_cndmask_b32_e64 v3, v3, 0, s[18:19]
	v_or_b32_e32 v18, v3, v0
.LBB2_2883:                             ;   in Loop: Header=BB2_2591 Depth=2
	s_or_b64 exec, exec, s[56:57]
.LBB2_2884:                             ;   in Loop: Header=BB2_2591 Depth=2
	s_or_b64 exec, exec, s[54:55]
                                        ; implicit-def: $vgpr3
.LBB2_2885:                             ;   in Loop: Header=BB2_2591 Depth=2
	s_andn2_saveexec_b64 s[18:19], s[52:53]
; %bb.2886:                             ;   in Loop: Header=BB2_2591 Depth=2
	v_or_b32_sdwa v0, v3, s68 dst_sel:DWORD dst_unused:UNUSED_PAD src0_sel:BYTE_3 src1_sel:DWORD
	v_cmp_eq_u64_e32 vcc, 0, v[36:37]
	v_cndmask_b32_e32 v18, v0, v18, vcc
; %bb.2887:                             ;   in Loop: Header=BB2_2591 Depth=2
	s_or_b64 exec, exec, s[18:19]
	global_load_dwordx4 v[10:13], v[40:41], off offset:1024 glc slc
	v_mov_b32_e32 v0, 0
	s_waitcnt vmcnt(0)
	v_cmp_ne_u16_sdwa vcc, v10, v37 src0_sel:BYTE_0 src1_sel:DWORD
	s_and_saveexec_b64 s[18:19], vcc
	s_cbranch_execz .LBB2_2893
; %bb.2888:                             ;   in Loop: Header=BB2_2591 Depth=2
	v_cmp_ne_u16_sdwa vcc, v10, s69 src0_sel:BYTE_0 src1_sel:DWORD
	v_bfrev_b32_e32 v0, 1
	s_and_saveexec_b64 s[52:53], vcc
	s_cbranch_execz .LBB2_2892
; %bb.2889:                             ;   in Loop: Header=BB2_2591 Depth=2
	v_and_b32_e32 v3, 0x7f, v10
	v_cmp_ne_u32_e32 vcc, s68, v3
	v_mov_b32_e32 v0, 0x7f800001
	s_and_saveexec_b64 s[54:55], vcc
	s_cbranch_execz .LBB2_2891
; %bb.2890:                             ;   in Loop: Header=BB2_2591 Depth=2
	v_and_b32_e32 v0, 7, v10
	v_ffbh_u32_e32 v0, v0
	v_min_u32_e32 v0, 32, v0
	v_subrev_u32_e32 v15, 28, v0
	v_cmp_gt_u32_e32 vcc, 8, v3
	v_lshrrev_b32_e32 v14, 3, v3
	v_sub_u32_e32 v0, 29, v0
	v_cndmask_b32_e32 v3, 0, v15, vcc
	v_cndmask_b32_e32 v0, v14, v0, vcc
	v_lshlrev_b64 v[14:15], v3, v[10:11]
	v_lshlrev_b32_e32 v3, 20, v14
	v_lshlrev_b32_e32 v14, 24, v10
	v_and_b32_e32 v3, 0x700000, v3
	v_and_b32_e32 v14, 0x80000000, v14
	v_lshl_add_u32 v0, v0, 23, v50
	v_or3_b32 v0, v14, v0, v3
.LBB2_2891:                             ;   in Loop: Header=BB2_2591 Depth=2
	s_or_b64 exec, exec, s[54:55]
.LBB2_2892:                             ;   in Loop: Header=BB2_2591 Depth=2
	s_or_b64 exec, exec, s[52:53]
.LBB2_2893:                             ;   in Loop: Header=BB2_2591 Depth=2
	s_or_b64 exec, exec, s[18:19]
	v_mul_f32_e32 v3, v7, v0
	v_and_b32_sdwa v0, v3, s69 dst_sel:DWORD dst_unused:UNUSED_PAD src0_sel:BYTE_3 src1_sel:DWORD
	v_and_b32_e32 v14, 0x7f800000, v3
	v_mov_b32_e32 v15, v37
	v_and_b32_e32 v36, 0x7fffff, v3
	v_or_b32_e32 v52, 0x7e, v0
	v_cmp_ne_u64_e32 vcc, s[38:39], v[14:15]
	s_and_saveexec_b64 s[18:19], vcc
	s_xor_b64 s[52:53], exec, s[18:19]
	s_cbranch_execz .LBB2_2903
; %bb.2894:                             ;   in Loop: Header=BB2_2591 Depth=2
	v_and_b32_e32 v14, 0x7fffffff, v3
	v_mov_b32_e32 v15, v37
	v_cmp_gt_u64_e32 vcc, s[40:41], v[14:15]
	s_and_saveexec_b64 s[54:55], vcc
	s_cbranch_execz .LBB2_2902
; %bb.2895:                             ;   in Loop: Header=BB2_2591 Depth=2
	v_cmp_ne_u32_e32 vcc, 0, v3
	v_mov_b32_e32 v52, 0
	s_and_saveexec_b64 s[56:57], vcc
	s_cbranch_execz .LBB2_2901
; %bb.2896:                             ;   in Loop: Header=BB2_2591 Depth=2
	v_bfe_u32 v3, v3, 23, 8
	v_sub_u32_e32 v15, 0x79, v3
	v_cmp_gt_u32_e32 vcc, s71, v3
	v_add_u32_e32 v14, 0xffffff81, v3
	v_cndmask_b32_e32 v15, 0, v15, vcc
	v_cmp_eq_u32_e32 vcc, 0, v3
	v_mov_b32_e32 v3, 0xffffff82
	v_cndmask_b32_e32 v3, v14, v3, vcc
	v_mov_b32_e32 v14, 0x78
	v_or_b32_e32 v16, 0x800000, v36
	v_cndmask_b32_e32 v17, v15, v14, vcc
	v_cndmask_b32_e32 v36, v16, v36, vcc
	v_add_u32_e32 v14, 20, v17
	v_lshlrev_b64 v[14:15], v14, -1
	v_add_u32_e32 v16, 19, v17
	v_lshrrev_b64 v[26:27], v17, v[36:37]
	v_not_b32_e32 v15, v15
	v_not_b32_e32 v14, v14
	v_lshlrev_b64 v[22:23], v16, 1
	v_lshrrev_b32_e32 v16, 23, v26
	v_and_b32_e32 v15, 0, v15
	v_and_b32_e32 v14, v36, v14
	v_add3_u32 v17, v17, v3, v16
	v_bfe_u32 v3, v26, 20, 1
	v_add_u32_e32 v3, -1, v3
	v_cmp_eq_u64_e32 vcc, v[14:15], v[22:23]
	v_cndmask_b32_e32 v3, 0, v3, vcc
	v_add_u32_e32 v3, v3, v26
	v_and_b32_e32 v3, 0xfffff, v3
	v_add_co_u32_e32 v14, vcc, v3, v26
	v_add_u32_e32 v16, 6, v17
	v_addc_co_u32_e32 v15, vcc, 0, v27, vcc
	v_cmp_ne_u32_e32 vcc, 0, v16
                                        ; implicit-def: $vgpr3
	s_and_saveexec_b64 s[18:19], vcc
	s_xor_b64 s[18:19], exec, s[18:19]
; %bb.2897:                             ;   in Loop: Header=BB2_2591 Depth=2
	v_add_u32_e32 v3, 7, v17
	v_cmp_lt_u64_e32 vcc, s[44:45], v[14:15]
	v_cndmask_b32_e32 v3, v16, v3, vcc
	v_cndmask_b32_e64 v16, 0, 1, vcc
	v_lshrrev_b64 v[14:15], v16, v[14:15]
; %bb.2898:                             ;   in Loop: Header=BB2_2591 Depth=2
	s_andn2_saveexec_b64 s[18:19], s[18:19]
; %bb.2899:                             ;   in Loop: Header=BB2_2591 Depth=2
	v_bfe_u32 v3, v14, 23, 1
; %bb.2900:                             ;   in Loop: Header=BB2_2591 Depth=2
	s_or_b64 exec, exec, s[18:19]
	v_lshrrev_b64 v[14:15], 20, v[14:15]
	v_cmp_gt_i32_e32 vcc, 16, v3
	v_cndmask_b32_e32 v15, 0, v15, vcc
	v_cndmask_b32_e32 v14, 7, v14, vcc
	v_cmp_eq_u32_e32 vcc, 0, v3
	v_min_i32_e32 v3, 15, v3
	v_cmp_eq_u64_e64 s[18:19], 0, v[14:15]
	v_lshlrev_b32_e32 v3, 3, v3
	v_and_or_b32 v3, v14, 7, v3
	s_and_b64 s[18:19], vcc, s[18:19]
	v_cndmask_b32_e64 v3, v3, 0, s[18:19]
	v_or_b32_e32 v52, v3, v0
.LBB2_2901:                             ;   in Loop: Header=BB2_2591 Depth=2
	s_or_b64 exec, exec, s[56:57]
.LBB2_2902:                             ;   in Loop: Header=BB2_2591 Depth=2
	s_or_b64 exec, exec, s[54:55]
                                        ; implicit-def: $vgpr3
.LBB2_2903:                             ;   in Loop: Header=BB2_2591 Depth=2
	s_andn2_saveexec_b64 s[18:19], s[52:53]
; %bb.2904:                             ;   in Loop: Header=BB2_2591 Depth=2
	v_or_b32_sdwa v0, v3, s68 dst_sel:DWORD dst_unused:UNUSED_PAD src0_sel:BYTE_3 src1_sel:DWORD
	v_cmp_eq_u64_e32 vcc, 0, v[36:37]
	v_cndmask_b32_e32 v52, v0, v52, vcc
; %bb.2905:                             ;   in Loop: Header=BB2_2591 Depth=2
	s_or_b64 exec, exec, s[18:19]
	v_lshrrev_b16_e32 v14, 8, v10
	v_cmp_ne_u16_e32 vcc, 0, v14
	v_mov_b32_e32 v0, 0
	s_and_saveexec_b64 s[18:19], vcc
	s_cbranch_execz .LBB2_2911
; %bb.2906:                             ;   in Loop: Header=BB2_2591 Depth=2
	v_cmp_ne_u16_e32 vcc, s69, v14
	v_bfrev_b32_e32 v0, 1
	s_and_saveexec_b64 s[52:53], vcc
	s_cbranch_execz .LBB2_2910
; %bb.2907:                             ;   in Loop: Header=BB2_2591 Depth=2
	v_and_b32_e32 v3, 0x7f, v14
	v_cmp_ne_u32_e32 vcc, s68, v3
	v_mov_b32_e32 v0, 0x7f800001
	s_and_saveexec_b64 s[54:55], vcc
	s_cbranch_execz .LBB2_2909
; %bb.2908:                             ;   in Loop: Header=BB2_2591 Depth=2
	v_and_b32_e32 v0, 7, v14
	v_ffbh_u32_e32 v15, v0
	v_min_u32_e32 v17, 32, v15
	v_subrev_u32_e32 v15, 28, v17
	v_lshlrev_b64 v[14:15], v15, v[14:15]
	v_lshrrev_b32_e32 v16, 3, v3
	v_sub_u32_e32 v15, 29, v17
	v_and_b32_e32 v14, 7, v14
	v_cmp_gt_u32_e32 vcc, 8, v3
	v_cndmask_b32_e32 v3, v16, v15, vcc
	v_cndmask_b32_e32 v0, v0, v14, vcc
	v_lshlrev_b32_e32 v14, 16, v10
	v_lshlrev_b32_e32 v0, 20, v0
	v_and_b32_e32 v14, 0x80000000, v14
	v_lshl_add_u32 v3, v3, 23, v50
	v_or3_b32 v0, v14, v3, v0
.LBB2_2909:                             ;   in Loop: Header=BB2_2591 Depth=2
	s_or_b64 exec, exec, s[54:55]
.LBB2_2910:                             ;   in Loop: Header=BB2_2591 Depth=2
	s_or_b64 exec, exec, s[52:53]
.LBB2_2911:                             ;   in Loop: Header=BB2_2591 Depth=2
	s_or_b64 exec, exec, s[18:19]
	v_mul_f32_e32 v3, v7, v0
	v_and_b32_sdwa v0, v3, s69 dst_sel:DWORD dst_unused:UNUSED_PAD src0_sel:BYTE_3 src1_sel:DWORD
	v_and_b32_e32 v14, 0x7f800000, v3
	v_mov_b32_e32 v15, v37
	v_and_b32_e32 v36, 0x7fffff, v3
	v_or_b32_e32 v35, 0x7e, v0
	v_cmp_ne_u64_e32 vcc, s[38:39], v[14:15]
	s_and_saveexec_b64 s[18:19], vcc
	s_xor_b64 s[52:53], exec, s[18:19]
	s_cbranch_execz .LBB2_2921
; %bb.2912:                             ;   in Loop: Header=BB2_2591 Depth=2
	v_and_b32_e32 v14, 0x7fffffff, v3
	v_mov_b32_e32 v15, v37
	v_cmp_gt_u64_e32 vcc, s[40:41], v[14:15]
	s_and_saveexec_b64 s[54:55], vcc
	s_cbranch_execz .LBB2_2920
; %bb.2913:                             ;   in Loop: Header=BB2_2591 Depth=2
	v_cmp_ne_u32_e32 vcc, 0, v3
	v_mov_b32_e32 v35, 0
	s_and_saveexec_b64 s[56:57], vcc
	s_cbranch_execz .LBB2_2919
; %bb.2914:                             ;   in Loop: Header=BB2_2591 Depth=2
	v_bfe_u32 v3, v3, 23, 8
	v_sub_u32_e32 v15, 0x79, v3
	v_cmp_gt_u32_e32 vcc, s71, v3
	v_add_u32_e32 v14, 0xffffff81, v3
	v_cndmask_b32_e32 v15, 0, v15, vcc
	v_cmp_eq_u32_e32 vcc, 0, v3
	v_mov_b32_e32 v3, 0xffffff82
	v_cndmask_b32_e32 v3, v14, v3, vcc
	v_mov_b32_e32 v14, 0x78
	v_or_b32_e32 v16, 0x800000, v36
	v_cndmask_b32_e32 v17, v15, v14, vcc
	v_cndmask_b32_e32 v36, v16, v36, vcc
	v_add_u32_e32 v14, 20, v17
	v_lshlrev_b64 v[14:15], v14, -1
	v_add_u32_e32 v16, 19, v17
	v_lshrrev_b64 v[26:27], v17, v[36:37]
	v_not_b32_e32 v15, v15
	v_not_b32_e32 v14, v14
	v_lshlrev_b64 v[22:23], v16, 1
	v_lshrrev_b32_e32 v16, 23, v26
	v_and_b32_e32 v15, 0, v15
	v_and_b32_e32 v14, v36, v14
	v_add3_u32 v17, v17, v3, v16
	v_bfe_u32 v3, v26, 20, 1
	v_add_u32_e32 v3, -1, v3
	v_cmp_eq_u64_e32 vcc, v[14:15], v[22:23]
	v_cndmask_b32_e32 v3, 0, v3, vcc
	v_add_u32_e32 v3, v3, v26
	v_and_b32_e32 v3, 0xfffff, v3
	v_add_co_u32_e32 v14, vcc, v3, v26
	v_add_u32_e32 v16, 6, v17
	v_addc_co_u32_e32 v15, vcc, 0, v27, vcc
	v_cmp_ne_u32_e32 vcc, 0, v16
                                        ; implicit-def: $vgpr3
	s_and_saveexec_b64 s[18:19], vcc
	s_xor_b64 s[18:19], exec, s[18:19]
; %bb.2915:                             ;   in Loop: Header=BB2_2591 Depth=2
	v_add_u32_e32 v3, 7, v17
	v_cmp_lt_u64_e32 vcc, s[44:45], v[14:15]
	v_cndmask_b32_e32 v3, v16, v3, vcc
	v_cndmask_b32_e64 v16, 0, 1, vcc
	v_lshrrev_b64 v[14:15], v16, v[14:15]
; %bb.2916:                             ;   in Loop: Header=BB2_2591 Depth=2
	s_andn2_saveexec_b64 s[18:19], s[18:19]
; %bb.2917:                             ;   in Loop: Header=BB2_2591 Depth=2
	v_bfe_u32 v3, v14, 23, 1
; %bb.2918:                             ;   in Loop: Header=BB2_2591 Depth=2
	s_or_b64 exec, exec, s[18:19]
	v_lshrrev_b64 v[14:15], 20, v[14:15]
	v_cmp_gt_i32_e32 vcc, 16, v3
	v_cndmask_b32_e32 v15, 0, v15, vcc
	v_cndmask_b32_e32 v14, 7, v14, vcc
	v_cmp_eq_u32_e32 vcc, 0, v3
	v_min_i32_e32 v3, 15, v3
	v_cmp_eq_u64_e64 s[18:19], 0, v[14:15]
	v_lshlrev_b32_e32 v3, 3, v3
	v_and_or_b32 v3, v14, 7, v3
	s_and_b64 s[18:19], vcc, s[18:19]
	v_cndmask_b32_e64 v3, v3, 0, s[18:19]
	v_or_b32_e32 v35, v3, v0
.LBB2_2919:                             ;   in Loop: Header=BB2_2591 Depth=2
	s_or_b64 exec, exec, s[56:57]
.LBB2_2920:                             ;   in Loop: Header=BB2_2591 Depth=2
	s_or_b64 exec, exec, s[54:55]
                                        ; implicit-def: $vgpr3
.LBB2_2921:                             ;   in Loop: Header=BB2_2591 Depth=2
	s_andn2_saveexec_b64 s[18:19], s[52:53]
; %bb.2922:                             ;   in Loop: Header=BB2_2591 Depth=2
	v_or_b32_sdwa v0, v3, s68 dst_sel:DWORD dst_unused:UNUSED_PAD src0_sel:BYTE_3 src1_sel:DWORD
	v_cmp_eq_u64_e32 vcc, 0, v[36:37]
	v_cndmask_b32_e32 v35, v0, v35, vcc
; %bb.2923:                             ;   in Loop: Header=BB2_2591 Depth=2
	s_or_b64 exec, exec, s[18:19]
	v_lshrrev_b32_e32 v14, 16, v10
	v_cmp_ne_u16_sdwa vcc, v14, v37 src0_sel:BYTE_0 src1_sel:DWORD
	v_mov_b32_e32 v0, 0
	s_and_saveexec_b64 s[18:19], vcc
	s_cbranch_execz .LBB2_2929
; %bb.2924:                             ;   in Loop: Header=BB2_2591 Depth=2
	v_cmp_ne_u16_sdwa vcc, v14, s69 src0_sel:BYTE_0 src1_sel:DWORD
	v_bfrev_b32_e32 v0, 1
	s_and_saveexec_b64 s[52:53], vcc
	s_cbranch_execz .LBB2_2928
; %bb.2925:                             ;   in Loop: Header=BB2_2591 Depth=2
	v_bfe_u32 v3, v10, 16, 7
	v_cmp_ne_u32_e32 vcc, s68, v3
	v_mov_b32_e32 v0, 0x7f800001
	s_and_saveexec_b64 s[54:55], vcc
	s_cbranch_execz .LBB2_2927
; %bb.2926:                             ;   in Loop: Header=BB2_2591 Depth=2
	v_and_b32_e32 v0, 7, v14
	v_ffbh_u32_e32 v16, v0
	v_min_u32_e32 v19, 32, v16
	v_lshrrev_b32_e32 v15, 3, v3
	v_subrev_u32_e32 v16, 28, v19
	v_lshlrev_b64 v[16:17], v16, v[14:15]
	v_sub_u32_e32 v17, 29, v19
	v_and_b32_e32 v16, 7, v16
	v_cmp_gt_u32_e32 vcc, 8, v3
	v_cndmask_b32_e32 v3, v15, v17, vcc
	v_cndmask_b32_e32 v0, v0, v16, vcc
	v_lshlrev_b32_e32 v14, 24, v14
	v_lshlrev_b32_e32 v0, 20, v0
	v_and_b32_e32 v14, 0x80000000, v14
	v_lshl_add_u32 v3, v3, 23, v50
	v_or3_b32 v0, v14, v3, v0
.LBB2_2927:                             ;   in Loop: Header=BB2_2591 Depth=2
	s_or_b64 exec, exec, s[54:55]
.LBB2_2928:                             ;   in Loop: Header=BB2_2591 Depth=2
	s_or_b64 exec, exec, s[52:53]
.LBB2_2929:                             ;   in Loop: Header=BB2_2591 Depth=2
	s_or_b64 exec, exec, s[18:19]
	v_mul_f32_e32 v3, v7, v0
	v_and_b32_sdwa v0, v3, s69 dst_sel:DWORD dst_unused:UNUSED_PAD src0_sel:BYTE_3 src1_sel:DWORD
	v_and_b32_e32 v14, 0x7f800000, v3
	v_mov_b32_e32 v15, v37
	v_and_b32_e32 v36, 0x7fffff, v3
	v_or_b32_e32 v56, 0x7e, v0
	v_cmp_ne_u64_e32 vcc, s[38:39], v[14:15]
	s_and_saveexec_b64 s[18:19], vcc
	s_xor_b64 s[52:53], exec, s[18:19]
	s_cbranch_execz .LBB2_2939
; %bb.2930:                             ;   in Loop: Header=BB2_2591 Depth=2
	v_and_b32_e32 v14, 0x7fffffff, v3
	v_mov_b32_e32 v15, v37
	v_cmp_gt_u64_e32 vcc, s[40:41], v[14:15]
	s_and_saveexec_b64 s[54:55], vcc
	s_cbranch_execz .LBB2_2938
; %bb.2931:                             ;   in Loop: Header=BB2_2591 Depth=2
	v_cmp_ne_u32_e32 vcc, 0, v3
	v_mov_b32_e32 v56, 0
	s_and_saveexec_b64 s[56:57], vcc
	s_cbranch_execz .LBB2_2937
; %bb.2932:                             ;   in Loop: Header=BB2_2591 Depth=2
	v_bfe_u32 v3, v3, 23, 8
	v_sub_u32_e32 v15, 0x79, v3
	v_cmp_gt_u32_e32 vcc, s71, v3
	v_add_u32_e32 v14, 0xffffff81, v3
	v_cndmask_b32_e32 v15, 0, v15, vcc
	v_cmp_eq_u32_e32 vcc, 0, v3
	v_mov_b32_e32 v3, 0xffffff82
	v_cndmask_b32_e32 v3, v14, v3, vcc
	v_mov_b32_e32 v14, 0x78
	v_or_b32_e32 v16, 0x800000, v36
	v_cndmask_b32_e32 v17, v15, v14, vcc
	v_cndmask_b32_e32 v36, v16, v36, vcc
	v_add_u32_e32 v14, 20, v17
	v_lshlrev_b64 v[14:15], v14, -1
	v_add_u32_e32 v16, 19, v17
	v_lshrrev_b64 v[26:27], v17, v[36:37]
	v_not_b32_e32 v15, v15
	v_not_b32_e32 v14, v14
	v_lshlrev_b64 v[22:23], v16, 1
	v_lshrrev_b32_e32 v16, 23, v26
	v_and_b32_e32 v15, 0, v15
	v_and_b32_e32 v14, v36, v14
	v_add3_u32 v17, v17, v3, v16
	v_bfe_u32 v3, v26, 20, 1
	v_add_u32_e32 v3, -1, v3
	v_cmp_eq_u64_e32 vcc, v[14:15], v[22:23]
	v_cndmask_b32_e32 v3, 0, v3, vcc
	v_add_u32_e32 v3, v3, v26
	v_and_b32_e32 v3, 0xfffff, v3
	v_add_co_u32_e32 v14, vcc, v3, v26
	v_add_u32_e32 v16, 6, v17
	v_addc_co_u32_e32 v15, vcc, 0, v27, vcc
	v_cmp_ne_u32_e32 vcc, 0, v16
                                        ; implicit-def: $vgpr3
	s_and_saveexec_b64 s[18:19], vcc
	s_xor_b64 s[18:19], exec, s[18:19]
; %bb.2933:                             ;   in Loop: Header=BB2_2591 Depth=2
	v_add_u32_e32 v3, 7, v17
	v_cmp_lt_u64_e32 vcc, s[44:45], v[14:15]
	v_cndmask_b32_e32 v3, v16, v3, vcc
	v_cndmask_b32_e64 v16, 0, 1, vcc
	v_lshrrev_b64 v[14:15], v16, v[14:15]
; %bb.2934:                             ;   in Loop: Header=BB2_2591 Depth=2
	s_andn2_saveexec_b64 s[18:19], s[18:19]
; %bb.2935:                             ;   in Loop: Header=BB2_2591 Depth=2
	v_bfe_u32 v3, v14, 23, 1
; %bb.2936:                             ;   in Loop: Header=BB2_2591 Depth=2
	s_or_b64 exec, exec, s[18:19]
	v_lshrrev_b64 v[14:15], 20, v[14:15]
	v_cmp_gt_i32_e32 vcc, 16, v3
	v_cndmask_b32_e32 v15, 0, v15, vcc
	v_cndmask_b32_e32 v14, 7, v14, vcc
	v_cmp_eq_u32_e32 vcc, 0, v3
	v_min_i32_e32 v3, 15, v3
	v_cmp_eq_u64_e64 s[18:19], 0, v[14:15]
	v_lshlrev_b32_e32 v3, 3, v3
	v_and_or_b32 v3, v14, 7, v3
	s_and_b64 s[18:19], vcc, s[18:19]
	v_cndmask_b32_e64 v3, v3, 0, s[18:19]
	v_or_b32_e32 v56, v3, v0
.LBB2_2937:                             ;   in Loop: Header=BB2_2591 Depth=2
	s_or_b64 exec, exec, s[56:57]
.LBB2_2938:                             ;   in Loop: Header=BB2_2591 Depth=2
	s_or_b64 exec, exec, s[54:55]
                                        ; implicit-def: $vgpr3
.LBB2_2939:                             ;   in Loop: Header=BB2_2591 Depth=2
	s_andn2_saveexec_b64 s[18:19], s[52:53]
; %bb.2940:                             ;   in Loop: Header=BB2_2591 Depth=2
	v_or_b32_sdwa v0, v3, s68 dst_sel:DWORD dst_unused:UNUSED_PAD src0_sel:BYTE_3 src1_sel:DWORD
	v_cmp_eq_u64_e32 vcc, 0, v[36:37]
	v_cndmask_b32_e32 v56, v0, v56, vcc
; %bb.2941:                             ;   in Loop: Header=BB2_2591 Depth=2
	s_or_b64 exec, exec, s[18:19]
	v_cmp_lt_u32_e32 vcc, s43, v10
	v_mov_b32_e32 v0, 0
	s_and_saveexec_b64 s[18:19], vcc
	s_cbranch_execz .LBB2_2947
; %bb.2942:                             ;   in Loop: Header=BB2_2591 Depth=2
	v_lshrrev_b32_e32 v14, 24, v10
	v_cmp_ne_u32_e32 vcc, s69, v14
	v_bfrev_b32_e32 v0, 1
	s_and_saveexec_b64 s[52:53], vcc
	s_cbranch_execz .LBB2_2946
; %bb.2943:                             ;   in Loop: Header=BB2_2591 Depth=2
	v_bfe_u32 v3, v10, 24, 7
	v_cmp_ne_u32_e32 vcc, s68, v3
	v_mov_b32_e32 v0, 0x7f800001
	s_and_saveexec_b64 s[54:55], vcc
	s_cbranch_execz .LBB2_2945
; %bb.2944:                             ;   in Loop: Header=BB2_2591 Depth=2
	v_and_b32_e32 v0, 7, v14
	v_ffbh_u32_e32 v16, v0
	v_min_u32_e32 v19, 32, v16
	v_lshrrev_b32_e32 v15, 3, v3
	v_subrev_u32_e32 v16, 28, v19
	v_lshlrev_b64 v[16:17], v16, v[14:15]
	v_sub_u32_e32 v17, 29, v19
	v_and_b32_e32 v16, 7, v16
	v_cmp_gt_u32_e32 vcc, 8, v3
	v_cndmask_b32_e32 v3, v15, v17, vcc
	v_cndmask_b32_e32 v0, v0, v16, vcc
	v_lshlrev_b32_e32 v14, 24, v14
	v_lshlrev_b32_e32 v0, 20, v0
	v_and_b32_e32 v14, 0x80000000, v14
	v_lshl_add_u32 v3, v3, 23, v50
	v_or3_b32 v0, v14, v3, v0
.LBB2_2945:                             ;   in Loop: Header=BB2_2591 Depth=2
	s_or_b64 exec, exec, s[54:55]
.LBB2_2946:                             ;   in Loop: Header=BB2_2591 Depth=2
	s_or_b64 exec, exec, s[52:53]
.LBB2_2947:                             ;   in Loop: Header=BB2_2591 Depth=2
	s_or_b64 exec, exec, s[18:19]
	v_mul_f32_e32 v3, v7, v0
	v_and_b32_sdwa v0, v3, s69 dst_sel:DWORD dst_unused:UNUSED_PAD src0_sel:BYTE_3 src1_sel:DWORD
	v_and_b32_e32 v14, 0x7f800000, v3
	v_mov_b32_e32 v15, v37
	v_and_b32_e32 v36, 0x7fffff, v3
	v_or_b32_e32 v30, 0x7e, v0
	v_cmp_ne_u64_e32 vcc, s[38:39], v[14:15]
	s_and_saveexec_b64 s[18:19], vcc
	s_xor_b64 s[52:53], exec, s[18:19]
	s_cbranch_execz .LBB2_2957
; %bb.2948:                             ;   in Loop: Header=BB2_2591 Depth=2
	v_and_b32_e32 v14, 0x7fffffff, v3
	v_mov_b32_e32 v15, v37
	v_cmp_gt_u64_e32 vcc, s[40:41], v[14:15]
	s_and_saveexec_b64 s[54:55], vcc
	s_cbranch_execz .LBB2_2956
; %bb.2949:                             ;   in Loop: Header=BB2_2591 Depth=2
	v_cmp_ne_u32_e32 vcc, 0, v3
	v_mov_b32_e32 v30, 0
	s_and_saveexec_b64 s[56:57], vcc
	s_cbranch_execz .LBB2_2955
; %bb.2950:                             ;   in Loop: Header=BB2_2591 Depth=2
	v_bfe_u32 v3, v3, 23, 8
	v_sub_u32_e32 v15, 0x79, v3
	v_cmp_gt_u32_e32 vcc, s71, v3
	v_add_u32_e32 v14, 0xffffff81, v3
	v_cndmask_b32_e32 v15, 0, v15, vcc
	v_cmp_eq_u32_e32 vcc, 0, v3
	v_mov_b32_e32 v3, 0xffffff82
	v_cndmask_b32_e32 v3, v14, v3, vcc
	v_mov_b32_e32 v14, 0x78
	v_or_b32_e32 v16, 0x800000, v36
	v_cndmask_b32_e32 v17, v15, v14, vcc
	v_cndmask_b32_e32 v36, v16, v36, vcc
	v_add_u32_e32 v14, 20, v17
	v_lshlrev_b64 v[14:15], v14, -1
	v_add_u32_e32 v16, 19, v17
	v_lshrrev_b64 v[26:27], v17, v[36:37]
	v_not_b32_e32 v15, v15
	v_not_b32_e32 v14, v14
	v_lshlrev_b64 v[22:23], v16, 1
	v_lshrrev_b32_e32 v16, 23, v26
	v_and_b32_e32 v15, 0, v15
	v_and_b32_e32 v14, v36, v14
	v_add3_u32 v17, v17, v3, v16
	v_bfe_u32 v3, v26, 20, 1
	v_add_u32_e32 v3, -1, v3
	v_cmp_eq_u64_e32 vcc, v[14:15], v[22:23]
	v_cndmask_b32_e32 v3, 0, v3, vcc
	v_add_u32_e32 v3, v3, v26
	v_and_b32_e32 v3, 0xfffff, v3
	v_add_co_u32_e32 v14, vcc, v3, v26
	v_add_u32_e32 v16, 6, v17
	v_addc_co_u32_e32 v15, vcc, 0, v27, vcc
	v_cmp_ne_u32_e32 vcc, 0, v16
                                        ; implicit-def: $vgpr3
	s_and_saveexec_b64 s[18:19], vcc
	s_xor_b64 s[18:19], exec, s[18:19]
; %bb.2951:                             ;   in Loop: Header=BB2_2591 Depth=2
	v_add_u32_e32 v3, 7, v17
	v_cmp_lt_u64_e32 vcc, s[44:45], v[14:15]
	v_cndmask_b32_e32 v3, v16, v3, vcc
	v_cndmask_b32_e64 v16, 0, 1, vcc
	v_lshrrev_b64 v[14:15], v16, v[14:15]
; %bb.2952:                             ;   in Loop: Header=BB2_2591 Depth=2
	s_andn2_saveexec_b64 s[18:19], s[18:19]
; %bb.2953:                             ;   in Loop: Header=BB2_2591 Depth=2
	v_bfe_u32 v3, v14, 23, 1
; %bb.2954:                             ;   in Loop: Header=BB2_2591 Depth=2
	s_or_b64 exec, exec, s[18:19]
	v_lshrrev_b64 v[14:15], 20, v[14:15]
	v_cmp_gt_i32_e32 vcc, 16, v3
	v_cndmask_b32_e32 v15, 0, v15, vcc
	v_cndmask_b32_e32 v14, 7, v14, vcc
	v_cmp_eq_u32_e32 vcc, 0, v3
	v_min_i32_e32 v3, 15, v3
	v_cmp_eq_u64_e64 s[18:19], 0, v[14:15]
	v_lshlrev_b32_e32 v3, 3, v3
	v_and_or_b32 v3, v14, 7, v3
	s_and_b64 s[18:19], vcc, s[18:19]
	v_cndmask_b32_e64 v3, v3, 0, s[18:19]
	v_or_b32_e32 v30, v3, v0
.LBB2_2955:                             ;   in Loop: Header=BB2_2591 Depth=2
	s_or_b64 exec, exec, s[56:57]
.LBB2_2956:                             ;   in Loop: Header=BB2_2591 Depth=2
	s_or_b64 exec, exec, s[54:55]
                                        ; implicit-def: $vgpr3
.LBB2_2957:                             ;   in Loop: Header=BB2_2591 Depth=2
	s_andn2_saveexec_b64 s[18:19], s[52:53]
; %bb.2958:                             ;   in Loop: Header=BB2_2591 Depth=2
	v_or_b32_sdwa v0, v3, s68 dst_sel:DWORD dst_unused:UNUSED_PAD src0_sel:BYTE_3 src1_sel:DWORD
	v_cmp_eq_u64_e32 vcc, 0, v[36:37]
	v_cndmask_b32_e32 v30, v0, v30, vcc
; %bb.2959:                             ;   in Loop: Header=BB2_2591 Depth=2
	s_or_b64 exec, exec, s[18:19]
	v_mov_b32_e32 v36, v11
	v_cmp_ne_u16_sdwa vcc, v11, v37 src0_sel:BYTE_0 src1_sel:DWORD
	v_mov_b32_e32 v0, 0
	s_and_saveexec_b64 s[18:19], vcc
	s_cbranch_execz .LBB2_2965
; %bb.2960:                             ;   in Loop: Header=BB2_2591 Depth=2
	v_cmp_ne_u16_sdwa vcc, v11, s69 src0_sel:BYTE_0 src1_sel:DWORD
	v_bfrev_b32_e32 v0, 1
	s_and_saveexec_b64 s[52:53], vcc
	s_cbranch_execz .LBB2_2964
; %bb.2961:                             ;   in Loop: Header=BB2_2591 Depth=2
	v_and_b32_e32 v3, 0x7f, v11
	v_cmp_ne_u32_e32 vcc, s68, v3
	v_mov_b32_e32 v0, 0x7f800001
	s_and_saveexec_b64 s[54:55], vcc
	s_cbranch_execz .LBB2_2963
; %bb.2962:                             ;   in Loop: Header=BB2_2591 Depth=2
	v_and_b32_e32 v0, 7, v11
	v_ffbh_u32_e32 v0, v0
	v_min_u32_e32 v0, 32, v0
	v_subrev_u32_e32 v15, 28, v0
	v_cmp_gt_u32_e32 vcc, 8, v3
	v_lshrrev_b32_e32 v14, 3, v3
	v_sub_u32_e32 v0, 29, v0
	v_cndmask_b32_e32 v3, 0, v15, vcc
	v_cndmask_b32_e32 v0, v14, v0, vcc
	v_lshlrev_b64 v[14:15], v3, v[36:37]
	v_lshlrev_b32_e32 v3, 20, v14
	v_lshlrev_b32_e32 v14, 24, v36
	v_and_b32_e32 v3, 0x700000, v3
	v_and_b32_e32 v14, 0x80000000, v14
	v_lshl_add_u32 v0, v0, 23, v50
	v_or3_b32 v0, v14, v0, v3
.LBB2_2963:                             ;   in Loop: Header=BB2_2591 Depth=2
	s_or_b64 exec, exec, s[54:55]
.LBB2_2964:                             ;   in Loop: Header=BB2_2591 Depth=2
	s_or_b64 exec, exec, s[52:53]
.LBB2_2965:                             ;   in Loop: Header=BB2_2591 Depth=2
	s_or_b64 exec, exec, s[18:19]
	v_mul_f32_e32 v3, v7, v0
	v_and_b32_sdwa v0, v3, s69 dst_sel:DWORD dst_unused:UNUSED_PAD src0_sel:BYTE_3 src1_sel:DWORD
	v_and_b32_e32 v16, 0x7f800000, v3
	v_mov_b32_e32 v17, v37
	v_and_b32_e32 v14, 0x7fffff, v3
	v_mov_b32_e32 v15, v37
	v_or_b32_e32 v48, 0x7e, v0
	v_cmp_ne_u64_e32 vcc, s[38:39], v[16:17]
	s_and_saveexec_b64 s[18:19], vcc
	s_xor_b64 s[52:53], exec, s[18:19]
	s_cbranch_execz .LBB2_2975
; %bb.2966:                             ;   in Loop: Header=BB2_2591 Depth=2
	v_and_b32_e32 v16, 0x7fffffff, v3
	v_mov_b32_e32 v17, v37
	v_cmp_gt_u64_e32 vcc, s[40:41], v[16:17]
	s_and_saveexec_b64 s[54:55], vcc
	s_cbranch_execz .LBB2_2974
; %bb.2967:                             ;   in Loop: Header=BB2_2591 Depth=2
	v_cmp_ne_u32_e32 vcc, 0, v3
	v_mov_b32_e32 v48, 0
	s_and_saveexec_b64 s[56:57], vcc
	s_cbranch_execz .LBB2_2973
; %bb.2968:                             ;   in Loop: Header=BB2_2591 Depth=2
	v_bfe_u32 v3, v3, 23, 8
	v_sub_u32_e32 v17, 0x79, v3
	v_cmp_gt_u32_e32 vcc, s71, v3
	v_add_u32_e32 v16, 0xffffff81, v3
	v_cndmask_b32_e32 v17, 0, v17, vcc
	v_cmp_eq_u32_e32 vcc, 0, v3
	v_mov_b32_e32 v3, 0xffffff82
	v_cndmask_b32_e32 v3, v16, v3, vcc
	v_mov_b32_e32 v16, 0x78
	v_cndmask_b32_e32 v21, v17, v16, vcc
	v_add_u32_e32 v16, 20, v21
	v_or_b32_e32 v19, 0x800000, v14
	v_lshlrev_b64 v[16:17], v16, -1
	v_cndmask_b32_e32 v14, v19, v14, vcc
	v_not_b32_e32 v16, v16
	v_and_b32_e32 v22, v14, v16
	v_add_u32_e32 v16, 19, v21
	v_lshrrev_b64 v[14:15], v21, v[14:15]
	v_not_b32_e32 v17, v17
	v_lshlrev_b64 v[26:27], v16, 1
	v_lshrrev_b32_e32 v16, 23, v14
	v_and_b32_e32 v23, 0, v17
	v_add3_u32 v17, v21, v3, v16
	v_bfe_u32 v3, v14, 20, 1
	v_add_u32_e32 v3, -1, v3
	v_cmp_eq_u64_e32 vcc, v[22:23], v[26:27]
	v_cndmask_b32_e32 v3, 0, v3, vcc
	v_add_u32_e32 v3, v3, v14
	v_and_b32_e32 v3, 0xfffff, v3
	v_add_co_u32_e32 v14, vcc, v3, v14
	v_add_u32_e32 v16, 6, v17
	v_addc_co_u32_e32 v15, vcc, 0, v15, vcc
	v_cmp_ne_u32_e32 vcc, 0, v16
                                        ; implicit-def: $vgpr3
	s_and_saveexec_b64 s[18:19], vcc
	s_xor_b64 s[18:19], exec, s[18:19]
; %bb.2969:                             ;   in Loop: Header=BB2_2591 Depth=2
	v_add_u32_e32 v3, 7, v17
	v_cmp_lt_u64_e32 vcc, s[44:45], v[14:15]
	v_cndmask_b32_e32 v3, v16, v3, vcc
	v_cndmask_b32_e64 v16, 0, 1, vcc
	v_lshrrev_b64 v[14:15], v16, v[14:15]
; %bb.2970:                             ;   in Loop: Header=BB2_2591 Depth=2
	s_andn2_saveexec_b64 s[18:19], s[18:19]
; %bb.2971:                             ;   in Loop: Header=BB2_2591 Depth=2
	v_bfe_u32 v3, v14, 23, 1
; %bb.2972:                             ;   in Loop: Header=BB2_2591 Depth=2
	s_or_b64 exec, exec, s[18:19]
	v_lshrrev_b64 v[14:15], 20, v[14:15]
	v_cmp_gt_i32_e32 vcc, 16, v3
	v_cndmask_b32_e32 v15, 0, v15, vcc
	v_cndmask_b32_e32 v14, 7, v14, vcc
	v_cmp_eq_u32_e32 vcc, 0, v3
	v_min_i32_e32 v3, 15, v3
	v_cmp_eq_u64_e64 s[18:19], 0, v[14:15]
	v_lshlrev_b32_e32 v3, 3, v3
	v_and_or_b32 v3, v14, 7, v3
	s_and_b64 s[18:19], vcc, s[18:19]
	v_cndmask_b32_e64 v3, v3, 0, s[18:19]
	v_or_b32_e32 v48, v3, v0
.LBB2_2973:                             ;   in Loop: Header=BB2_2591 Depth=2
	s_or_b64 exec, exec, s[56:57]
.LBB2_2974:                             ;   in Loop: Header=BB2_2591 Depth=2
	s_or_b64 exec, exec, s[54:55]
                                        ; implicit-def: $vgpr3
                                        ; implicit-def: $vgpr14_vgpr15
.LBB2_2975:                             ;   in Loop: Header=BB2_2591 Depth=2
	s_andn2_saveexec_b64 s[18:19], s[52:53]
; %bb.2976:                             ;   in Loop: Header=BB2_2591 Depth=2
	v_or_b32_sdwa v0, v3, s68 dst_sel:DWORD dst_unused:UNUSED_PAD src0_sel:BYTE_3 src1_sel:DWORD
	v_cmp_eq_u64_e32 vcc, 0, v[14:15]
	v_cndmask_b32_e32 v48, v0, v48, vcc
; %bb.2977:                             ;   in Loop: Header=BB2_2591 Depth=2
	s_or_b64 exec, exec, s[18:19]
	v_lshrrev_b16_e32 v14, 8, v36
	v_cmp_ne_u16_e32 vcc, 0, v14
	v_mov_b32_e32 v0, 0
	s_and_saveexec_b64 s[18:19], vcc
	s_cbranch_execz .LBB2_2983
; %bb.2978:                             ;   in Loop: Header=BB2_2591 Depth=2
	v_cmp_ne_u16_e32 vcc, s69, v14
	v_bfrev_b32_e32 v0, 1
	s_and_saveexec_b64 s[52:53], vcc
	s_cbranch_execz .LBB2_2982
; %bb.2979:                             ;   in Loop: Header=BB2_2591 Depth=2
	v_and_b32_e32 v3, 0x7f, v14
	v_cmp_ne_u32_e32 vcc, s68, v3
	v_mov_b32_e32 v0, 0x7f800001
	s_and_saveexec_b64 s[54:55], vcc
	s_cbranch_execz .LBB2_2981
; %bb.2980:                             ;   in Loop: Header=BB2_2591 Depth=2
	v_and_b32_e32 v0, 7, v14
	v_ffbh_u32_e32 v15, v0
	v_min_u32_e32 v17, 32, v15
	v_subrev_u32_e32 v15, 28, v17
	v_lshlrev_b64 v[14:15], v15, v[14:15]
	v_lshrrev_b32_e32 v16, 3, v3
	v_sub_u32_e32 v15, 29, v17
	v_and_b32_e32 v14, 7, v14
	v_cmp_gt_u32_e32 vcc, 8, v3
	v_cndmask_b32_e32 v3, v16, v15, vcc
	v_cndmask_b32_e32 v0, v0, v14, vcc
	v_lshlrev_b32_e32 v14, 16, v36
	v_lshlrev_b32_e32 v0, 20, v0
	v_and_b32_e32 v14, 0x80000000, v14
	v_lshl_add_u32 v3, v3, 23, v50
	v_or3_b32 v0, v14, v3, v0
.LBB2_2981:                             ;   in Loop: Header=BB2_2591 Depth=2
	s_or_b64 exec, exec, s[54:55]
.LBB2_2982:                             ;   in Loop: Header=BB2_2591 Depth=2
	s_or_b64 exec, exec, s[52:53]
.LBB2_2983:                             ;   in Loop: Header=BB2_2591 Depth=2
	s_or_b64 exec, exec, s[18:19]
	v_mul_f32_e32 v3, v7, v0
	v_and_b32_sdwa v0, v3, s69 dst_sel:DWORD dst_unused:UNUSED_PAD src0_sel:BYTE_3 src1_sel:DWORD
	v_and_b32_e32 v14, 0x7f800000, v3
	v_mov_b32_e32 v15, v37
	v_and_b32_e32 v36, 0x7fffff, v3
	v_or_b32_e32 v21, 0x7e, v0
	v_cmp_ne_u64_e32 vcc, s[38:39], v[14:15]
	s_and_saveexec_b64 s[18:19], vcc
	s_xor_b64 s[52:53], exec, s[18:19]
	s_cbranch_execz .LBB2_2993
; %bb.2984:                             ;   in Loop: Header=BB2_2591 Depth=2
	v_and_b32_e32 v14, 0x7fffffff, v3
	v_mov_b32_e32 v15, v37
	v_cmp_gt_u64_e32 vcc, s[40:41], v[14:15]
	s_and_saveexec_b64 s[54:55], vcc
	s_cbranch_execz .LBB2_2992
; %bb.2985:                             ;   in Loop: Header=BB2_2591 Depth=2
	v_cmp_ne_u32_e32 vcc, 0, v3
	v_mov_b32_e32 v21, 0
	s_and_saveexec_b64 s[56:57], vcc
	s_cbranch_execz .LBB2_2991
; %bb.2986:                             ;   in Loop: Header=BB2_2591 Depth=2
	v_bfe_u32 v3, v3, 23, 8
	v_sub_u32_e32 v15, 0x79, v3
	v_cmp_gt_u32_e32 vcc, s71, v3
	v_add_u32_e32 v14, 0xffffff81, v3
	v_cndmask_b32_e32 v15, 0, v15, vcc
	v_cmp_eq_u32_e32 vcc, 0, v3
	v_mov_b32_e32 v3, 0xffffff82
	v_cndmask_b32_e32 v3, v14, v3, vcc
	v_mov_b32_e32 v14, 0x78
	v_or_b32_e32 v16, 0x800000, v36
	v_cndmask_b32_e32 v17, v15, v14, vcc
	v_cndmask_b32_e32 v36, v16, v36, vcc
	v_add_u32_e32 v14, 20, v17
	v_lshlrev_b64 v[14:15], v14, -1
	v_add_u32_e32 v16, 19, v17
	v_lshrrev_b64 v[26:27], v17, v[36:37]
	v_not_b32_e32 v15, v15
	v_not_b32_e32 v14, v14
	v_lshlrev_b64 v[22:23], v16, 1
	v_lshrrev_b32_e32 v16, 23, v26
	v_and_b32_e32 v15, 0, v15
	v_and_b32_e32 v14, v36, v14
	v_add3_u32 v17, v17, v3, v16
	v_bfe_u32 v3, v26, 20, 1
	v_add_u32_e32 v3, -1, v3
	v_cmp_eq_u64_e32 vcc, v[14:15], v[22:23]
	v_cndmask_b32_e32 v3, 0, v3, vcc
	v_add_u32_e32 v3, v3, v26
	v_and_b32_e32 v3, 0xfffff, v3
	v_add_co_u32_e32 v14, vcc, v3, v26
	v_add_u32_e32 v16, 6, v17
	v_addc_co_u32_e32 v15, vcc, 0, v27, vcc
	v_cmp_ne_u32_e32 vcc, 0, v16
                                        ; implicit-def: $vgpr3
	s_and_saveexec_b64 s[18:19], vcc
	s_xor_b64 s[18:19], exec, s[18:19]
; %bb.2987:                             ;   in Loop: Header=BB2_2591 Depth=2
	v_add_u32_e32 v3, 7, v17
	v_cmp_lt_u64_e32 vcc, s[44:45], v[14:15]
	v_cndmask_b32_e32 v3, v16, v3, vcc
	v_cndmask_b32_e64 v16, 0, 1, vcc
	v_lshrrev_b64 v[14:15], v16, v[14:15]
; %bb.2988:                             ;   in Loop: Header=BB2_2591 Depth=2
	s_andn2_saveexec_b64 s[18:19], s[18:19]
; %bb.2989:                             ;   in Loop: Header=BB2_2591 Depth=2
	v_bfe_u32 v3, v14, 23, 1
; %bb.2990:                             ;   in Loop: Header=BB2_2591 Depth=2
	s_or_b64 exec, exec, s[18:19]
	v_lshrrev_b64 v[14:15], 20, v[14:15]
	v_cmp_gt_i32_e32 vcc, 16, v3
	v_cndmask_b32_e32 v15, 0, v15, vcc
	v_cndmask_b32_e32 v14, 7, v14, vcc
	v_cmp_eq_u32_e32 vcc, 0, v3
	v_min_i32_e32 v3, 15, v3
	v_lshlrev_b32_e32 v3, 3, v3
	v_cmp_eq_u64_e64 s[18:19], 0, v[14:15]
	v_and_b32_e32 v3, 0xf8, v3
	v_and_or_b32 v3, v14, 7, v3
	s_and_b64 s[18:19], vcc, s[18:19]
	v_cndmask_b32_e64 v3, v3, 0, s[18:19]
	v_or_b32_e32 v21, v3, v0
.LBB2_2991:                             ;   in Loop: Header=BB2_2591 Depth=2
	s_or_b64 exec, exec, s[56:57]
.LBB2_2992:                             ;   in Loop: Header=BB2_2591 Depth=2
	s_or_b64 exec, exec, s[54:55]
                                        ; implicit-def: $vgpr3
.LBB2_2993:                             ;   in Loop: Header=BB2_2591 Depth=2
	s_andn2_saveexec_b64 s[18:19], s[52:53]
; %bb.2994:                             ;   in Loop: Header=BB2_2591 Depth=2
	v_or_b32_sdwa v0, v3, s68 dst_sel:DWORD dst_unused:UNUSED_PAD src0_sel:BYTE_3 src1_sel:DWORD
	v_cmp_eq_u64_e32 vcc, 0, v[36:37]
	v_cndmask_b32_e32 v21, v0, v21, vcc
; %bb.2995:                             ;   in Loop: Header=BB2_2591 Depth=2
	s_or_b64 exec, exec, s[18:19]
	v_lshrrev_b32_e32 v14, 16, v11
	v_cmp_ne_u16_sdwa vcc, v14, v37 src0_sel:BYTE_0 src1_sel:DWORD
	v_mov_b32_e32 v0, 0
	s_and_saveexec_b64 s[18:19], vcc
	s_cbranch_execz .LBB2_3001
; %bb.2996:                             ;   in Loop: Header=BB2_2591 Depth=2
	v_cmp_ne_u16_sdwa vcc, v14, s69 src0_sel:BYTE_0 src1_sel:DWORD
	v_bfrev_b32_e32 v0, 1
	s_and_saveexec_b64 s[52:53], vcc
	s_cbranch_execz .LBB2_3000
; %bb.2997:                             ;   in Loop: Header=BB2_2591 Depth=2
	v_bfe_u32 v3, v11, 16, 7
	v_cmp_ne_u32_e32 vcc, s68, v3
	v_mov_b32_e32 v0, 0x7f800001
	s_and_saveexec_b64 s[54:55], vcc
	s_cbranch_execz .LBB2_2999
; %bb.2998:                             ;   in Loop: Header=BB2_2591 Depth=2
	v_and_b32_e32 v0, 7, v14
	v_ffbh_u32_e32 v16, v0
	v_min_u32_e32 v19, 32, v16
	v_lshrrev_b32_e32 v15, 3, v3
	v_subrev_u32_e32 v16, 28, v19
	v_lshlrev_b64 v[16:17], v16, v[14:15]
	v_sub_u32_e32 v17, 29, v19
	v_and_b32_e32 v16, 7, v16
	v_cmp_gt_u32_e32 vcc, 8, v3
	v_cndmask_b32_e32 v3, v15, v17, vcc
	v_cndmask_b32_e32 v0, v0, v16, vcc
	v_lshlrev_b32_e32 v14, 24, v14
	v_lshlrev_b32_e32 v0, 20, v0
	v_and_b32_e32 v14, 0x80000000, v14
	v_lshl_add_u32 v3, v3, 23, v50
	v_or3_b32 v0, v14, v3, v0
.LBB2_2999:                             ;   in Loop: Header=BB2_2591 Depth=2
	s_or_b64 exec, exec, s[54:55]
.LBB2_3000:                             ;   in Loop: Header=BB2_2591 Depth=2
	s_or_b64 exec, exec, s[52:53]
.LBB2_3001:                             ;   in Loop: Header=BB2_2591 Depth=2
	s_or_b64 exec, exec, s[18:19]
	v_mul_f32_e32 v3, v7, v0
	v_and_b32_sdwa v0, v3, s69 dst_sel:DWORD dst_unused:UNUSED_PAD src0_sel:BYTE_3 src1_sel:DWORD
	v_and_b32_e32 v14, 0x7f800000, v3
	v_mov_b32_e32 v15, v37
	v_and_b32_e32 v36, 0x7fffff, v3
	v_or_b32_e32 v34, 0x7e, v0
	v_cmp_ne_u64_e32 vcc, s[38:39], v[14:15]
	s_and_saveexec_b64 s[18:19], vcc
	s_xor_b64 s[52:53], exec, s[18:19]
	s_cbranch_execz .LBB2_3011
; %bb.3002:                             ;   in Loop: Header=BB2_2591 Depth=2
	v_and_b32_e32 v14, 0x7fffffff, v3
	v_mov_b32_e32 v15, v37
	v_cmp_gt_u64_e32 vcc, s[40:41], v[14:15]
	s_and_saveexec_b64 s[54:55], vcc
	s_cbranch_execz .LBB2_3010
; %bb.3003:                             ;   in Loop: Header=BB2_2591 Depth=2
	v_cmp_ne_u32_e32 vcc, 0, v3
	v_mov_b32_e32 v34, 0
	s_and_saveexec_b64 s[56:57], vcc
	s_cbranch_execz .LBB2_3009
; %bb.3004:                             ;   in Loop: Header=BB2_2591 Depth=2
	v_bfe_u32 v3, v3, 23, 8
	v_sub_u32_e32 v15, 0x79, v3
	v_cmp_gt_u32_e32 vcc, s71, v3
	v_add_u32_e32 v14, 0xffffff81, v3
	v_cndmask_b32_e32 v15, 0, v15, vcc
	v_cmp_eq_u32_e32 vcc, 0, v3
	v_mov_b32_e32 v3, 0xffffff82
	v_cndmask_b32_e32 v3, v14, v3, vcc
	v_mov_b32_e32 v14, 0x78
	v_or_b32_e32 v16, 0x800000, v36
	v_cndmask_b32_e32 v17, v15, v14, vcc
	v_cndmask_b32_e32 v36, v16, v36, vcc
	v_add_u32_e32 v14, 20, v17
	v_lshlrev_b64 v[14:15], v14, -1
	v_add_u32_e32 v16, 19, v17
	v_lshrrev_b64 v[26:27], v17, v[36:37]
	v_not_b32_e32 v15, v15
	v_not_b32_e32 v14, v14
	v_lshlrev_b64 v[22:23], v16, 1
	v_lshrrev_b32_e32 v16, 23, v26
	v_and_b32_e32 v15, 0, v15
	v_and_b32_e32 v14, v36, v14
	v_add3_u32 v17, v17, v3, v16
	v_bfe_u32 v3, v26, 20, 1
	v_add_u32_e32 v3, -1, v3
	v_cmp_eq_u64_e32 vcc, v[14:15], v[22:23]
	v_cndmask_b32_e32 v3, 0, v3, vcc
	v_add_u32_e32 v3, v3, v26
	v_and_b32_e32 v3, 0xfffff, v3
	v_add_co_u32_e32 v14, vcc, v3, v26
	v_add_u32_e32 v16, 6, v17
	v_addc_co_u32_e32 v15, vcc, 0, v27, vcc
	v_cmp_ne_u32_e32 vcc, 0, v16
                                        ; implicit-def: $vgpr3
	s_and_saveexec_b64 s[18:19], vcc
	s_xor_b64 s[18:19], exec, s[18:19]
; %bb.3005:                             ;   in Loop: Header=BB2_2591 Depth=2
	v_add_u32_e32 v3, 7, v17
	v_cmp_lt_u64_e32 vcc, s[44:45], v[14:15]
	v_cndmask_b32_e32 v3, v16, v3, vcc
	v_cndmask_b32_e64 v16, 0, 1, vcc
	v_lshrrev_b64 v[14:15], v16, v[14:15]
; %bb.3006:                             ;   in Loop: Header=BB2_2591 Depth=2
	s_andn2_saveexec_b64 s[18:19], s[18:19]
; %bb.3007:                             ;   in Loop: Header=BB2_2591 Depth=2
	v_bfe_u32 v3, v14, 23, 1
; %bb.3008:                             ;   in Loop: Header=BB2_2591 Depth=2
	s_or_b64 exec, exec, s[18:19]
	v_lshrrev_b64 v[14:15], 20, v[14:15]
	v_cmp_gt_i32_e32 vcc, 16, v3
	v_cndmask_b32_e32 v15, 0, v15, vcc
	v_cndmask_b32_e32 v14, 7, v14, vcc
	v_cmp_eq_u32_e32 vcc, 0, v3
	v_min_i32_e32 v3, 15, v3
	v_lshlrev_b32_e32 v3, 3, v3
	v_cmp_eq_u64_e64 s[18:19], 0, v[14:15]
	v_and_b32_e32 v3, 0xf8, v3
	v_and_or_b32 v3, v14, 7, v3
	s_and_b64 s[18:19], vcc, s[18:19]
	v_cndmask_b32_e64 v3, v3, 0, s[18:19]
	v_or_b32_e32 v34, v3, v0
.LBB2_3009:                             ;   in Loop: Header=BB2_2591 Depth=2
	s_or_b64 exec, exec, s[56:57]
.LBB2_3010:                             ;   in Loop: Header=BB2_2591 Depth=2
	s_or_b64 exec, exec, s[54:55]
                                        ; implicit-def: $vgpr3
.LBB2_3011:                             ;   in Loop: Header=BB2_2591 Depth=2
	s_andn2_saveexec_b64 s[18:19], s[52:53]
; %bb.3012:                             ;   in Loop: Header=BB2_2591 Depth=2
	v_or_b32_sdwa v0, v3, s68 dst_sel:DWORD dst_unused:UNUSED_PAD src0_sel:BYTE_3 src1_sel:DWORD
	v_cmp_eq_u64_e32 vcc, 0, v[36:37]
	v_cndmask_b32_e32 v34, v0, v34, vcc
; %bb.3013:                             ;   in Loop: Header=BB2_2591 Depth=2
	s_or_b64 exec, exec, s[18:19]
	v_cmp_lt_u64_e32 vcc, s[42:43], v[10:11]
	v_mov_b32_e32 v0, 0
	s_and_saveexec_b64 s[18:19], vcc
	s_cbranch_execz .LBB2_3019
; %bb.3014:                             ;   in Loop: Header=BB2_2591 Depth=2
	v_lshrrev_b32_e32 v10, 24, v11
	v_cmp_ne_u32_e32 vcc, s69, v10
	v_bfrev_b32_e32 v0, 1
	s_and_saveexec_b64 s[52:53], vcc
	s_cbranch_execz .LBB2_3018
; %bb.3015:                             ;   in Loop: Header=BB2_2591 Depth=2
	v_bfe_u32 v3, v11, 24, 7
	v_cmp_ne_u32_e32 vcc, s68, v3
	v_mov_b32_e32 v0, 0x7f800001
	s_and_saveexec_b64 s[54:55], vcc
	s_cbranch_execz .LBB2_3017
; %bb.3016:                             ;   in Loop: Header=BB2_2591 Depth=2
	v_and_b32_e32 v0, 7, v10
	v_ffbh_u32_e32 v14, v0
	v_min_u32_e32 v16, 32, v14
	v_lshrrev_b32_e32 v11, 3, v3
	v_subrev_u32_e32 v14, 28, v16
	v_lshlrev_b64 v[14:15], v14, v[10:11]
	v_sub_u32_e32 v15, 29, v16
	v_and_b32_e32 v14, 7, v14
	v_cmp_gt_u32_e32 vcc, 8, v3
	v_cndmask_b32_e32 v3, v11, v15, vcc
	v_cndmask_b32_e32 v0, v0, v14, vcc
	v_lshlrev_b32_e32 v10, 24, v10
	v_lshlrev_b32_e32 v0, 20, v0
	v_and_b32_e32 v10, 0x80000000, v10
	v_lshl_add_u32 v3, v3, 23, v50
	v_or3_b32 v0, v10, v3, v0
.LBB2_3017:                             ;   in Loop: Header=BB2_2591 Depth=2
	s_or_b64 exec, exec, s[54:55]
.LBB2_3018:                             ;   in Loop: Header=BB2_2591 Depth=2
	s_or_b64 exec, exec, s[52:53]
.LBB2_3019:                             ;   in Loop: Header=BB2_2591 Depth=2
	s_or_b64 exec, exec, s[18:19]
	v_mul_f32_e32 v3, v7, v0
	v_and_b32_sdwa v0, v3, s69 dst_sel:DWORD dst_unused:UNUSED_PAD src0_sel:BYTE_3 src1_sel:DWORD
	v_and_b32_e32 v10, 0x7f800000, v3
	v_mov_b32_e32 v11, v37
	v_and_b32_e32 v36, 0x7fffff, v3
	v_or_b32_e32 v32, 0x7e, v0
	v_cmp_ne_u64_e32 vcc, s[38:39], v[10:11]
	s_and_saveexec_b64 s[18:19], vcc
	s_xor_b64 s[52:53], exec, s[18:19]
	s_cbranch_execz .LBB2_3029
; %bb.3020:                             ;   in Loop: Header=BB2_2591 Depth=2
	v_and_b32_e32 v10, 0x7fffffff, v3
	v_mov_b32_e32 v11, v37
	v_cmp_gt_u64_e32 vcc, s[40:41], v[10:11]
	s_and_saveexec_b64 s[54:55], vcc
	s_cbranch_execz .LBB2_3028
; %bb.3021:                             ;   in Loop: Header=BB2_2591 Depth=2
	v_cmp_ne_u32_e32 vcc, 0, v3
	v_mov_b32_e32 v32, 0
	s_and_saveexec_b64 s[56:57], vcc
	s_cbranch_execz .LBB2_3027
; %bb.3022:                             ;   in Loop: Header=BB2_2591 Depth=2
	v_bfe_u32 v3, v3, 23, 8
	v_sub_u32_e32 v11, 0x79, v3
	v_cmp_gt_u32_e32 vcc, s71, v3
	v_add_u32_e32 v10, 0xffffff81, v3
	v_cndmask_b32_e32 v11, 0, v11, vcc
	v_cmp_eq_u32_e32 vcc, 0, v3
	v_mov_b32_e32 v3, 0xffffff82
	v_cndmask_b32_e32 v3, v10, v3, vcc
	v_mov_b32_e32 v10, 0x78
	v_or_b32_e32 v14, 0x800000, v36
	v_cndmask_b32_e32 v15, v11, v10, vcc
	v_cndmask_b32_e32 v36, v14, v36, vcc
	v_add_u32_e32 v10, 20, v15
	v_lshlrev_b64 v[10:11], v10, -1
	v_add_u32_e32 v14, 19, v15
	v_lshrrev_b64 v[22:23], v15, v[36:37]
	v_not_b32_e32 v11, v11
	v_not_b32_e32 v10, v10
	v_lshlrev_b64 v[16:17], v14, 1
	v_lshrrev_b32_e32 v14, 23, v22
	v_and_b32_e32 v11, 0, v11
	v_and_b32_e32 v10, v36, v10
	v_add3_u32 v15, v15, v3, v14
	v_bfe_u32 v3, v22, 20, 1
	v_add_u32_e32 v3, -1, v3
	v_cmp_eq_u64_e32 vcc, v[10:11], v[16:17]
	v_cndmask_b32_e32 v3, 0, v3, vcc
	v_add_u32_e32 v3, v3, v22
	v_and_b32_e32 v3, 0xfffff, v3
	v_add_co_u32_e32 v10, vcc, v3, v22
	v_add_u32_e32 v14, 6, v15
	v_addc_co_u32_e32 v11, vcc, 0, v23, vcc
	v_cmp_ne_u32_e32 vcc, 0, v14
                                        ; implicit-def: $vgpr3
	s_and_saveexec_b64 s[18:19], vcc
	s_xor_b64 s[18:19], exec, s[18:19]
; %bb.3023:                             ;   in Loop: Header=BB2_2591 Depth=2
	v_add_u32_e32 v3, 7, v15
	v_cmp_lt_u64_e32 vcc, s[44:45], v[10:11]
	v_cndmask_b32_e32 v3, v14, v3, vcc
	v_cndmask_b32_e64 v14, 0, 1, vcc
	v_lshrrev_b64 v[10:11], v14, v[10:11]
; %bb.3024:                             ;   in Loop: Header=BB2_2591 Depth=2
	s_andn2_saveexec_b64 s[18:19], s[18:19]
; %bb.3025:                             ;   in Loop: Header=BB2_2591 Depth=2
	v_bfe_u32 v3, v10, 23, 1
; %bb.3026:                             ;   in Loop: Header=BB2_2591 Depth=2
	s_or_b64 exec, exec, s[18:19]
	v_lshrrev_b64 v[10:11], 20, v[10:11]
	v_cmp_gt_i32_e32 vcc, 16, v3
	v_cndmask_b32_e32 v11, 0, v11, vcc
	v_cndmask_b32_e32 v10, 7, v10, vcc
	v_cmp_eq_u32_e32 vcc, 0, v3
	v_min_i32_e32 v3, 15, v3
	v_lshlrev_b32_e32 v3, 3, v3
	v_cmp_eq_u64_e64 s[18:19], 0, v[10:11]
	v_and_b32_e32 v3, 0xf8, v3
	v_and_or_b32 v3, v10, 7, v3
	s_and_b64 s[18:19], vcc, s[18:19]
	v_cndmask_b32_e64 v3, v3, 0, s[18:19]
	v_or_b32_e32 v32, v3, v0
.LBB2_3027:                             ;   in Loop: Header=BB2_2591 Depth=2
	s_or_b64 exec, exec, s[56:57]
.LBB2_3028:                             ;   in Loop: Header=BB2_2591 Depth=2
	s_or_b64 exec, exec, s[54:55]
                                        ; implicit-def: $vgpr3
.LBB2_3029:                             ;   in Loop: Header=BB2_2591 Depth=2
	s_andn2_saveexec_b64 s[18:19], s[52:53]
; %bb.3030:                             ;   in Loop: Header=BB2_2591 Depth=2
	v_or_b32_sdwa v0, v3, s68 dst_sel:DWORD dst_unused:UNUSED_PAD src0_sel:BYTE_3 src1_sel:DWORD
	v_cmp_eq_u64_e32 vcc, 0, v[36:37]
	v_cndmask_b32_e32 v32, v0, v32, vcc
; %bb.3031:                             ;   in Loop: Header=BB2_2591 Depth=2
	s_or_b64 exec, exec, s[18:19]
	v_cmp_ne_u16_sdwa vcc, v12, v37 src0_sel:BYTE_0 src1_sel:DWORD
	v_mov_b32_e32 v0, 0
	s_and_saveexec_b64 s[18:19], vcc
	s_cbranch_execz .LBB2_3037
; %bb.3032:                             ;   in Loop: Header=BB2_2591 Depth=2
	v_cmp_ne_u16_sdwa vcc, v12, s69 src0_sel:BYTE_0 src1_sel:DWORD
	v_bfrev_b32_e32 v0, 1
	s_and_saveexec_b64 s[52:53], vcc
	s_cbranch_execz .LBB2_3036
; %bb.3033:                             ;   in Loop: Header=BB2_2591 Depth=2
	v_and_b32_e32 v3, 0x7f, v12
	v_cmp_ne_u32_e32 vcc, s68, v3
	v_mov_b32_e32 v0, 0x7f800001
	s_and_saveexec_b64 s[54:55], vcc
	s_cbranch_execz .LBB2_3035
; %bb.3034:                             ;   in Loop: Header=BB2_2591 Depth=2
	v_and_b32_e32 v0, 7, v12
	v_ffbh_u32_e32 v0, v0
	v_min_u32_e32 v0, 32, v0
	v_subrev_u32_e32 v11, 28, v0
	v_cmp_gt_u32_e32 vcc, 8, v3
	v_lshrrev_b32_e32 v10, 3, v3
	v_sub_u32_e32 v0, 29, v0
	v_cndmask_b32_e32 v3, 0, v11, vcc
	v_cndmask_b32_e32 v0, v10, v0, vcc
	v_lshlrev_b64 v[10:11], v3, v[12:13]
	v_lshlrev_b32_e32 v3, 20, v10
	v_lshlrev_b32_e32 v10, 24, v12
	v_and_b32_e32 v3, 0x700000, v3
	v_and_b32_e32 v10, 0x80000000, v10
	v_lshl_add_u32 v0, v0, 23, v50
	v_or3_b32 v0, v10, v0, v3
.LBB2_3035:                             ;   in Loop: Header=BB2_2591 Depth=2
	s_or_b64 exec, exec, s[54:55]
.LBB2_3036:                             ;   in Loop: Header=BB2_2591 Depth=2
	s_or_b64 exec, exec, s[52:53]
.LBB2_3037:                             ;   in Loop: Header=BB2_2591 Depth=2
	s_or_b64 exec, exec, s[18:19]
	v_mul_f32_e32 v3, v7, v0
	v_and_b32_sdwa v0, v3, s69 dst_sel:DWORD dst_unused:UNUSED_PAD src0_sel:BYTE_3 src1_sel:DWORD
	v_and_b32_e32 v10, 0x7f800000, v3
	v_mov_b32_e32 v11, v37
	v_and_b32_e32 v36, 0x7fffff, v3
	v_or_b32_e32 v39, 0x7e, v0
	v_cmp_ne_u64_e32 vcc, s[38:39], v[10:11]
	s_and_saveexec_b64 s[18:19], vcc
	s_xor_b64 s[52:53], exec, s[18:19]
	s_cbranch_execz .LBB2_3047
; %bb.3038:                             ;   in Loop: Header=BB2_2591 Depth=2
	v_and_b32_e32 v10, 0x7fffffff, v3
	v_mov_b32_e32 v11, v37
	v_cmp_gt_u64_e32 vcc, s[40:41], v[10:11]
	s_and_saveexec_b64 s[54:55], vcc
	s_cbranch_execz .LBB2_3046
; %bb.3039:                             ;   in Loop: Header=BB2_2591 Depth=2
	v_cmp_ne_u32_e32 vcc, 0, v3
	v_mov_b32_e32 v39, 0
	s_and_saveexec_b64 s[56:57], vcc
	s_cbranch_execz .LBB2_3045
; %bb.3040:                             ;   in Loop: Header=BB2_2591 Depth=2
	v_bfe_u32 v3, v3, 23, 8
	v_sub_u32_e32 v11, 0x79, v3
	v_cmp_gt_u32_e32 vcc, s71, v3
	v_add_u32_e32 v10, 0xffffff81, v3
	v_cndmask_b32_e32 v11, 0, v11, vcc
	v_cmp_eq_u32_e32 vcc, 0, v3
	v_mov_b32_e32 v3, 0xffffff82
	v_cndmask_b32_e32 v3, v10, v3, vcc
	v_mov_b32_e32 v10, 0x78
	v_or_b32_e32 v14, 0x800000, v36
	v_cndmask_b32_e32 v15, v11, v10, vcc
	v_cndmask_b32_e32 v36, v14, v36, vcc
	v_add_u32_e32 v10, 20, v15
	v_lshlrev_b64 v[10:11], v10, -1
	v_add_u32_e32 v14, 19, v15
	v_lshrrev_b64 v[22:23], v15, v[36:37]
	v_not_b32_e32 v11, v11
	v_not_b32_e32 v10, v10
	v_lshlrev_b64 v[16:17], v14, 1
	v_lshrrev_b32_e32 v14, 23, v22
	v_and_b32_e32 v11, 0, v11
	v_and_b32_e32 v10, v36, v10
	v_add3_u32 v15, v15, v3, v14
	v_bfe_u32 v3, v22, 20, 1
	v_add_u32_e32 v3, -1, v3
	v_cmp_eq_u64_e32 vcc, v[10:11], v[16:17]
	v_cndmask_b32_e32 v3, 0, v3, vcc
	v_add_u32_e32 v3, v3, v22
	v_and_b32_e32 v3, 0xfffff, v3
	v_add_co_u32_e32 v10, vcc, v3, v22
	v_add_u32_e32 v14, 6, v15
	v_addc_co_u32_e32 v11, vcc, 0, v23, vcc
	v_cmp_ne_u32_e32 vcc, 0, v14
                                        ; implicit-def: $vgpr3
	s_and_saveexec_b64 s[18:19], vcc
	s_xor_b64 s[18:19], exec, s[18:19]
; %bb.3041:                             ;   in Loop: Header=BB2_2591 Depth=2
	v_add_u32_e32 v3, 7, v15
	v_cmp_lt_u64_e32 vcc, s[44:45], v[10:11]
	v_cndmask_b32_e32 v3, v14, v3, vcc
	v_cndmask_b32_e64 v14, 0, 1, vcc
	v_lshrrev_b64 v[10:11], v14, v[10:11]
; %bb.3042:                             ;   in Loop: Header=BB2_2591 Depth=2
	s_andn2_saveexec_b64 s[18:19], s[18:19]
; %bb.3043:                             ;   in Loop: Header=BB2_2591 Depth=2
	v_bfe_u32 v3, v10, 23, 1
; %bb.3044:                             ;   in Loop: Header=BB2_2591 Depth=2
	s_or_b64 exec, exec, s[18:19]
	v_lshrrev_b64 v[10:11], 20, v[10:11]
	v_cmp_gt_i32_e32 vcc, 16, v3
	v_cndmask_b32_e32 v11, 0, v11, vcc
	v_cndmask_b32_e32 v10, 7, v10, vcc
	v_cmp_eq_u32_e32 vcc, 0, v3
	v_min_i32_e32 v3, 15, v3
	v_cmp_eq_u64_e64 s[18:19], 0, v[10:11]
	v_lshlrev_b32_e32 v3, 3, v3
	v_and_or_b32 v3, v10, 7, v3
	s_and_b64 s[18:19], vcc, s[18:19]
	v_cndmask_b32_e64 v3, v3, 0, s[18:19]
	v_or_b32_e32 v39, v3, v0
.LBB2_3045:                             ;   in Loop: Header=BB2_2591 Depth=2
	s_or_b64 exec, exec, s[56:57]
.LBB2_3046:                             ;   in Loop: Header=BB2_2591 Depth=2
	s_or_b64 exec, exec, s[54:55]
                                        ; implicit-def: $vgpr3
.LBB2_3047:                             ;   in Loop: Header=BB2_2591 Depth=2
	s_andn2_saveexec_b64 s[18:19], s[52:53]
; %bb.3048:                             ;   in Loop: Header=BB2_2591 Depth=2
	v_or_b32_sdwa v0, v3, s68 dst_sel:DWORD dst_unused:UNUSED_PAD src0_sel:BYTE_3 src1_sel:DWORD
	v_cmp_eq_u64_e32 vcc, 0, v[36:37]
	v_cndmask_b32_e32 v39, v0, v39, vcc
; %bb.3049:                             ;   in Loop: Header=BB2_2591 Depth=2
	s_or_b64 exec, exec, s[18:19]
	v_lshrrev_b16_e32 v10, 8, v12
	v_cmp_ne_u16_e32 vcc, 0, v10
	v_mov_b32_e32 v0, 0
	s_and_saveexec_b64 s[18:19], vcc
	s_cbranch_execz .LBB2_3055
; %bb.3050:                             ;   in Loop: Header=BB2_2591 Depth=2
	v_cmp_ne_u16_e32 vcc, s69, v10
	v_bfrev_b32_e32 v0, 1
	s_and_saveexec_b64 s[52:53], vcc
	s_cbranch_execz .LBB2_3054
; %bb.3051:                             ;   in Loop: Header=BB2_2591 Depth=2
	v_and_b32_e32 v3, 0x7f, v10
	v_cmp_ne_u32_e32 vcc, s68, v3
	v_mov_b32_e32 v0, 0x7f800001
	s_and_saveexec_b64 s[54:55], vcc
	s_cbranch_execz .LBB2_3053
; %bb.3052:                             ;   in Loop: Header=BB2_2591 Depth=2
	v_and_b32_e32 v0, 7, v10
	v_ffbh_u32_e32 v11, v0
	v_min_u32_e32 v15, 32, v11
	v_subrev_u32_e32 v11, 28, v15
	v_lshlrev_b64 v[10:11], v11, v[10:11]
	v_lshrrev_b32_e32 v14, 3, v3
	v_sub_u32_e32 v11, 29, v15
	v_and_b32_e32 v10, 7, v10
	v_cmp_gt_u32_e32 vcc, 8, v3
	v_cndmask_b32_e32 v3, v14, v11, vcc
	v_cndmask_b32_e32 v0, v0, v10, vcc
	v_lshlrev_b32_e32 v10, 16, v12
	v_lshlrev_b32_e32 v0, 20, v0
	v_and_b32_e32 v10, 0x80000000, v10
	v_lshl_add_u32 v3, v3, 23, v50
	v_or3_b32 v0, v10, v3, v0
.LBB2_3053:                             ;   in Loop: Header=BB2_2591 Depth=2
	s_or_b64 exec, exec, s[54:55]
.LBB2_3054:                             ;   in Loop: Header=BB2_2591 Depth=2
	s_or_b64 exec, exec, s[52:53]
.LBB2_3055:                             ;   in Loop: Header=BB2_2591 Depth=2
	s_or_b64 exec, exec, s[18:19]
	v_mul_f32_e32 v3, v7, v0
	v_and_b32_sdwa v0, v3, s69 dst_sel:DWORD dst_unused:UNUSED_PAD src0_sel:BYTE_3 src1_sel:DWORD
	v_and_b32_e32 v10, 0x7f800000, v3
	v_mov_b32_e32 v11, v37
	v_and_b32_e32 v36, 0x7fffff, v3
	v_or_b32_e32 v57, 0x7e, v0
	v_cmp_ne_u64_e32 vcc, s[38:39], v[10:11]
	s_and_saveexec_b64 s[18:19], vcc
	s_xor_b64 s[52:53], exec, s[18:19]
	s_cbranch_execz .LBB2_3065
; %bb.3056:                             ;   in Loop: Header=BB2_2591 Depth=2
	v_and_b32_e32 v10, 0x7fffffff, v3
	v_mov_b32_e32 v11, v37
	v_cmp_gt_u64_e32 vcc, s[40:41], v[10:11]
	s_and_saveexec_b64 s[54:55], vcc
	s_cbranch_execz .LBB2_3064
; %bb.3057:                             ;   in Loop: Header=BB2_2591 Depth=2
	v_cmp_ne_u32_e32 vcc, 0, v3
	v_mov_b32_e32 v57, 0
	s_and_saveexec_b64 s[56:57], vcc
	s_cbranch_execz .LBB2_3063
; %bb.3058:                             ;   in Loop: Header=BB2_2591 Depth=2
	v_bfe_u32 v3, v3, 23, 8
	v_sub_u32_e32 v11, 0x79, v3
	v_cmp_gt_u32_e32 vcc, s71, v3
	v_add_u32_e32 v10, 0xffffff81, v3
	v_cndmask_b32_e32 v11, 0, v11, vcc
	v_cmp_eq_u32_e32 vcc, 0, v3
	v_mov_b32_e32 v3, 0xffffff82
	v_cndmask_b32_e32 v3, v10, v3, vcc
	v_mov_b32_e32 v10, 0x78
	v_or_b32_e32 v14, 0x800000, v36
	v_cndmask_b32_e32 v15, v11, v10, vcc
	v_cndmask_b32_e32 v36, v14, v36, vcc
	v_add_u32_e32 v10, 20, v15
	v_lshlrev_b64 v[10:11], v10, -1
	v_add_u32_e32 v14, 19, v15
	v_lshrrev_b64 v[22:23], v15, v[36:37]
	v_not_b32_e32 v11, v11
	v_not_b32_e32 v10, v10
	v_lshlrev_b64 v[16:17], v14, 1
	v_lshrrev_b32_e32 v14, 23, v22
	v_and_b32_e32 v11, 0, v11
	v_and_b32_e32 v10, v36, v10
	v_add3_u32 v15, v15, v3, v14
	v_bfe_u32 v3, v22, 20, 1
	v_add_u32_e32 v3, -1, v3
	v_cmp_eq_u64_e32 vcc, v[10:11], v[16:17]
	v_cndmask_b32_e32 v3, 0, v3, vcc
	v_add_u32_e32 v3, v3, v22
	v_and_b32_e32 v3, 0xfffff, v3
	v_add_co_u32_e32 v10, vcc, v3, v22
	v_add_u32_e32 v14, 6, v15
	v_addc_co_u32_e32 v11, vcc, 0, v23, vcc
	v_cmp_ne_u32_e32 vcc, 0, v14
                                        ; implicit-def: $vgpr3
	s_and_saveexec_b64 s[18:19], vcc
	s_xor_b64 s[18:19], exec, s[18:19]
; %bb.3059:                             ;   in Loop: Header=BB2_2591 Depth=2
	v_add_u32_e32 v3, 7, v15
	v_cmp_lt_u64_e32 vcc, s[44:45], v[10:11]
	v_cndmask_b32_e32 v3, v14, v3, vcc
	v_cndmask_b32_e64 v14, 0, 1, vcc
	v_lshrrev_b64 v[10:11], v14, v[10:11]
; %bb.3060:                             ;   in Loop: Header=BB2_2591 Depth=2
	s_andn2_saveexec_b64 s[18:19], s[18:19]
; %bb.3061:                             ;   in Loop: Header=BB2_2591 Depth=2
	v_bfe_u32 v3, v10, 23, 1
; %bb.3062:                             ;   in Loop: Header=BB2_2591 Depth=2
	s_or_b64 exec, exec, s[18:19]
	v_lshrrev_b64 v[10:11], 20, v[10:11]
	v_cmp_gt_i32_e32 vcc, 16, v3
	v_cndmask_b32_e32 v11, 0, v11, vcc
	v_cndmask_b32_e32 v10, 7, v10, vcc
	v_cmp_eq_u32_e32 vcc, 0, v3
	v_min_i32_e32 v3, 15, v3
	v_cmp_eq_u64_e64 s[18:19], 0, v[10:11]
	v_lshlrev_b32_e32 v3, 3, v3
	v_and_or_b32 v3, v10, 7, v3
	s_and_b64 s[18:19], vcc, s[18:19]
	v_cndmask_b32_e64 v3, v3, 0, s[18:19]
	v_or_b32_e32 v57, v3, v0
.LBB2_3063:                             ;   in Loop: Header=BB2_2591 Depth=2
	s_or_b64 exec, exec, s[56:57]
.LBB2_3064:                             ;   in Loop: Header=BB2_2591 Depth=2
	s_or_b64 exec, exec, s[54:55]
                                        ; implicit-def: $vgpr3
.LBB2_3065:                             ;   in Loop: Header=BB2_2591 Depth=2
	s_andn2_saveexec_b64 s[18:19], s[52:53]
; %bb.3066:                             ;   in Loop: Header=BB2_2591 Depth=2
	v_or_b32_sdwa v0, v3, s68 dst_sel:DWORD dst_unused:UNUSED_PAD src0_sel:BYTE_3 src1_sel:DWORD
	v_cmp_eq_u64_e32 vcc, 0, v[36:37]
	v_cndmask_b32_e32 v57, v0, v57, vcc
; %bb.3067:                             ;   in Loop: Header=BB2_2591 Depth=2
	s_or_b64 exec, exec, s[18:19]
	v_lshrrev_b32_e32 v10, 16, v12
	v_cmp_ne_u16_sdwa vcc, v10, v37 src0_sel:BYTE_0 src1_sel:DWORD
	v_mov_b32_e32 v0, 0
	s_and_saveexec_b64 s[18:19], vcc
	s_cbranch_execz .LBB2_3073
; %bb.3068:                             ;   in Loop: Header=BB2_2591 Depth=2
	v_cmp_ne_u16_sdwa vcc, v10, s69 src0_sel:BYTE_0 src1_sel:DWORD
	v_bfrev_b32_e32 v0, 1
	s_and_saveexec_b64 s[52:53], vcc
	s_cbranch_execz .LBB2_3072
; %bb.3069:                             ;   in Loop: Header=BB2_2591 Depth=2
	v_bfe_u32 v3, v12, 16, 7
	v_cmp_ne_u32_e32 vcc, s68, v3
	v_mov_b32_e32 v0, 0x7f800001
	s_and_saveexec_b64 s[54:55], vcc
	s_cbranch_execz .LBB2_3071
; %bb.3070:                             ;   in Loop: Header=BB2_2591 Depth=2
	v_and_b32_e32 v0, 7, v10
	v_ffbh_u32_e32 v14, v0
	v_min_u32_e32 v16, 32, v14
	v_lshrrev_b32_e32 v11, 3, v3
	v_subrev_u32_e32 v14, 28, v16
	v_lshlrev_b64 v[14:15], v14, v[10:11]
	v_sub_u32_e32 v15, 29, v16
	v_and_b32_e32 v14, 7, v14
	v_cmp_gt_u32_e32 vcc, 8, v3
	v_cndmask_b32_e32 v3, v11, v15, vcc
	v_cndmask_b32_e32 v0, v0, v14, vcc
	v_lshlrev_b32_e32 v10, 24, v10
	v_lshlrev_b32_e32 v0, 20, v0
	v_and_b32_e32 v10, 0x80000000, v10
	v_lshl_add_u32 v3, v3, 23, v50
	v_or3_b32 v0, v10, v3, v0
.LBB2_3071:                             ;   in Loop: Header=BB2_2591 Depth=2
	s_or_b64 exec, exec, s[54:55]
.LBB2_3072:                             ;   in Loop: Header=BB2_2591 Depth=2
	s_or_b64 exec, exec, s[52:53]
.LBB2_3073:                             ;   in Loop: Header=BB2_2591 Depth=2
	s_or_b64 exec, exec, s[18:19]
	v_mul_f32_e32 v3, v7, v0
	v_and_b32_sdwa v0, v3, s69 dst_sel:DWORD dst_unused:UNUSED_PAD src0_sel:BYTE_3 src1_sel:DWORD
	v_and_b32_e32 v10, 0x7f800000, v3
	v_mov_b32_e32 v11, v37
	v_and_b32_e32 v36, 0x7fffff, v3
	v_or_b32_e32 v46, 0x7e, v0
	v_cmp_ne_u64_e32 vcc, s[38:39], v[10:11]
	s_and_saveexec_b64 s[18:19], vcc
	s_xor_b64 s[52:53], exec, s[18:19]
	s_cbranch_execz .LBB2_3083
; %bb.3074:                             ;   in Loop: Header=BB2_2591 Depth=2
	v_and_b32_e32 v10, 0x7fffffff, v3
	v_mov_b32_e32 v11, v37
	v_cmp_gt_u64_e32 vcc, s[40:41], v[10:11]
	s_and_saveexec_b64 s[54:55], vcc
	s_cbranch_execz .LBB2_3082
; %bb.3075:                             ;   in Loop: Header=BB2_2591 Depth=2
	v_cmp_ne_u32_e32 vcc, 0, v3
	v_mov_b32_e32 v46, 0
	s_and_saveexec_b64 s[56:57], vcc
	s_cbranch_execz .LBB2_3081
; %bb.3076:                             ;   in Loop: Header=BB2_2591 Depth=2
	v_bfe_u32 v3, v3, 23, 8
	v_sub_u32_e32 v11, 0x79, v3
	v_cmp_gt_u32_e32 vcc, s71, v3
	v_add_u32_e32 v10, 0xffffff81, v3
	v_cndmask_b32_e32 v11, 0, v11, vcc
	v_cmp_eq_u32_e32 vcc, 0, v3
	v_mov_b32_e32 v3, 0xffffff82
	v_cndmask_b32_e32 v3, v10, v3, vcc
	v_mov_b32_e32 v10, 0x78
	v_or_b32_e32 v14, 0x800000, v36
	v_cndmask_b32_e32 v15, v11, v10, vcc
	v_cndmask_b32_e32 v36, v14, v36, vcc
	v_add_u32_e32 v10, 20, v15
	v_lshlrev_b64 v[10:11], v10, -1
	v_add_u32_e32 v14, 19, v15
	v_lshrrev_b64 v[22:23], v15, v[36:37]
	v_not_b32_e32 v11, v11
	v_not_b32_e32 v10, v10
	v_lshlrev_b64 v[16:17], v14, 1
	v_lshrrev_b32_e32 v14, 23, v22
	v_and_b32_e32 v11, 0, v11
	v_and_b32_e32 v10, v36, v10
	v_add3_u32 v15, v15, v3, v14
	v_bfe_u32 v3, v22, 20, 1
	v_add_u32_e32 v3, -1, v3
	v_cmp_eq_u64_e32 vcc, v[10:11], v[16:17]
	v_cndmask_b32_e32 v3, 0, v3, vcc
	v_add_u32_e32 v3, v3, v22
	v_and_b32_e32 v3, 0xfffff, v3
	v_add_co_u32_e32 v10, vcc, v3, v22
	v_add_u32_e32 v14, 6, v15
	v_addc_co_u32_e32 v11, vcc, 0, v23, vcc
	v_cmp_ne_u32_e32 vcc, 0, v14
                                        ; implicit-def: $vgpr3
	s_and_saveexec_b64 s[18:19], vcc
	s_xor_b64 s[18:19], exec, s[18:19]
; %bb.3077:                             ;   in Loop: Header=BB2_2591 Depth=2
	v_add_u32_e32 v3, 7, v15
	v_cmp_lt_u64_e32 vcc, s[44:45], v[10:11]
	v_cndmask_b32_e32 v3, v14, v3, vcc
	v_cndmask_b32_e64 v14, 0, 1, vcc
	v_lshrrev_b64 v[10:11], v14, v[10:11]
; %bb.3078:                             ;   in Loop: Header=BB2_2591 Depth=2
	s_andn2_saveexec_b64 s[18:19], s[18:19]
; %bb.3079:                             ;   in Loop: Header=BB2_2591 Depth=2
	v_bfe_u32 v3, v10, 23, 1
; %bb.3080:                             ;   in Loop: Header=BB2_2591 Depth=2
	s_or_b64 exec, exec, s[18:19]
	v_lshrrev_b64 v[10:11], 20, v[10:11]
	v_cmp_gt_i32_e32 vcc, 16, v3
	v_cndmask_b32_e32 v11, 0, v11, vcc
	v_cndmask_b32_e32 v10, 7, v10, vcc
	v_cmp_eq_u32_e32 vcc, 0, v3
	v_min_i32_e32 v3, 15, v3
	v_cmp_eq_u64_e64 s[18:19], 0, v[10:11]
	v_lshlrev_b32_e32 v3, 3, v3
	v_and_or_b32 v3, v10, 7, v3
	s_and_b64 s[18:19], vcc, s[18:19]
	v_cndmask_b32_e64 v3, v3, 0, s[18:19]
	v_or_b32_e32 v46, v3, v0
.LBB2_3081:                             ;   in Loop: Header=BB2_2591 Depth=2
	s_or_b64 exec, exec, s[56:57]
.LBB2_3082:                             ;   in Loop: Header=BB2_2591 Depth=2
	s_or_b64 exec, exec, s[54:55]
                                        ; implicit-def: $vgpr3
.LBB2_3083:                             ;   in Loop: Header=BB2_2591 Depth=2
	s_andn2_saveexec_b64 s[18:19], s[52:53]
; %bb.3084:                             ;   in Loop: Header=BB2_2591 Depth=2
	v_or_b32_sdwa v0, v3, s68 dst_sel:DWORD dst_unused:UNUSED_PAD src0_sel:BYTE_3 src1_sel:DWORD
	v_cmp_eq_u64_e32 vcc, 0, v[36:37]
	v_cndmask_b32_e32 v46, v0, v46, vcc
; %bb.3085:                             ;   in Loop: Header=BB2_2591 Depth=2
	s_or_b64 exec, exec, s[18:19]
	v_cmp_lt_u32_e32 vcc, s43, v12
	v_mov_b32_e32 v0, 0
	s_and_saveexec_b64 s[18:19], vcc
	s_cbranch_execz .LBB2_3091
; %bb.3086:                             ;   in Loop: Header=BB2_2591 Depth=2
	v_lshrrev_b32_e32 v10, 24, v12
	v_cmp_ne_u32_e32 vcc, s69, v10
	v_bfrev_b32_e32 v0, 1
	s_and_saveexec_b64 s[52:53], vcc
	s_cbranch_execz .LBB2_3090
; %bb.3087:                             ;   in Loop: Header=BB2_2591 Depth=2
	v_bfe_u32 v3, v12, 24, 7
	v_cmp_ne_u32_e32 vcc, s68, v3
	v_mov_b32_e32 v0, 0x7f800001
	s_and_saveexec_b64 s[54:55], vcc
	s_cbranch_execz .LBB2_3089
; %bb.3088:                             ;   in Loop: Header=BB2_2591 Depth=2
	v_and_b32_e32 v0, 7, v10
	v_ffbh_u32_e32 v14, v0
	v_min_u32_e32 v16, 32, v14
	v_lshrrev_b32_e32 v11, 3, v3
	v_subrev_u32_e32 v14, 28, v16
	v_lshlrev_b64 v[14:15], v14, v[10:11]
	v_sub_u32_e32 v15, 29, v16
	v_and_b32_e32 v14, 7, v14
	v_cmp_gt_u32_e32 vcc, 8, v3
	v_cndmask_b32_e32 v3, v11, v15, vcc
	v_cndmask_b32_e32 v0, v0, v14, vcc
	v_lshlrev_b32_e32 v10, 24, v10
	v_lshlrev_b32_e32 v0, 20, v0
	v_and_b32_e32 v10, 0x80000000, v10
	v_lshl_add_u32 v3, v3, 23, v50
	v_or3_b32 v0, v10, v3, v0
.LBB2_3089:                             ;   in Loop: Header=BB2_2591 Depth=2
	s_or_b64 exec, exec, s[54:55]
.LBB2_3090:                             ;   in Loop: Header=BB2_2591 Depth=2
	s_or_b64 exec, exec, s[52:53]
.LBB2_3091:                             ;   in Loop: Header=BB2_2591 Depth=2
	s_or_b64 exec, exec, s[18:19]
	v_mul_f32_e32 v10, v7, v0
	v_and_b32_sdwa v3, v10, s69 dst_sel:DWORD dst_unused:UNUSED_PAD src0_sel:BYTE_3 src1_sel:DWORD
	v_and_b32_e32 v14, 0x7f800000, v10
	v_mov_b32_e32 v15, v37
	v_and_b32_e32 v36, 0x7fffff, v10
	v_or_b32_e32 v0, 0x7e, v3
	v_cmp_ne_u64_e32 vcc, s[38:39], v[14:15]
	s_and_saveexec_b64 s[18:19], vcc
	s_xor_b64 s[52:53], exec, s[18:19]
	s_cbranch_execz .LBB2_3101
; %bb.3092:                             ;   in Loop: Header=BB2_2591 Depth=2
	v_and_b32_e32 v14, 0x7fffffff, v10
	v_mov_b32_e32 v15, v37
	v_cmp_gt_u64_e32 vcc, s[40:41], v[14:15]
	s_and_saveexec_b64 s[54:55], vcc
	s_cbranch_execz .LBB2_3100
; %bb.3093:                             ;   in Loop: Header=BB2_2591 Depth=2
	v_cmp_ne_u32_e32 vcc, 0, v10
	v_mov_b32_e32 v0, 0
	s_and_saveexec_b64 s[56:57], vcc
	s_cbranch_execz .LBB2_3099
; %bb.3094:                             ;   in Loop: Header=BB2_2591 Depth=2
	v_bfe_u32 v0, v10, 23, 8
	v_sub_u32_e32 v11, 0x79, v0
	v_cmp_gt_u32_e32 vcc, s71, v0
	v_add_u32_e32 v10, 0xffffff81, v0
	v_cndmask_b32_e32 v11, 0, v11, vcc
	v_cmp_eq_u32_e32 vcc, 0, v0
	v_mov_b32_e32 v0, 0xffffff82
	v_cndmask_b32_e32 v0, v10, v0, vcc
	v_mov_b32_e32 v10, 0x78
	v_or_b32_e32 v14, 0x800000, v36
	v_cndmask_b32_e32 v15, v11, v10, vcc
	v_cndmask_b32_e32 v36, v14, v36, vcc
	v_add_u32_e32 v10, 20, v15
	v_lshlrev_b64 v[10:11], v10, -1
	v_add_u32_e32 v14, 19, v15
	v_lshrrev_b64 v[22:23], v15, v[36:37]
	v_not_b32_e32 v11, v11
	v_not_b32_e32 v10, v10
	v_lshlrev_b64 v[16:17], v14, 1
	v_lshrrev_b32_e32 v14, 23, v22
	v_and_b32_e32 v11, 0, v11
	v_and_b32_e32 v10, v36, v10
	v_add3_u32 v15, v15, v0, v14
	v_bfe_u32 v0, v22, 20, 1
	v_add_u32_e32 v0, -1, v0
	v_cmp_eq_u64_e32 vcc, v[10:11], v[16:17]
	v_cndmask_b32_e32 v0, 0, v0, vcc
	v_add_u32_e32 v0, v0, v22
	v_and_b32_e32 v0, 0xfffff, v0
	v_add_co_u32_e32 v10, vcc, v0, v22
	v_add_u32_e32 v14, 6, v15
	v_addc_co_u32_e32 v11, vcc, 0, v23, vcc
	v_cmp_ne_u32_e32 vcc, 0, v14
                                        ; implicit-def: $vgpr0
	s_and_saveexec_b64 s[18:19], vcc
	s_xor_b64 s[18:19], exec, s[18:19]
; %bb.3095:                             ;   in Loop: Header=BB2_2591 Depth=2
	v_add_u32_e32 v0, 7, v15
	v_cmp_lt_u64_e32 vcc, s[44:45], v[10:11]
	v_cndmask_b32_e32 v0, v14, v0, vcc
	v_cndmask_b32_e64 v14, 0, 1, vcc
	v_lshrrev_b64 v[10:11], v14, v[10:11]
; %bb.3096:                             ;   in Loop: Header=BB2_2591 Depth=2
	s_andn2_saveexec_b64 s[18:19], s[18:19]
; %bb.3097:                             ;   in Loop: Header=BB2_2591 Depth=2
	v_bfe_u32 v0, v10, 23, 1
; %bb.3098:                             ;   in Loop: Header=BB2_2591 Depth=2
	s_or_b64 exec, exec, s[18:19]
	v_lshrrev_b64 v[10:11], 20, v[10:11]
	v_cmp_gt_i32_e32 vcc, 16, v0
	v_cndmask_b32_e32 v11, 0, v11, vcc
	v_cndmask_b32_e32 v10, 7, v10, vcc
	v_cmp_eq_u32_e32 vcc, 0, v0
	v_min_i32_e32 v0, 15, v0
	v_cmp_eq_u64_e64 s[18:19], 0, v[10:11]
	v_lshlrev_b32_e32 v0, 3, v0
	v_and_or_b32 v0, v10, 7, v0
	s_and_b64 s[18:19], vcc, s[18:19]
	v_cndmask_b32_e64 v0, v0, 0, s[18:19]
	v_or_b32_e32 v0, v0, v3
.LBB2_3099:                             ;   in Loop: Header=BB2_2591 Depth=2
	s_or_b64 exec, exec, s[56:57]
.LBB2_3100:                             ;   in Loop: Header=BB2_2591 Depth=2
	s_or_b64 exec, exec, s[54:55]
                                        ; implicit-def: $vgpr10
.LBB2_3101:                             ;   in Loop: Header=BB2_2591 Depth=2
	s_andn2_saveexec_b64 s[18:19], s[52:53]
; %bb.3102:                             ;   in Loop: Header=BB2_2591 Depth=2
	v_or_b32_sdwa v3, v10, s68 dst_sel:DWORD dst_unused:UNUSED_PAD src0_sel:BYTE_3 src1_sel:DWORD
	v_cmp_eq_u64_e32 vcc, 0, v[36:37]
	v_cndmask_b32_e32 v0, v3, v0, vcc
; %bb.3103:                             ;   in Loop: Header=BB2_2591 Depth=2
	s_or_b64 exec, exec, s[18:19]
	v_mov_b32_e32 v36, v13
	v_cmp_ne_u16_sdwa vcc, v13, v37 src0_sel:BYTE_0 src1_sel:DWORD
	v_mov_b32_e32 v3, 0
	s_and_saveexec_b64 s[18:19], vcc
	s_cbranch_execz .LBB2_3109
; %bb.3104:                             ;   in Loop: Header=BB2_2591 Depth=2
	v_cmp_ne_u16_sdwa vcc, v13, s69 src0_sel:BYTE_0 src1_sel:DWORD
	v_bfrev_b32_e32 v3, 1
	s_and_saveexec_b64 s[52:53], vcc
	s_cbranch_execz .LBB2_3108
; %bb.3105:                             ;   in Loop: Header=BB2_2591 Depth=2
	v_and_b32_e32 v10, 0x7f, v13
	v_cmp_ne_u32_e32 vcc, s68, v10
	v_mov_b32_e32 v3, 0x7f800001
	s_and_saveexec_b64 s[54:55], vcc
	s_cbranch_execz .LBB2_3107
; %bb.3106:                             ;   in Loop: Header=BB2_2591 Depth=2
	v_and_b32_e32 v3, 7, v13
	v_ffbh_u32_e32 v3, v3
	v_min_u32_e32 v3, 32, v3
	v_subrev_u32_e32 v14, 28, v3
	v_cmp_gt_u32_e32 vcc, 8, v10
	v_lshrrev_b32_e32 v11, 3, v10
	v_sub_u32_e32 v3, 29, v3
	v_cndmask_b32_e32 v10, 0, v14, vcc
	v_cndmask_b32_e32 v3, v11, v3, vcc
	v_lshlrev_b64 v[10:11], v10, v[36:37]
	v_lshlrev_b32_e32 v10, 20, v10
	v_lshlrev_b32_e32 v11, 24, v36
	v_and_b32_e32 v10, 0x700000, v10
	v_and_b32_e32 v11, 0x80000000, v11
	v_lshl_add_u32 v3, v3, 23, v50
	v_or3_b32 v3, v11, v3, v10
.LBB2_3107:                             ;   in Loop: Header=BB2_2591 Depth=2
	s_or_b64 exec, exec, s[54:55]
.LBB2_3108:                             ;   in Loop: Header=BB2_2591 Depth=2
	s_or_b64 exec, exec, s[52:53]
.LBB2_3109:                             ;   in Loop: Header=BB2_2591 Depth=2
	s_or_b64 exec, exec, s[18:19]
	v_mul_f32_e32 v14, v7, v3
	v_and_b32_sdwa v3, v14, s69 dst_sel:DWORD dst_unused:UNUSED_PAD src0_sel:BYTE_3 src1_sel:DWORD
	v_and_b32_e32 v16, 0x7f800000, v14
	v_mov_b32_e32 v17, v37
	v_and_b32_e32 v10, 0x7fffff, v14
	v_mov_b32_e32 v11, v37
	v_or_b32_e32 v19, 0x7e, v3
	v_cmp_ne_u64_e32 vcc, s[38:39], v[16:17]
	s_and_saveexec_b64 s[18:19], vcc
	s_xor_b64 s[52:53], exec, s[18:19]
	s_cbranch_execz .LBB2_3119
; %bb.3110:                             ;   in Loop: Header=BB2_2591 Depth=2
	v_and_b32_e32 v16, 0x7fffffff, v14
	v_mov_b32_e32 v17, v37
	v_cmp_gt_u64_e32 vcc, s[40:41], v[16:17]
	s_and_saveexec_b64 s[54:55], vcc
	s_cbranch_execz .LBB2_3118
; %bb.3111:                             ;   in Loop: Header=BB2_2591 Depth=2
	v_cmp_ne_u32_e32 vcc, 0, v14
	v_mov_b32_e32 v19, 0
	s_and_saveexec_b64 s[56:57], vcc
	s_cbranch_execz .LBB2_3117
; %bb.3112:                             ;   in Loop: Header=BB2_2591 Depth=2
	v_bfe_u32 v14, v14, 23, 8
	v_sub_u32_e32 v16, 0x79, v14
	v_cmp_gt_u32_e32 vcc, s71, v14
	v_add_u32_e32 v15, 0xffffff81, v14
	v_cndmask_b32_e32 v16, 0, v16, vcc
	v_cmp_eq_u32_e32 vcc, 0, v14
	v_mov_b32_e32 v14, 0xffffff82
	v_cndmask_b32_e32 v19, v15, v14, vcc
	v_mov_b32_e32 v14, 0x78
	v_cndmask_b32_e32 v16, v16, v14, vcc
	v_add_u32_e32 v14, 20, v16
	v_or_b32_e32 v17, 0x800000, v10
	v_lshlrev_b64 v[14:15], v14, -1
	v_cndmask_b32_e32 v10, v17, v10, vcc
	v_not_b32_e32 v14, v14
	v_and_b32_e32 v22, v10, v14
	v_add_u32_e32 v14, 19, v16
	v_lshrrev_b64 v[10:11], v16, v[10:11]
	v_not_b32_e32 v15, v15
	v_lshlrev_b64 v[26:27], v14, 1
	v_lshrrev_b32_e32 v14, 23, v10
	v_and_b32_e32 v23, 0, v15
	v_add3_u32 v16, v16, v19, v14
	v_bfe_u32 v14, v10, 20, 1
	v_add_u32_e32 v14, -1, v14
	v_cmp_eq_u64_e32 vcc, v[22:23], v[26:27]
	v_cndmask_b32_e32 v14, 0, v14, vcc
	v_add_u32_e32 v14, v14, v10
	v_and_b32_e32 v14, 0xfffff, v14
	v_add_co_u32_e32 v10, vcc, v14, v10
	v_add_u32_e32 v15, 6, v16
	v_addc_co_u32_e32 v11, vcc, 0, v11, vcc
	v_cmp_ne_u32_e32 vcc, 0, v15
                                        ; implicit-def: $vgpr14
	s_and_saveexec_b64 s[18:19], vcc
	s_xor_b64 s[18:19], exec, s[18:19]
; %bb.3113:                             ;   in Loop: Header=BB2_2591 Depth=2
	v_add_u32_e32 v14, 7, v16
	v_cmp_lt_u64_e32 vcc, s[44:45], v[10:11]
	v_cndmask_b32_e32 v14, v15, v14, vcc
	v_cndmask_b32_e64 v15, 0, 1, vcc
	v_lshrrev_b64 v[10:11], v15, v[10:11]
; %bb.3114:                             ;   in Loop: Header=BB2_2591 Depth=2
	s_andn2_saveexec_b64 s[18:19], s[18:19]
; %bb.3115:                             ;   in Loop: Header=BB2_2591 Depth=2
	v_bfe_u32 v14, v10, 23, 1
; %bb.3116:                             ;   in Loop: Header=BB2_2591 Depth=2
	s_or_b64 exec, exec, s[18:19]
	v_lshrrev_b64 v[10:11], 20, v[10:11]
	v_cmp_gt_i32_e32 vcc, 16, v14
	v_cndmask_b32_e32 v11, 0, v11, vcc
	v_cndmask_b32_e32 v10, 7, v10, vcc
	v_cmp_eq_u64_e64 s[18:19], 0, v[10:11]
	v_min_i32_e32 v11, 15, v14
	v_cmp_eq_u32_e32 vcc, 0, v14
	v_lshlrev_b32_e32 v11, 3, v11
	v_and_or_b32 v10, v10, 7, v11
	s_and_b64 s[18:19], vcc, s[18:19]
	v_cndmask_b32_e64 v10, v10, 0, s[18:19]
	v_or_b32_e32 v19, v10, v3
.LBB2_3117:                             ;   in Loop: Header=BB2_2591 Depth=2
	s_or_b64 exec, exec, s[56:57]
.LBB2_3118:                             ;   in Loop: Header=BB2_2591 Depth=2
	s_or_b64 exec, exec, s[54:55]
                                        ; implicit-def: $vgpr14
                                        ; implicit-def: $vgpr10_vgpr11
.LBB2_3119:                             ;   in Loop: Header=BB2_2591 Depth=2
	s_andn2_saveexec_b64 s[18:19], s[52:53]
; %bb.3120:                             ;   in Loop: Header=BB2_2591 Depth=2
	v_or_b32_sdwa v3, v14, s68 dst_sel:DWORD dst_unused:UNUSED_PAD src0_sel:BYTE_3 src1_sel:DWORD
	v_cmp_eq_u64_e32 vcc, 0, v[10:11]
	v_cndmask_b32_e32 v19, v3, v19, vcc
; %bb.3121:                             ;   in Loop: Header=BB2_2591 Depth=2
	s_or_b64 exec, exec, s[18:19]
	v_lshrrev_b16_e32 v10, 8, v36
	v_cmp_ne_u16_e32 vcc, 0, v10
	v_mov_b32_e32 v3, 0
	s_and_saveexec_b64 s[18:19], vcc
	s_cbranch_execz .LBB2_3127
; %bb.3122:                             ;   in Loop: Header=BB2_2591 Depth=2
	v_cmp_ne_u16_e32 vcc, s69, v10
	v_bfrev_b32_e32 v3, 1
	s_and_saveexec_b64 s[52:53], vcc
	s_cbranch_execz .LBB2_3126
; %bb.3123:                             ;   in Loop: Header=BB2_2591 Depth=2
	v_and_b32_e32 v11, 0x7f, v10
	v_cmp_ne_u32_e32 vcc, s68, v11
	v_mov_b32_e32 v3, 0x7f800001
	s_and_saveexec_b64 s[54:55], vcc
	s_cbranch_execz .LBB2_3125
; %bb.3124:                             ;   in Loop: Header=BB2_2591 Depth=2
	v_and_b32_e32 v3, 7, v10
	v_ffbh_u32_e32 v14, v3
	v_min_u32_e32 v17, 32, v14
	v_subrev_u32_e32 v14, 28, v17
	v_lshlrev_b64 v[14:15], v14, v[10:11]
	v_lshrrev_b32_e32 v16, 3, v11
	v_sub_u32_e32 v10, 29, v17
	v_and_b32_e32 v14, 7, v14
	v_cmp_gt_u32_e32 vcc, 8, v11
	v_cndmask_b32_e32 v10, v16, v10, vcc
	v_cndmask_b32_e32 v3, v3, v14, vcc
	v_lshlrev_b32_e32 v11, 16, v36
	v_lshlrev_b32_e32 v3, 20, v3
	v_and_b32_e32 v11, 0x80000000, v11
	v_lshl_add_u32 v10, v10, 23, v50
	v_or3_b32 v3, v11, v10, v3
.LBB2_3125:                             ;   in Loop: Header=BB2_2591 Depth=2
	s_or_b64 exec, exec, s[54:55]
.LBB2_3126:                             ;   in Loop: Header=BB2_2591 Depth=2
	s_or_b64 exec, exec, s[52:53]
.LBB2_3127:                             ;   in Loop: Header=BB2_2591 Depth=2
	s_or_b64 exec, exec, s[18:19]
	v_mul_f32_e32 v10, v7, v3
	v_and_b32_sdwa v3, v10, s69 dst_sel:DWORD dst_unused:UNUSED_PAD src0_sel:BYTE_3 src1_sel:DWORD
	v_and_b32_e32 v14, 0x7f800000, v10
	v_mov_b32_e32 v15, v37
	v_and_b32_e32 v36, 0x7fffff, v10
	v_or_b32_e32 v26, 0x7e, v3
	v_cmp_ne_u64_e32 vcc, s[38:39], v[14:15]
	s_and_saveexec_b64 s[18:19], vcc
	s_xor_b64 s[52:53], exec, s[18:19]
	s_cbranch_execz .LBB2_3137
; %bb.3128:                             ;   in Loop: Header=BB2_2591 Depth=2
	v_and_b32_e32 v14, 0x7fffffff, v10
	v_mov_b32_e32 v15, v37
	v_cmp_gt_u64_e32 vcc, s[40:41], v[14:15]
	s_and_saveexec_b64 s[54:55], vcc
	s_cbranch_execz .LBB2_3136
; %bb.3129:                             ;   in Loop: Header=BB2_2591 Depth=2
	v_cmp_ne_u32_e32 vcc, 0, v10
	v_mov_b32_e32 v26, 0
	s_and_saveexec_b64 s[56:57], vcc
	s_cbranch_execz .LBB2_3135
; %bb.3130:                             ;   in Loop: Header=BB2_2591 Depth=2
	v_bfe_u32 v10, v10, 23, 8
	v_sub_u32_e32 v14, 0x79, v10
	v_cmp_gt_u32_e32 vcc, s71, v10
	v_add_u32_e32 v11, 0xffffff81, v10
	v_cndmask_b32_e32 v14, 0, v14, vcc
	v_cmp_eq_u32_e32 vcc, 0, v10
	v_mov_b32_e32 v10, 0xffffff82
	v_cndmask_b32_e32 v16, v11, v10, vcc
	v_mov_b32_e32 v10, 0x78
	v_or_b32_e32 v15, 0x800000, v36
	v_cndmask_b32_e32 v14, v14, v10, vcc
	v_cndmask_b32_e32 v36, v15, v36, vcc
	v_add_u32_e32 v10, 20, v14
	v_lshlrev_b64 v[10:11], v10, -1
	v_add_u32_e32 v15, 19, v14
	v_lshrrev_b64 v[26:27], v14, v[36:37]
	v_not_b32_e32 v11, v11
	v_not_b32_e32 v10, v10
	v_lshlrev_b64 v[22:23], v15, 1
	v_lshrrev_b32_e32 v15, 23, v26
	v_and_b32_e32 v11, 0, v11
	v_and_b32_e32 v10, v36, v10
	v_add3_u32 v16, v14, v16, v15
	v_bfe_u32 v14, v26, 20, 1
	v_add_u32_e32 v14, -1, v14
	v_cmp_eq_u64_e32 vcc, v[10:11], v[22:23]
	v_cndmask_b32_e32 v10, 0, v14, vcc
	v_add_u32_e32 v10, v10, v26
	v_and_b32_e32 v10, 0xfffff, v10
	v_add_co_u32_e32 v10, vcc, v10, v26
	v_add_u32_e32 v15, 6, v16
	v_addc_co_u32_e32 v11, vcc, 0, v27, vcc
	v_cmp_ne_u32_e32 vcc, 0, v15
                                        ; implicit-def: $vgpr14
	s_and_saveexec_b64 s[18:19], vcc
	s_xor_b64 s[18:19], exec, s[18:19]
; %bb.3131:                             ;   in Loop: Header=BB2_2591 Depth=2
	v_add_u32_e32 v14, 7, v16
	v_cmp_lt_u64_e32 vcc, s[44:45], v[10:11]
	v_cndmask_b32_e32 v14, v15, v14, vcc
	v_cndmask_b32_e64 v15, 0, 1, vcc
	v_lshrrev_b64 v[10:11], v15, v[10:11]
; %bb.3132:                             ;   in Loop: Header=BB2_2591 Depth=2
	s_andn2_saveexec_b64 s[18:19], s[18:19]
; %bb.3133:                             ;   in Loop: Header=BB2_2591 Depth=2
	v_bfe_u32 v14, v10, 23, 1
; %bb.3134:                             ;   in Loop: Header=BB2_2591 Depth=2
	s_or_b64 exec, exec, s[18:19]
	v_lshrrev_b64 v[10:11], 20, v[10:11]
	v_cmp_gt_i32_e32 vcc, 16, v14
	v_cndmask_b32_e32 v11, 0, v11, vcc
	v_cndmask_b32_e32 v10, 7, v10, vcc
	v_cmp_eq_u64_e64 s[18:19], 0, v[10:11]
	v_min_i32_e32 v11, 15, v14
	v_lshlrev_b32_e32 v11, 3, v11
	v_cmp_eq_u32_e32 vcc, 0, v14
	v_and_b32_e32 v11, 0xf8, v11
	v_and_or_b32 v10, v10, 7, v11
	s_and_b64 s[18:19], vcc, s[18:19]
	v_cndmask_b32_e64 v10, v10, 0, s[18:19]
	v_or_b32_e32 v26, v10, v3
.LBB2_3135:                             ;   in Loop: Header=BB2_2591 Depth=2
	s_or_b64 exec, exec, s[56:57]
.LBB2_3136:                             ;   in Loop: Header=BB2_2591 Depth=2
	s_or_b64 exec, exec, s[54:55]
                                        ; implicit-def: $vgpr10
.LBB2_3137:                             ;   in Loop: Header=BB2_2591 Depth=2
	s_andn2_saveexec_b64 s[18:19], s[52:53]
; %bb.3138:                             ;   in Loop: Header=BB2_2591 Depth=2
	v_or_b32_sdwa v3, v10, s68 dst_sel:DWORD dst_unused:UNUSED_PAD src0_sel:BYTE_3 src1_sel:DWORD
	v_cmp_eq_u64_e32 vcc, 0, v[36:37]
	v_cndmask_b32_e32 v26, v3, v26, vcc
; %bb.3139:                             ;   in Loop: Header=BB2_2591 Depth=2
	s_or_b64 exec, exec, s[18:19]
	v_lshrrev_b32_e32 v10, 16, v13
	v_cmp_ne_u16_sdwa vcc, v10, v37 src0_sel:BYTE_0 src1_sel:DWORD
	v_mov_b32_e32 v3, 0
	s_and_saveexec_b64 s[18:19], vcc
	s_cbranch_execz .LBB2_3145
; %bb.3140:                             ;   in Loop: Header=BB2_2591 Depth=2
	v_cmp_ne_u16_sdwa vcc, v10, s69 src0_sel:BYTE_0 src1_sel:DWORD
	v_bfrev_b32_e32 v3, 1
	s_and_saveexec_b64 s[52:53], vcc
	s_cbranch_execz .LBB2_3144
; %bb.3141:                             ;   in Loop: Header=BB2_2591 Depth=2
	v_bfe_u32 v11, v13, 16, 7
	v_cmp_ne_u32_e32 vcc, s68, v11
	v_mov_b32_e32 v3, 0x7f800001
	s_and_saveexec_b64 s[54:55], vcc
	s_cbranch_execz .LBB2_3143
; %bb.3142:                             ;   in Loop: Header=BB2_2591 Depth=2
	v_and_b32_e32 v3, 7, v10
	v_ffbh_u32_e32 v14, v3
	v_min_u32_e32 v17, 32, v14
	v_subrev_u32_e32 v14, 28, v17
	v_lshlrev_b64 v[14:15], v14, v[10:11]
	v_lshrrev_b32_e32 v16, 3, v11
	v_sub_u32_e32 v15, 29, v17
	v_and_b32_e32 v14, 7, v14
	v_cmp_gt_u32_e32 vcc, 8, v11
	v_cndmask_b32_e32 v11, v16, v15, vcc
	v_cndmask_b32_e32 v3, v3, v14, vcc
	v_lshlrev_b32_e32 v10, 24, v10
	v_lshlrev_b32_e32 v3, 20, v3
	v_and_b32_e32 v10, 0x80000000, v10
	v_lshl_add_u32 v11, v11, 23, v50
	v_or3_b32 v3, v10, v11, v3
.LBB2_3143:                             ;   in Loop: Header=BB2_2591 Depth=2
	s_or_b64 exec, exec, s[54:55]
.LBB2_3144:                             ;   in Loop: Header=BB2_2591 Depth=2
	s_or_b64 exec, exec, s[52:53]
.LBB2_3145:                             ;   in Loop: Header=BB2_2591 Depth=2
	s_or_b64 exec, exec, s[18:19]
	v_mul_f32_e32 v10, v7, v3
	v_and_b32_sdwa v3, v10, s69 dst_sel:DWORD dst_unused:UNUSED_PAD src0_sel:BYTE_3 src1_sel:DWORD
	v_and_b32_e32 v14, 0x7f800000, v10
	v_mov_b32_e32 v15, v37
	v_and_b32_e32 v36, 0x7fffff, v10
	v_or_b32_e32 v47, 0x7e, v3
	v_cmp_ne_u64_e32 vcc, s[38:39], v[14:15]
	s_and_saveexec_b64 s[18:19], vcc
	s_xor_b64 s[52:53], exec, s[18:19]
	s_cbranch_execz .LBB2_3155
; %bb.3146:                             ;   in Loop: Header=BB2_2591 Depth=2
	v_and_b32_e32 v14, 0x7fffffff, v10
	v_mov_b32_e32 v15, v37
	v_cmp_gt_u64_e32 vcc, s[40:41], v[14:15]
	s_and_saveexec_b64 s[54:55], vcc
	s_cbranch_execz .LBB2_3154
; %bb.3147:                             ;   in Loop: Header=BB2_2591 Depth=2
	v_cmp_ne_u32_e32 vcc, 0, v10
	v_mov_b32_e32 v47, 0
	s_and_saveexec_b64 s[56:57], vcc
	s_cbranch_execz .LBB2_3153
; %bb.3148:                             ;   in Loop: Header=BB2_2591 Depth=2
	v_bfe_u32 v10, v10, 23, 8
	v_sub_u32_e32 v14, 0x79, v10
	v_cmp_gt_u32_e32 vcc, s71, v10
	v_add_u32_e32 v11, 0xffffff81, v10
	v_cndmask_b32_e32 v14, 0, v14, vcc
	v_cmp_eq_u32_e32 vcc, 0, v10
	v_mov_b32_e32 v10, 0xffffff82
	v_cndmask_b32_e32 v16, v11, v10, vcc
	v_mov_b32_e32 v10, 0x78
	v_or_b32_e32 v15, 0x800000, v36
	v_cndmask_b32_e32 v14, v14, v10, vcc
	v_cndmask_b32_e32 v36, v15, v36, vcc
	v_add_u32_e32 v10, 20, v14
	v_lshlrev_b64 v[10:11], v10, -1
	v_add_u32_e32 v15, 19, v14
	v_lshrrev_b64 v[60:61], v14, v[36:37]
	v_not_b32_e32 v11, v11
	v_not_b32_e32 v10, v10
	v_lshlrev_b64 v[22:23], v15, 1
	v_lshrrev_b32_e32 v15, 23, v60
	v_and_b32_e32 v11, 0, v11
	v_and_b32_e32 v10, v36, v10
	v_add3_u32 v16, v14, v16, v15
	v_bfe_u32 v14, v60, 20, 1
	v_add_u32_e32 v14, -1, v14
	v_cmp_eq_u64_e32 vcc, v[10:11], v[22:23]
	v_cndmask_b32_e32 v10, 0, v14, vcc
	v_add_u32_e32 v10, v10, v60
	v_and_b32_e32 v10, 0xfffff, v10
	v_add_co_u32_e32 v10, vcc, v10, v60
	v_add_u32_e32 v15, 6, v16
	v_addc_co_u32_e32 v11, vcc, 0, v61, vcc
	v_cmp_ne_u32_e32 vcc, 0, v15
                                        ; implicit-def: $vgpr14
	s_and_saveexec_b64 s[18:19], vcc
	s_xor_b64 s[18:19], exec, s[18:19]
; %bb.3149:                             ;   in Loop: Header=BB2_2591 Depth=2
	v_add_u32_e32 v14, 7, v16
	v_cmp_lt_u64_e32 vcc, s[44:45], v[10:11]
	v_cndmask_b32_e32 v14, v15, v14, vcc
	v_cndmask_b32_e64 v15, 0, 1, vcc
	v_lshrrev_b64 v[10:11], v15, v[10:11]
; %bb.3150:                             ;   in Loop: Header=BB2_2591 Depth=2
	s_andn2_saveexec_b64 s[18:19], s[18:19]
; %bb.3151:                             ;   in Loop: Header=BB2_2591 Depth=2
	v_bfe_u32 v14, v10, 23, 1
; %bb.3152:                             ;   in Loop: Header=BB2_2591 Depth=2
	s_or_b64 exec, exec, s[18:19]
	v_lshrrev_b64 v[10:11], 20, v[10:11]
	v_cmp_gt_i32_e32 vcc, 16, v14
	v_cndmask_b32_e32 v11, 0, v11, vcc
	v_cndmask_b32_e32 v10, 7, v10, vcc
	v_cmp_eq_u64_e64 s[18:19], 0, v[10:11]
	v_min_i32_e32 v11, 15, v14
	v_lshlrev_b32_e32 v11, 3, v11
	v_cmp_eq_u32_e32 vcc, 0, v14
	v_and_b32_e32 v11, 0xf8, v11
	v_and_or_b32 v10, v10, 7, v11
	s_and_b64 s[18:19], vcc, s[18:19]
	v_cndmask_b32_e64 v10, v10, 0, s[18:19]
	v_or_b32_e32 v47, v10, v3
.LBB2_3153:                             ;   in Loop: Header=BB2_2591 Depth=2
	s_or_b64 exec, exec, s[56:57]
.LBB2_3154:                             ;   in Loop: Header=BB2_2591 Depth=2
	s_or_b64 exec, exec, s[54:55]
                                        ; implicit-def: $vgpr10
.LBB2_3155:                             ;   in Loop: Header=BB2_2591 Depth=2
	s_andn2_saveexec_b64 s[18:19], s[52:53]
; %bb.3156:                             ;   in Loop: Header=BB2_2591 Depth=2
	v_or_b32_sdwa v3, v10, s68 dst_sel:DWORD dst_unused:UNUSED_PAD src0_sel:BYTE_3 src1_sel:DWORD
	v_cmp_eq_u64_e32 vcc, 0, v[36:37]
	v_cndmask_b32_e32 v47, v3, v47, vcc
; %bb.3157:                             ;   in Loop: Header=BB2_2591 Depth=2
	s_or_b64 exec, exec, s[18:19]
	v_cmp_lt_u64_e32 vcc, s[42:43], v[12:13]
	v_mov_b32_e32 v3, 0
	s_and_saveexec_b64 s[18:19], vcc
	s_cbranch_execz .LBB2_3163
; %bb.3158:                             ;   in Loop: Header=BB2_2591 Depth=2
	v_lshrrev_b32_e32 v10, 24, v13
	v_cmp_ne_u32_e32 vcc, s69, v10
	v_bfrev_b32_e32 v3, 1
	s_and_saveexec_b64 s[52:53], vcc
	s_cbranch_execz .LBB2_3162
; %bb.3159:                             ;   in Loop: Header=BB2_2591 Depth=2
	v_bfe_u32 v11, v13, 24, 7
	v_cmp_ne_u32_e32 vcc, s68, v11
	v_mov_b32_e32 v3, 0x7f800001
	s_and_saveexec_b64 s[54:55], vcc
	s_cbranch_execz .LBB2_3161
; %bb.3160:                             ;   in Loop: Header=BB2_2591 Depth=2
	v_and_b32_e32 v3, 7, v10
	v_ffbh_u32_e32 v12, v3
	v_min_u32_e32 v15, 32, v12
	v_subrev_u32_e32 v12, 28, v15
	v_lshlrev_b64 v[12:13], v12, v[10:11]
	v_lshrrev_b32_e32 v14, 3, v11
	v_sub_u32_e32 v13, 29, v15
	v_and_b32_e32 v12, 7, v12
	v_cmp_gt_u32_e32 vcc, 8, v11
	v_cndmask_b32_e32 v11, v14, v13, vcc
	v_cndmask_b32_e32 v3, v3, v12, vcc
	v_lshlrev_b32_e32 v10, 24, v10
	v_lshlrev_b32_e32 v3, 20, v3
	v_and_b32_e32 v10, 0x80000000, v10
	v_lshl_add_u32 v11, v11, 23, v50
	v_or3_b32 v3, v10, v11, v3
.LBB2_3161:                             ;   in Loop: Header=BB2_2591 Depth=2
	s_or_b64 exec, exec, s[54:55]
.LBB2_3162:                             ;   in Loop: Header=BB2_2591 Depth=2
	s_or_b64 exec, exec, s[52:53]
.LBB2_3163:                             ;   in Loop: Header=BB2_2591 Depth=2
	s_or_b64 exec, exec, s[18:19]
	v_mul_f32_e32 v7, v7, v3
	v_and_b32_sdwa v3, v7, s69 dst_sel:DWORD dst_unused:UNUSED_PAD src0_sel:BYTE_3 src1_sel:DWORD
	v_and_b32_e32 v10, 0x7f800000, v7
	v_mov_b32_e32 v11, v37
	v_and_b32_e32 v36, 0x7fffff, v7
	v_or_b32_e32 v49, 0x7e, v3
	v_cmp_ne_u64_e32 vcc, s[38:39], v[10:11]
	s_and_saveexec_b64 s[18:19], vcc
	s_xor_b64 s[52:53], exec, s[18:19]
	s_cbranch_execz .LBB2_3173
; %bb.3164:                             ;   in Loop: Header=BB2_2591 Depth=2
	v_and_b32_e32 v10, 0x7fffffff, v7
	v_mov_b32_e32 v11, v37
	v_cmp_gt_u64_e32 vcc, s[40:41], v[10:11]
	s_and_saveexec_b64 s[54:55], vcc
	s_cbranch_execz .LBB2_3172
; %bb.3165:                             ;   in Loop: Header=BB2_2591 Depth=2
	v_cmp_ne_u32_e32 vcc, 0, v7
	v_mov_b32_e32 v49, 0
	s_and_saveexec_b64 s[56:57], vcc
	s_cbranch_execz .LBB2_3171
; %bb.3166:                             ;   in Loop: Header=BB2_2591 Depth=2
	v_bfe_u32 v7, v7, 23, 8
	v_sub_u32_e32 v11, 0x79, v7
	v_cmp_gt_u32_e32 vcc, s71, v7
	v_add_u32_e32 v10, 0xffffff81, v7
	v_cndmask_b32_e32 v11, 0, v11, vcc
	v_cmp_eq_u32_e32 vcc, 0, v7
	v_mov_b32_e32 v7, 0xffffff82
	v_cndmask_b32_e32 v7, v10, v7, vcc
	v_mov_b32_e32 v10, 0x78
	v_or_b32_e32 v12, 0x800000, v36
	v_cndmask_b32_e32 v13, v11, v10, vcc
	v_cndmask_b32_e32 v36, v12, v36, vcc
	v_add_u32_e32 v10, 20, v13
	v_lshlrev_b64 v[10:11], v10, -1
	v_add_u32_e32 v12, 19, v13
	v_lshrrev_b64 v[16:17], v13, v[36:37]
	v_not_b32_e32 v11, v11
	v_not_b32_e32 v10, v10
	v_lshlrev_b64 v[14:15], v12, 1
	v_lshrrev_b32_e32 v12, 23, v16
	v_and_b32_e32 v11, 0, v11
	v_and_b32_e32 v10, v36, v10
	v_add3_u32 v13, v13, v7, v12
	v_bfe_u32 v7, v16, 20, 1
	v_add_u32_e32 v7, -1, v7
	v_cmp_eq_u64_e32 vcc, v[10:11], v[14:15]
	v_cndmask_b32_e32 v7, 0, v7, vcc
	v_add_u32_e32 v7, v7, v16
	v_and_b32_e32 v7, 0xfffff, v7
	v_add_co_u32_e32 v10, vcc, v7, v16
	v_add_u32_e32 v12, 6, v13
	v_addc_co_u32_e32 v11, vcc, 0, v17, vcc
	v_cmp_ne_u32_e32 vcc, 0, v12
                                        ; implicit-def: $vgpr7
	s_and_saveexec_b64 s[18:19], vcc
	s_xor_b64 s[18:19], exec, s[18:19]
; %bb.3167:                             ;   in Loop: Header=BB2_2591 Depth=2
	v_add_u32_e32 v7, 7, v13
	v_cmp_lt_u64_e32 vcc, s[44:45], v[10:11]
	v_cndmask_b32_e32 v7, v12, v7, vcc
	v_cndmask_b32_e64 v12, 0, 1, vcc
	v_lshrrev_b64 v[10:11], v12, v[10:11]
; %bb.3168:                             ;   in Loop: Header=BB2_2591 Depth=2
	s_andn2_saveexec_b64 s[18:19], s[18:19]
; %bb.3169:                             ;   in Loop: Header=BB2_2591 Depth=2
	v_bfe_u32 v7, v10, 23, 1
; %bb.3170:                             ;   in Loop: Header=BB2_2591 Depth=2
	s_or_b64 exec, exec, s[18:19]
	v_lshrrev_b64 v[10:11], 20, v[10:11]
	v_cmp_gt_i32_e32 vcc, 16, v7
	v_cndmask_b32_e32 v11, 0, v11, vcc
	v_cndmask_b32_e32 v10, 7, v10, vcc
	v_cmp_eq_u32_e32 vcc, 0, v7
	v_min_i32_e32 v7, 15, v7
	v_lshlrev_b32_e32 v7, 3, v7
	v_cmp_eq_u64_e64 s[18:19], 0, v[10:11]
	v_and_b32_e32 v7, 0xf8, v7
	v_and_or_b32 v7, v10, 7, v7
	s_and_b64 s[18:19], vcc, s[18:19]
	v_cndmask_b32_e64 v7, v7, 0, s[18:19]
	v_or_b32_e32 v49, v7, v3
.LBB2_3171:                             ;   in Loop: Header=BB2_2591 Depth=2
	s_or_b64 exec, exec, s[56:57]
.LBB2_3172:                             ;   in Loop: Header=BB2_2591 Depth=2
	s_or_b64 exec, exec, s[54:55]
                                        ; implicit-def: $vgpr7
.LBB2_3173:                             ;   in Loop: Header=BB2_2591 Depth=2
	s_andn2_saveexec_b64 s[18:19], s[52:53]
; %bb.3174:                             ;   in Loop: Header=BB2_2591 Depth=2
	v_or_b32_sdwa v3, v7, s68 dst_sel:DWORD dst_unused:UNUSED_PAD src0_sel:BYTE_3 src1_sel:DWORD
	v_cmp_eq_u64_e32 vcc, 0, v[36:37]
	v_cndmask_b32_e32 v49, v3, v49, vcc
; %bb.3175:                             ;   in Loop: Header=BB2_2591 Depth=2
	s_or_b64 exec, exec, s[18:19]
	global_load_dwordx4 v[14:17], v[42:43], off glc slc
	global_load_dwordx4 v[10:13], v[42:43], off offset:1024 glc slc
	v_lshlrev_b32_e32 v3, 8, v9
	v_cmp_ne_u16_sdwa vcc, v1, v37 src0_sel:BYTE_0 src1_sel:DWORD
	v_mov_b32_e32 v7, 0
	v_mov_b32_e32 v9, 0
	s_and_saveexec_b64 s[18:19], vcc
	s_cbranch_execz .LBB2_3181
; %bb.3176:                             ;   in Loop: Header=BB2_2591 Depth=2
	v_cmp_ne_u16_sdwa vcc, v1, s69 src0_sel:BYTE_0 src1_sel:DWORD
	v_bfrev_b32_e32 v9, 1
	s_and_saveexec_b64 s[52:53], vcc
	s_cbranch_execz .LBB2_3180
; %bb.3177:                             ;   in Loop: Header=BB2_2591 Depth=2
	v_and_b32_e32 v24, 0x7f, v1
	v_cmp_ne_u32_e32 vcc, s68, v24
	v_mov_b32_e32 v9, 0x7f800001
	s_and_saveexec_b64 s[54:55], vcc
	s_cbranch_execz .LBB2_3179
; %bb.3178:                             ;   in Loop: Header=BB2_2591 Depth=2
	v_and_b32_e32 v9, 7, v1
	v_ffbh_u32_e32 v9, v9
	v_min_u32_e32 v9, 32, v9
	v_lshrrev_b32_e32 v23, 3, v24
	v_subrev_u32_e32 v27, 28, v9
	v_sub_u32_e32 v9, 29, v9
	v_cmp_gt_u32_e32 vcc, 8, v24
	v_perm_b32 v22, v3, v1, s72
	v_cndmask_b32_e32 v9, v23, v9, vcc
	v_cndmask_b32_e32 v23, 0, v27, vcc
	v_lshlrev_b64 v[22:23], v23, v[22:23]
	v_lshlrev_b32_e32 v22, 20, v22
	v_lshlrev_b32_e32 v1, 24, v1
	v_and_b32_e32 v22, 0x700000, v22
	v_and_b32_e32 v1, 0x80000000, v1
	v_lshl_add_u32 v9, v9, 23, v50
	v_or3_b32 v9, v1, v9, v22
.LBB2_3179:                             ;   in Loop: Header=BB2_2591 Depth=2
	s_or_b64 exec, exec, s[54:55]
.LBB2_3180:                             ;   in Loop: Header=BB2_2591 Depth=2
	s_or_b64 exec, exec, s[52:53]
.LBB2_3181:                             ;   in Loop: Header=BB2_2591 Depth=2
	s_or_b64 exec, exec, s[18:19]
	s_waitcnt vmcnt(1)
	v_cmp_ne_u16_sdwa vcc, v14, v37 src0_sel:BYTE_0 src1_sel:DWORD
	s_and_saveexec_b64 s[18:19], vcc
	s_cbranch_execz .LBB2_3187
; %bb.3182:                             ;   in Loop: Header=BB2_2591 Depth=2
	v_cmp_ne_u16_sdwa vcc, v14, s69 src0_sel:BYTE_0 src1_sel:DWORD
	v_bfrev_b32_e32 v7, 1
	s_and_saveexec_b64 s[52:53], vcc
	s_cbranch_execz .LBB2_3186
; %bb.3183:                             ;   in Loop: Header=BB2_2591 Depth=2
	v_and_b32_e32 v1, 0x7f, v14
	v_cmp_ne_u32_e32 vcc, s68, v1
	v_mov_b32_e32 v7, 0x7f800001
	s_and_saveexec_b64 s[54:55], vcc
	s_cbranch_execz .LBB2_3185
; %bb.3184:                             ;   in Loop: Header=BB2_2591 Depth=2
	v_and_b32_e32 v7, 7, v14
	v_ffbh_u32_e32 v7, v7
	v_min_u32_e32 v7, 32, v7
	v_lshrrev_b32_e32 v22, 3, v1
	v_subrev_u32_e32 v23, 28, v7
	v_sub_u32_e32 v7, 29, v7
	v_cmp_gt_u32_e32 vcc, 8, v1
	v_cndmask_b32_e32 v1, v22, v7, vcc
	v_cndmask_b32_e32 v7, 0, v23, vcc
	v_lshlrev_b64 v[22:23], v7, v[14:15]
	v_lshlrev_b32_e32 v7, 20, v22
	v_lshlrev_b32_e32 v22, 24, v14
	v_and_b32_e32 v7, 0x700000, v7
	v_and_b32_e32 v22, 0x80000000, v22
	v_lshl_add_u32 v1, v1, 23, v50
	v_or3_b32 v7, v22, v1, v7
.LBB2_3185:                             ;   in Loop: Header=BB2_2591 Depth=2
	s_or_b64 exec, exec, s[54:55]
.LBB2_3186:                             ;   in Loop: Header=BB2_2591 Depth=2
	s_or_b64 exec, exec, s[52:53]
.LBB2_3187:                             ;   in Loop: Header=BB2_2591 Depth=2
	s_or_b64 exec, exec, s[18:19]
	v_add_f32_e32 v7, v9, v7
	v_and_b32_sdwa v1, v7, s69 dst_sel:DWORD dst_unused:UNUSED_PAD src0_sel:BYTE_3 src1_sel:DWORD
	v_and_b32_e32 v22, 0x7f800000, v7
	v_mov_b32_e32 v23, v37
	v_and_b32_e32 v36, 0x7fffff, v7
	v_or_b32_e32 v55, 0x7e, v1
	v_cmp_ne_u64_e32 vcc, s[38:39], v[22:23]
	s_and_saveexec_b64 s[18:19], vcc
	s_xor_b64 s[52:53], exec, s[18:19]
	s_cbranch_execz .LBB2_3197
; %bb.3188:                             ;   in Loop: Header=BB2_2591 Depth=2
	v_and_b32_e32 v22, 0x7fffffff, v7
	v_mov_b32_e32 v23, v37
	v_cmp_gt_u64_e32 vcc, s[40:41], v[22:23]
	s_and_saveexec_b64 s[54:55], vcc
	s_cbranch_execz .LBB2_3196
; %bb.3189:                             ;   in Loop: Header=BB2_2591 Depth=2
	v_cmp_ne_u32_e32 vcc, 0, v7
	v_mov_b32_e32 v55, 0
	s_and_saveexec_b64 s[56:57], vcc
	s_cbranch_execz .LBB2_3195
; %bb.3190:                             ;   in Loop: Header=BB2_2591 Depth=2
	v_bfe_u32 v7, v7, 23, 8
	v_sub_u32_e32 v22, 0x79, v7
	v_cmp_gt_u32_e32 vcc, s71, v7
	v_add_u32_e32 v9, 0xffffff81, v7
	v_cndmask_b32_e32 v22, 0, v22, vcc
	v_cmp_eq_u32_e32 vcc, 0, v7
	v_mov_b32_e32 v7, 0xffffff82
	v_cndmask_b32_e32 v7, v9, v7, vcc
	v_mov_b32_e32 v9, 0x78
	v_or_b32_e32 v23, 0x800000, v36
	v_cndmask_b32_e32 v9, v22, v9, vcc
	v_cndmask_b32_e32 v36, v23, v36, vcc
	v_add_u32_e32 v22, 20, v9
	v_lshlrev_b64 v[22:23], v22, -1
	v_add_u32_e32 v24, 19, v9
	v_lshrrev_b64 v[50:51], v9, v[36:37]
	v_not_b32_e32 v23, v23
	v_not_b32_e32 v22, v22
	v_lshlrev_b64 v[60:61], v24, 1
	v_lshrrev_b32_e32 v24, 23, v50
	v_and_b32_e32 v23, 0, v23
	v_and_b32_e32 v22, v36, v22
	v_add3_u32 v24, v9, v7, v24
	v_bfe_u32 v7, v50, 20, 1
	v_add_u32_e32 v7, -1, v7
	v_cmp_eq_u64_e32 vcc, v[22:23], v[60:61]
	v_cndmask_b32_e32 v7, 0, v7, vcc
	v_add_u32_e32 v7, v7, v50
	v_and_b32_e32 v7, 0xfffff, v7
	v_add_co_u32_e32 v60, vcc, v7, v50
	v_add_u32_e32 v9, 6, v24
	v_addc_co_u32_e32 v61, vcc, 0, v51, vcc
	v_cmp_ne_u32_e32 vcc, 0, v9
                                        ; implicit-def: $vgpr7
	s_and_saveexec_b64 s[18:19], vcc
	s_xor_b64 s[18:19], exec, s[18:19]
; %bb.3191:                             ;   in Loop: Header=BB2_2591 Depth=2
	v_add_u32_e32 v7, 7, v24
	v_cmp_lt_u64_e32 vcc, s[44:45], v[60:61]
	v_cndmask_b32_e32 v7, v9, v7, vcc
	v_cndmask_b32_e64 v9, 0, 1, vcc
	v_lshrrev_b64 v[60:61], v9, v[60:61]
; %bb.3192:                             ;   in Loop: Header=BB2_2591 Depth=2
	s_andn2_saveexec_b64 s[18:19], s[18:19]
; %bb.3193:                             ;   in Loop: Header=BB2_2591 Depth=2
	v_bfe_u32 v7, v60, 23, 1
; %bb.3194:                             ;   in Loop: Header=BB2_2591 Depth=2
	s_or_b64 exec, exec, s[18:19]
	v_lshrrev_b64 v[22:23], 20, v[60:61]
	v_cmp_gt_i32_e32 vcc, 16, v7
	v_cndmask_b32_e32 v23, 0, v23, vcc
	v_cndmask_b32_e32 v22, 7, v22, vcc
	v_cmp_eq_u32_e32 vcc, 0, v7
	v_min_i32_e32 v7, 15, v7
	v_cmp_eq_u64_e64 s[18:19], 0, v[22:23]
	v_lshlrev_b32_e32 v7, 3, v7
	v_and_or_b32 v7, v22, 7, v7
	s_and_b64 s[18:19], vcc, s[18:19]
	v_cndmask_b32_e64 v7, v7, 0, s[18:19]
	v_or_b32_e32 v55, v7, v1
	v_bfrev_b32_e32 v50, 60
.LBB2_3195:                             ;   in Loop: Header=BB2_2591 Depth=2
	s_or_b64 exec, exec, s[56:57]
.LBB2_3196:                             ;   in Loop: Header=BB2_2591 Depth=2
	s_or_b64 exec, exec, s[54:55]
                                        ; implicit-def: $vgpr7
.LBB2_3197:                             ;   in Loop: Header=BB2_2591 Depth=2
	s_andn2_saveexec_b64 s[18:19], s[52:53]
; %bb.3198:                             ;   in Loop: Header=BB2_2591 Depth=2
	v_or_b32_sdwa v1, v7, s68 dst_sel:DWORD dst_unused:UNUSED_PAD src0_sel:BYTE_3 src1_sel:DWORD
	v_cmp_eq_u64_e32 vcc, 0, v[36:37]
	v_cndmask_b32_e32 v55, v1, v55, vcc
; %bb.3199:                             ;   in Loop: Header=BB2_2591 Depth=2
	s_or_b64 exec, exec, s[18:19]
	v_lshrrev_b16_e32 v24, 8, v3
	v_cmp_ne_u16_e32 vcc, 0, v24
	v_mov_b32_e32 v1, 0
	v_mov_b32_e32 v7, 0
	s_and_saveexec_b64 s[18:19], vcc
	s_cbranch_execz .LBB2_3205
; %bb.3200:                             ;   in Loop: Header=BB2_2591 Depth=2
	v_cmp_ne_u16_e32 vcc, s69, v24
	v_bfrev_b32_e32 v7, 1
	s_and_saveexec_b64 s[52:53], vcc
	s_cbranch_execz .LBB2_3204
; %bb.3201:                             ;   in Loop: Header=BB2_2591 Depth=2
	v_and_b32_e32 v9, 0x7f, v24
	v_cmp_ne_u32_e32 vcc, s68, v9
	v_mov_b32_e32 v7, 0x7f800001
	s_and_saveexec_b64 s[54:55], vcc
	s_cbranch_execz .LBB2_3203
; %bb.3202:                             ;   in Loop: Header=BB2_2591 Depth=2
	v_and_b32_e32 v7, 7, v24
	v_ffbh_u32_e32 v22, v7
	v_min_u32_e32 v36, 32, v22
	v_subrev_u32_e32 v22, 28, v36
	v_lshlrev_b64 v[22:23], v22, v[24:25]
	v_lshrrev_b32_e32 v27, 3, v9
	v_sub_u32_e32 v23, 29, v36
	v_and_b32_e32 v22, 7, v22
	v_cmp_gt_u32_e32 vcc, 8, v9
	v_cndmask_b32_e32 v9, v27, v23, vcc
	v_cndmask_b32_e32 v7, v7, v22, vcc
	v_lshlrev_b32_e32 v3, 16, v3
	v_lshlrev_b32_e32 v7, 20, v7
	v_and_b32_e32 v3, 0x80000000, v3
	v_lshl_add_u32 v9, v9, 23, v50
	v_or3_b32 v7, v3, v9, v7
.LBB2_3203:                             ;   in Loop: Header=BB2_2591 Depth=2
	s_or_b64 exec, exec, s[54:55]
.LBB2_3204:                             ;   in Loop: Header=BB2_2591 Depth=2
	s_or_b64 exec, exec, s[52:53]
.LBB2_3205:                             ;   in Loop: Header=BB2_2591 Depth=2
	s_or_b64 exec, exec, s[18:19]
	v_lshrrev_b16_e32 v24, 8, v14
	v_cmp_ne_u16_e32 vcc, 0, v24
	s_and_saveexec_b64 s[18:19], vcc
	s_cbranch_execz .LBB2_3211
; %bb.3206:                             ;   in Loop: Header=BB2_2591 Depth=2
	v_cmp_ne_u16_e32 vcc, s69, v24
	v_bfrev_b32_e32 v1, 1
	s_and_saveexec_b64 s[52:53], vcc
	s_cbranch_execz .LBB2_3210
; %bb.3207:                             ;   in Loop: Header=BB2_2591 Depth=2
	v_and_b32_e32 v3, 0x7f, v24
	v_cmp_ne_u32_e32 vcc, s68, v3
	v_mov_b32_e32 v1, 0x7f800001
	s_and_saveexec_b64 s[54:55], vcc
	s_cbranch_execz .LBB2_3209
; %bb.3208:                             ;   in Loop: Header=BB2_2591 Depth=2
	v_and_b32_e32 v1, 7, v24
	v_ffbh_u32_e32 v22, v1
	v_min_u32_e32 v27, 32, v22
	v_subrev_u32_e32 v22, 28, v27
	v_lshlrev_b64 v[22:23], v22, v[24:25]
	v_lshrrev_b32_e32 v9, 3, v3
	v_sub_u32_e32 v23, 29, v27
	v_and_b32_e32 v22, 7, v22
	v_cmp_gt_u32_e32 vcc, 8, v3
	v_cndmask_b32_e32 v3, v9, v23, vcc
	v_cndmask_b32_e32 v1, v1, v22, vcc
	v_lshlrev_b32_e32 v9, 16, v14
	v_lshlrev_b32_e32 v1, 20, v1
	v_and_b32_e32 v9, 0x80000000, v9
	v_lshl_add_u32 v3, v3, 23, v50
	v_or3_b32 v1, v9, v3, v1
.LBB2_3209:                             ;   in Loop: Header=BB2_2591 Depth=2
	s_or_b64 exec, exec, s[54:55]
.LBB2_3210:                             ;   in Loop: Header=BB2_2591 Depth=2
	s_or_b64 exec, exec, s[52:53]
.LBB2_3211:                             ;   in Loop: Header=BB2_2591 Depth=2
	s_or_b64 exec, exec, s[18:19]
	v_add_f32_e32 v7, v7, v1
	v_and_b32_sdwa v3, v7, s69 dst_sel:DWORD dst_unused:UNUSED_PAD src0_sel:BYTE_3 src1_sel:DWORD
	v_and_b32_e32 v22, 0x7f800000, v7
	v_mov_b32_e32 v23, v37
	v_and_b32_e32 v36, 0x7fffff, v7
	v_or_b32_e32 v1, 0x7e, v3
	v_cmp_ne_u64_e32 vcc, s[38:39], v[22:23]
	s_and_saveexec_b64 s[18:19], vcc
	s_xor_b64 s[52:53], exec, s[18:19]
	s_cbranch_execz .LBB2_3221
; %bb.3212:                             ;   in Loop: Header=BB2_2591 Depth=2
	v_and_b32_e32 v22, 0x7fffffff, v7
	v_mov_b32_e32 v23, v37
	v_cmp_gt_u64_e32 vcc, s[40:41], v[22:23]
	s_and_saveexec_b64 s[54:55], vcc
	s_cbranch_execz .LBB2_3220
; %bb.3213:                             ;   in Loop: Header=BB2_2591 Depth=2
	v_cmp_ne_u32_e32 vcc, 0, v7
	v_mov_b32_e32 v1, 0
	s_and_saveexec_b64 s[56:57], vcc
	s_cbranch_execz .LBB2_3219
; %bb.3214:                             ;   in Loop: Header=BB2_2591 Depth=2
	v_bfe_u32 v1, v7, 23, 8
	v_sub_u32_e32 v9, 0x79, v1
	v_cmp_gt_u32_e32 vcc, s71, v1
	v_add_u32_e32 v7, 0xffffff81, v1
	v_cndmask_b32_e32 v9, 0, v9, vcc
	v_cmp_eq_u32_e32 vcc, 0, v1
	v_mov_b32_e32 v1, 0xffffff82
	v_cndmask_b32_e32 v1, v7, v1, vcc
	v_mov_b32_e32 v7, 0x78
	v_cndmask_b32_e32 v7, v9, v7, vcc
	v_or_b32_e32 v22, 0x800000, v36
	v_add_u32_e32 v9, 20, v7
	v_cndmask_b32_e32 v36, v22, v36, vcc
	v_lshlrev_b64 v[22:23], v9, -1
	v_not_b32_e32 v9, v23
	v_and_b32_e32 v23, 0, v9
	v_add_u32_e32 v9, 19, v7
	v_lshrrev_b64 v[60:61], v7, v[36:37]
	v_not_b32_e32 v22, v22
	v_lshlrev_b64 v[50:51], v9, 1
	v_lshrrev_b32_e32 v9, 23, v60
	v_and_b32_e32 v22, v36, v22
	v_add3_u32 v9, v7, v1, v9
	v_bfe_u32 v1, v60, 20, 1
	v_add_u32_e32 v1, -1, v1
	v_cmp_eq_u64_e32 vcc, v[22:23], v[50:51]
	v_cndmask_b32_e32 v1, 0, v1, vcc
	v_add_u32_e32 v1, v1, v60
	v_and_b32_e32 v1, 0xfffff, v1
	v_add_co_u32_e32 v60, vcc, v1, v60
	v_add_u32_e32 v7, 6, v9
	v_addc_co_u32_e32 v61, vcc, 0, v61, vcc
	v_cmp_ne_u32_e32 vcc, 0, v7
                                        ; implicit-def: $vgpr1
	s_and_saveexec_b64 s[18:19], vcc
	s_xor_b64 s[18:19], exec, s[18:19]
; %bb.3215:                             ;   in Loop: Header=BB2_2591 Depth=2
	v_add_u32_e32 v1, 7, v9
	v_cmp_lt_u64_e32 vcc, s[44:45], v[60:61]
	v_cndmask_b32_e32 v1, v7, v1, vcc
	v_cndmask_b32_e64 v7, 0, 1, vcc
	v_lshrrev_b64 v[60:61], v7, v[60:61]
; %bb.3216:                             ;   in Loop: Header=BB2_2591 Depth=2
	s_andn2_saveexec_b64 s[18:19], s[18:19]
; %bb.3217:                             ;   in Loop: Header=BB2_2591 Depth=2
	v_bfe_u32 v1, v60, 23, 1
; %bb.3218:                             ;   in Loop: Header=BB2_2591 Depth=2
	s_or_b64 exec, exec, s[18:19]
	v_lshrrev_b64 v[22:23], 20, v[60:61]
	v_cmp_gt_i32_e32 vcc, 16, v1
	v_cndmask_b32_e32 v23, 0, v23, vcc
	v_cndmask_b32_e32 v22, 7, v22, vcc
	v_cmp_eq_u32_e32 vcc, 0, v1
	v_min_i32_e32 v1, 15, v1
	v_cmp_eq_u64_e64 s[18:19], 0, v[22:23]
	v_lshlrev_b32_e32 v1, 3, v1
	v_and_or_b32 v1, v22, 7, v1
	s_and_b64 s[18:19], vcc, s[18:19]
	v_cndmask_b32_e64 v1, v1, 0, s[18:19]
	v_or_b32_e32 v1, v1, v3
	v_bfrev_b32_e32 v50, 60
.LBB2_3219:                             ;   in Loop: Header=BB2_2591 Depth=2
	s_or_b64 exec, exec, s[56:57]
.LBB2_3220:                             ;   in Loop: Header=BB2_2591 Depth=2
	s_or_b64 exec, exec, s[54:55]
                                        ; implicit-def: $vgpr7
.LBB2_3221:                             ;   in Loop: Header=BB2_2591 Depth=2
	s_andn2_saveexec_b64 s[18:19], s[52:53]
; %bb.3222:                             ;   in Loop: Header=BB2_2591 Depth=2
	v_or_b32_sdwa v3, v7, s68 dst_sel:DWORD dst_unused:UNUSED_PAD src0_sel:BYTE_3 src1_sel:DWORD
	v_cmp_eq_u64_e32 vcc, 0, v[36:37]
	v_cndmask_b32_e32 v1, v3, v1, vcc
; %bb.3223:                             ;   in Loop: Header=BB2_2591 Depth=2
	s_or_b64 exec, exec, s[18:19]
	v_cmp_ne_u16_sdwa vcc, v2, v37 src0_sel:BYTE_0 src1_sel:DWORD
	v_mov_b32_e32 v3, 0
	v_mov_b32_e32 v7, 0
	s_and_saveexec_b64 s[18:19], vcc
	s_cbranch_execz .LBB2_3229
; %bb.3224:                             ;   in Loop: Header=BB2_2591 Depth=2
	v_cmp_ne_u16_sdwa vcc, v2, s69 src0_sel:BYTE_0 src1_sel:DWORD
	v_bfrev_b32_e32 v7, 1
	s_and_saveexec_b64 s[52:53], vcc
	s_cbranch_execz .LBB2_3228
; %bb.3225:                             ;   in Loop: Header=BB2_2591 Depth=2
	v_and_b32_e32 v9, 0x7f, v2
	v_cmp_ne_u32_e32 vcc, s68, v9
	v_mov_b32_e32 v7, 0x7f800001
	s_and_saveexec_b64 s[54:55], vcc
	s_cbranch_execz .LBB2_3227
; %bb.3226:                             ;   in Loop: Header=BB2_2591 Depth=2
	v_and_b32_e32 v7, 7, v2
	v_ffbh_u32_e32 v22, v7
	v_min_u32_e32 v27, 32, v22
	v_subrev_u32_e32 v22, 28, v27
	v_lshlrev_b64 v[22:23], v22, v[2:3]
	v_lshrrev_b32_e32 v24, 3, v9
	v_sub_u32_e32 v23, 29, v27
	v_and_b32_e32 v22, 7, v22
	v_cmp_gt_u32_e32 vcc, 8, v9
	v_cndmask_b32_e32 v9, v24, v23, vcc
	v_cndmask_b32_e32 v7, v7, v22, vcc
	v_lshlrev_b32_e32 v2, 24, v2
	v_lshlrev_b32_e32 v7, 20, v7
	v_and_b32_e32 v2, 0x80000000, v2
	v_lshl_add_u32 v9, v9, 23, v50
	v_or3_b32 v7, v2, v9, v7
.LBB2_3227:                             ;   in Loop: Header=BB2_2591 Depth=2
	s_or_b64 exec, exec, s[54:55]
.LBB2_3228:                             ;   in Loop: Header=BB2_2591 Depth=2
	s_or_b64 exec, exec, s[52:53]
.LBB2_3229:                             ;   in Loop: Header=BB2_2591 Depth=2
	s_or_b64 exec, exec, s[18:19]
	v_lshrrev_b32_e32 v2, 16, v14
	v_cmp_ne_u16_sdwa vcc, v2, v37 src0_sel:BYTE_0 src1_sel:DWORD
	s_and_saveexec_b64 s[18:19], vcc
	s_cbranch_execz .LBB2_3235
; %bb.3230:                             ;   in Loop: Header=BB2_2591 Depth=2
	v_cmp_ne_u16_sdwa vcc, v2, s69 src0_sel:BYTE_0 src1_sel:DWORD
	v_bfrev_b32_e32 v3, 1
	s_and_saveexec_b64 s[52:53], vcc
	s_cbranch_execz .LBB2_3234
; %bb.3231:                             ;   in Loop: Header=BB2_2591 Depth=2
	v_bfe_u32 v9, v14, 16, 7
	v_cmp_ne_u32_e32 vcc, s68, v9
	v_mov_b32_e32 v3, 0x7f800001
	s_and_saveexec_b64 s[54:55], vcc
	s_cbranch_execz .LBB2_3233
; %bb.3232:                             ;   in Loop: Header=BB2_2591 Depth=2
	v_and_b32_e32 v22, 7, v2
	v_ffbh_u32_e32 v3, v22
	v_min_u32_e32 v24, 32, v3
	v_subrev_u32_e32 v3, 28, v24
	v_lshlrev_b64 v[2:3], v3, v[2:3]
	v_lshrrev_b32_e32 v23, 3, v9
	v_sub_u32_e32 v3, 29, v24
	v_and_b32_e32 v2, 7, v2
	v_cmp_gt_u32_e32 vcc, 8, v9
	v_cndmask_b32_e32 v3, v23, v3, vcc
	v_cndmask_b32_e32 v2, v22, v2, vcc
	v_lshlrev_b32_e32 v9, 8, v14
	v_lshlrev_b32_e32 v2, 20, v2
	v_and_b32_e32 v9, 0x80000000, v9
	v_lshl_add_u32 v3, v3, 23, v50
	v_or3_b32 v3, v9, v3, v2
.LBB2_3233:                             ;   in Loop: Header=BB2_2591 Depth=2
	s_or_b64 exec, exec, s[54:55]
.LBB2_3234:                             ;   in Loop: Header=BB2_2591 Depth=2
	s_or_b64 exec, exec, s[52:53]
.LBB2_3235:                             ;   in Loop: Header=BB2_2591 Depth=2
	s_or_b64 exec, exec, s[18:19]
	v_add_f32_e32 v2, v7, v3
	v_and_b32_sdwa v7, v2, s69 dst_sel:DWORD dst_unused:UNUSED_PAD src0_sel:BYTE_3 src1_sel:DWORD
	v_and_b32_e32 v22, 0x7f800000, v2
	v_mov_b32_e32 v23, v37
	v_and_b32_e32 v36, 0x7fffff, v2
	v_or_b32_e32 v27, 0x7e, v7
	v_cmp_ne_u64_e32 vcc, s[38:39], v[22:23]
	s_and_saveexec_b64 s[18:19], vcc
	s_xor_b64 s[52:53], exec, s[18:19]
	s_cbranch_execz .LBB2_3245
; %bb.3236:                             ;   in Loop: Header=BB2_2591 Depth=2
	v_and_b32_e32 v22, 0x7fffffff, v2
	v_mov_b32_e32 v23, v37
	v_cmp_gt_u64_e32 vcc, s[40:41], v[22:23]
	s_and_saveexec_b64 s[54:55], vcc
	s_cbranch_execz .LBB2_3244
; %bb.3237:                             ;   in Loop: Header=BB2_2591 Depth=2
	v_cmp_ne_u32_e32 vcc, 0, v2
	v_mov_b32_e32 v27, 0
	s_and_saveexec_b64 s[56:57], vcc
	s_cbranch_execz .LBB2_3243
; %bb.3238:                             ;   in Loop: Header=BB2_2591 Depth=2
	v_bfe_u32 v2, v2, 23, 8
	v_sub_u32_e32 v9, 0x79, v2
	v_cmp_gt_u32_e32 vcc, s71, v2
	v_add_u32_e32 v3, 0xffffff81, v2
	v_cndmask_b32_e32 v9, 0, v9, vcc
	v_cmp_eq_u32_e32 vcc, 0, v2
	v_mov_b32_e32 v2, 0xffffff82
	v_cndmask_b32_e32 v24, v3, v2, vcc
	v_mov_b32_e32 v2, 0x78
	v_or_b32_e32 v22, 0x800000, v36
	v_cndmask_b32_e32 v9, v9, v2, vcc
	v_cndmask_b32_e32 v36, v22, v36, vcc
	v_add_u32_e32 v2, 20, v9
	v_lshlrev_b64 v[2:3], v2, -1
	v_lshrrev_b64 v[50:51], v9, v[36:37]
	v_not_b32_e32 v3, v3
	v_not_b32_e32 v2, v2
	v_add_u32_e32 v22, 19, v9
	v_lshrrev_b32_e32 v27, 23, v50
	v_and_b32_e32 v3, 0, v3
	v_and_b32_e32 v2, v36, v2
	v_lshlrev_b64 v[22:23], v22, 1
	v_add3_u32 v27, v9, v24, v27
	v_bfe_u32 v9, v50, 20, 1
	v_add_u32_e32 v9, -1, v9
	v_cmp_eq_u64_e32 vcc, v[2:3], v[22:23]
	v_cndmask_b32_e32 v2, 0, v9, vcc
	v_add_u32_e32 v2, v2, v50
	v_and_b32_e32 v2, 0xfffff, v2
	v_add_co_u32_e32 v2, vcc, v2, v50
	v_add_u32_e32 v24, 6, v27
	v_addc_co_u32_e32 v3, vcc, 0, v51, vcc
	v_cmp_ne_u32_e32 vcc, 0, v24
                                        ; implicit-def: $vgpr9
	s_and_saveexec_b64 s[18:19], vcc
	s_xor_b64 s[18:19], exec, s[18:19]
; %bb.3239:                             ;   in Loop: Header=BB2_2591 Depth=2
	v_cmp_lt_u64_e32 vcc, s[44:45], v[2:3]
	v_add_u32_e32 v9, 7, v27
	v_cndmask_b32_e64 v22, 0, 1, vcc
	v_cndmask_b32_e32 v9, v24, v9, vcc
	v_lshrrev_b64 v[2:3], v22, v[2:3]
; %bb.3240:                             ;   in Loop: Header=BB2_2591 Depth=2
	s_andn2_saveexec_b64 s[18:19], s[18:19]
; %bb.3241:                             ;   in Loop: Header=BB2_2591 Depth=2
	v_bfe_u32 v9, v2, 23, 1
; %bb.3242:                             ;   in Loop: Header=BB2_2591 Depth=2
	s_or_b64 exec, exec, s[18:19]
	v_lshrrev_b64 v[2:3], 20, v[2:3]
	v_cmp_gt_i32_e32 vcc, 16, v9
	v_cndmask_b32_e32 v3, 0, v3, vcc
	v_cndmask_b32_e32 v2, 7, v2, vcc
	v_cmp_eq_u64_e64 s[18:19], 0, v[2:3]
	v_min_i32_e32 v3, 15, v9
	v_cmp_eq_u32_e32 vcc, 0, v9
	v_lshlrev_b32_e32 v3, 3, v3
	v_and_or_b32 v2, v2, 7, v3
	s_and_b64 s[18:19], vcc, s[18:19]
	v_cndmask_b32_e64 v2, v2, 0, s[18:19]
	v_or_b32_e32 v27, v2, v7
	v_bfrev_b32_e32 v50, 60
.LBB2_3243:                             ;   in Loop: Header=BB2_2591 Depth=2
	s_or_b64 exec, exec, s[56:57]
.LBB2_3244:                             ;   in Loop: Header=BB2_2591 Depth=2
	s_or_b64 exec, exec, s[54:55]
                                        ; implicit-def: $vgpr2
.LBB2_3245:                             ;   in Loop: Header=BB2_2591 Depth=2
	s_andn2_saveexec_b64 s[18:19], s[52:53]
; %bb.3246:                             ;   in Loop: Header=BB2_2591 Depth=2
	v_or_b32_sdwa v2, v2, s68 dst_sel:DWORD dst_unused:UNUSED_PAD src0_sel:BYTE_3 src1_sel:DWORD
	v_cmp_eq_u64_e32 vcc, 0, v[36:37]
	v_cndmask_b32_e32 v27, v2, v27, vcc
; %bb.3247:                             ;   in Loop: Header=BB2_2591 Depth=2
	s_or_b64 exec, exec, s[18:19]
	v_lshlrev_b32_e32 v2, 8, v38
	v_and_b32_e32 v2, 0xff00, v2
	v_cmp_ne_u32_e32 vcc, 0, v2
	v_mov_b32_e32 v3, 0
	v_mov_b32_e32 v7, 0
	s_and_saveexec_b64 s[18:19], vcc
	s_cbranch_execz .LBB2_3253
; %bb.3248:                             ;   in Loop: Header=BB2_2591 Depth=2
	v_cmp_ne_u32_e32 vcc, s73, v2
	v_bfrev_b32_e32 v7, 1
	s_and_saveexec_b64 s[52:53], vcc
	s_cbranch_execz .LBB2_3252
; %bb.3249:                             ;   in Loop: Header=BB2_2591 Depth=2
	v_bfe_u32 v9, v2, 8, 7
	v_cmp_ne_u32_e32 vcc, s68, v9
	v_mov_b32_e32 v7, 0x7f800001
	s_and_saveexec_b64 s[54:55], vcc
	s_cbranch_execz .LBB2_3251
; %bb.3250:                             ;   in Loop: Header=BB2_2591 Depth=2
	v_lshrrev_b32_e32 v22, 8, v2
	v_and_b32_e32 v7, 7, v22
	v_ffbh_u32_e32 v23, v7
	v_min_u32_e32 v36, 32, v23
	v_subrev_u32_e32 v23, 28, v36
	v_lshlrev_b64 v[22:23], v23, v[22:23]
	v_lshrrev_b32_e32 v24, 3, v9
	v_sub_u32_e32 v23, 29, v36
	v_and_b32_e32 v22, 7, v22
	v_cmp_gt_u32_e32 vcc, 8, v9
	v_cndmask_b32_e32 v9, v24, v23, vcc
	v_cndmask_b32_e32 v7, v7, v22, vcc
	v_lshlrev_b32_e32 v2, 16, v2
	v_lshlrev_b32_e32 v7, 20, v7
	v_and_b32_e32 v2, 0x80000000, v2
	v_lshl_add_u32 v9, v9, 23, v50
	v_or3_b32 v7, v2, v9, v7
.LBB2_3251:                             ;   in Loop: Header=BB2_2591 Depth=2
	s_or_b64 exec, exec, s[54:55]
.LBB2_3252:                             ;   in Loop: Header=BB2_2591 Depth=2
	s_or_b64 exec, exec, s[52:53]
.LBB2_3253:                             ;   in Loop: Header=BB2_2591 Depth=2
	s_or_b64 exec, exec, s[18:19]
	v_cmp_lt_u32_e32 vcc, s43, v14
	s_and_saveexec_b64 s[18:19], vcc
	s_cbranch_execz .LBB2_3259
; %bb.3254:                             ;   in Loop: Header=BB2_2591 Depth=2
	v_lshrrev_b32_e32 v2, 24, v14
	v_cmp_ne_u32_e32 vcc, s69, v2
	v_bfrev_b32_e32 v3, 1
	s_and_saveexec_b64 s[52:53], vcc
	s_cbranch_execz .LBB2_3258
; %bb.3255:                             ;   in Loop: Header=BB2_2591 Depth=2
	v_bfe_u32 v9, v14, 24, 7
	v_cmp_ne_u32_e32 vcc, s68, v9
	v_mov_b32_e32 v3, 0x7f800001
	s_and_saveexec_b64 s[54:55], vcc
	s_cbranch_execz .LBB2_3257
; %bb.3256:                             ;   in Loop: Header=BB2_2591 Depth=2
	v_and_b32_e32 v3, 7, v2
	v_ffbh_u32_e32 v22, v3
	v_min_u32_e32 v36, 32, v22
	v_subrev_u32_e32 v22, 28, v36
	v_lshlrev_b64 v[22:23], v22, v[2:3]
	v_lshrrev_b32_e32 v24, 3, v9
	v_sub_u32_e32 v23, 29, v36
	v_and_b32_e32 v22, 7, v22
	v_cmp_gt_u32_e32 vcc, 8, v9
	v_cndmask_b32_e32 v9, v24, v23, vcc
	v_cndmask_b32_e32 v3, v3, v22, vcc
	v_lshlrev_b32_e32 v2, 24, v2
	v_lshlrev_b32_e32 v3, 20, v3
	v_and_b32_e32 v2, 0x80000000, v2
	v_lshl_add_u32 v9, v9, 23, v50
	v_or3_b32 v3, v2, v9, v3
.LBB2_3257:                             ;   in Loop: Header=BB2_2591 Depth=2
	s_or_b64 exec, exec, s[54:55]
.LBB2_3258:                             ;   in Loop: Header=BB2_2591 Depth=2
	s_or_b64 exec, exec, s[52:53]
.LBB2_3259:                             ;   in Loop: Header=BB2_2591 Depth=2
	s_or_b64 exec, exec, s[18:19]
	v_add_f32_e32 v2, v7, v3
	v_and_b32_sdwa v7, v2, s69 dst_sel:DWORD dst_unused:UNUSED_PAD src0_sel:BYTE_3 src1_sel:DWORD
	v_and_b32_e32 v22, 0x7f800000, v2
	v_mov_b32_e32 v23, v37
	v_and_b32_e32 v36, 0x7fffff, v2
	v_or_b32_e32 v60, 0x7e, v7
	v_cmp_ne_u64_e32 vcc, s[38:39], v[22:23]
	s_and_saveexec_b64 s[18:19], vcc
	s_xor_b64 s[52:53], exec, s[18:19]
	s_cbranch_execz .LBB2_3269
; %bb.3260:                             ;   in Loop: Header=BB2_2591 Depth=2
	v_and_b32_e32 v22, 0x7fffffff, v2
	v_mov_b32_e32 v23, v37
	v_cmp_gt_u64_e32 vcc, s[40:41], v[22:23]
	s_and_saveexec_b64 s[54:55], vcc
	s_cbranch_execz .LBB2_3268
; %bb.3261:                             ;   in Loop: Header=BB2_2591 Depth=2
	v_cmp_ne_u32_e32 vcc, 0, v2
	v_mov_b32_e32 v60, 0
	s_and_saveexec_b64 s[56:57], vcc
	s_cbranch_execz .LBB2_3267
; %bb.3262:                             ;   in Loop: Header=BB2_2591 Depth=2
	v_bfe_u32 v2, v2, 23, 8
	v_sub_u32_e32 v9, 0x79, v2
	v_cmp_gt_u32_e32 vcc, s71, v2
	v_add_u32_e32 v3, 0xffffff81, v2
	v_cndmask_b32_e32 v9, 0, v9, vcc
	v_cmp_eq_u32_e32 vcc, 0, v2
	v_mov_b32_e32 v2, 0xffffff82
	v_cndmask_b32_e32 v24, v3, v2, vcc
	v_mov_b32_e32 v2, 0x78
	v_cndmask_b32_e32 v9, v9, v2, vcc
	v_or_b32_e32 v22, 0x800000, v36
	v_add_u32_e32 v2, 20, v9
	v_cndmask_b32_e32 v36, v22, v36, vcc
	v_lshlrev_b64 v[2:3], v2, -1
	v_not_b32_e32 v2, v2
	v_lshrrev_b64 v[50:51], v9, v[36:37]
	v_not_b32_e32 v3, v3
	v_and_b32_e32 v2, v36, v2
	v_add_u32_e32 v22, 19, v9
	v_lshrrev_b32_e32 v36, 23, v50
	v_and_b32_e32 v3, 0, v3
	v_lshlrev_b64 v[22:23], v22, 1
	v_add3_u32 v36, v9, v24, v36
	v_bfe_u32 v9, v50, 20, 1
	v_add_u32_e32 v9, -1, v9
	v_cmp_eq_u64_e32 vcc, v[2:3], v[22:23]
	v_cndmask_b32_e32 v2, 0, v9, vcc
	v_add_u32_e32 v2, v2, v50
	v_and_b32_e32 v2, 0xfffff, v2
	v_add_co_u32_e32 v2, vcc, v2, v50
	v_add_u32_e32 v24, 6, v36
	v_addc_co_u32_e32 v3, vcc, 0, v51, vcc
	v_cmp_ne_u32_e32 vcc, 0, v24
                                        ; implicit-def: $vgpr9
	s_and_saveexec_b64 s[18:19], vcc
	s_xor_b64 s[18:19], exec, s[18:19]
; %bb.3263:                             ;   in Loop: Header=BB2_2591 Depth=2
	v_cmp_lt_u64_e32 vcc, s[44:45], v[2:3]
	v_add_u32_e32 v9, 7, v36
	v_cndmask_b32_e64 v22, 0, 1, vcc
	v_cndmask_b32_e32 v9, v24, v9, vcc
	v_lshrrev_b64 v[2:3], v22, v[2:3]
; %bb.3264:                             ;   in Loop: Header=BB2_2591 Depth=2
	s_andn2_saveexec_b64 s[18:19], s[18:19]
; %bb.3265:                             ;   in Loop: Header=BB2_2591 Depth=2
	v_bfe_u32 v9, v2, 23, 1
; %bb.3266:                             ;   in Loop: Header=BB2_2591 Depth=2
	s_or_b64 exec, exec, s[18:19]
	v_lshrrev_b64 v[2:3], 20, v[2:3]
	v_cmp_gt_i32_e32 vcc, 16, v9
	v_cndmask_b32_e32 v3, 0, v3, vcc
	v_cndmask_b32_e32 v2, 7, v2, vcc
	v_cmp_eq_u64_e64 s[18:19], 0, v[2:3]
	v_min_i32_e32 v3, 15, v9
	v_cmp_eq_u32_e32 vcc, 0, v9
	v_lshlrev_b32_e32 v3, 3, v3
	v_and_or_b32 v2, v2, 7, v3
	s_and_b64 s[18:19], vcc, s[18:19]
	v_cndmask_b32_e64 v2, v2, 0, s[18:19]
	v_or_b32_e32 v60, v2, v7
	v_bfrev_b32_e32 v50, 60
.LBB2_3267:                             ;   in Loop: Header=BB2_2591 Depth=2
	s_or_b64 exec, exec, s[56:57]
.LBB2_3268:                             ;   in Loop: Header=BB2_2591 Depth=2
	s_or_b64 exec, exec, s[54:55]
                                        ; implicit-def: $vgpr2
.LBB2_3269:                             ;   in Loop: Header=BB2_2591 Depth=2
	s_andn2_saveexec_b64 s[18:19], s[52:53]
; %bb.3270:                             ;   in Loop: Header=BB2_2591 Depth=2
	v_or_b32_sdwa v2, v2, s68 dst_sel:DWORD dst_unused:UNUSED_PAD src0_sel:BYTE_3 src1_sel:DWORD
	v_cmp_eq_u64_e32 vcc, 0, v[36:37]
	v_cndmask_b32_e32 v60, v2, v60, vcc
; %bb.3271:                             ;   in Loop: Header=BB2_2591 Depth=2
	s_or_b64 exec, exec, s[18:19]
	v_lshlrev_b32_e32 v6, 8, v6
	v_lshlrev_b32_e32 v2, 24, v25
	v_perm_b32 v3, v8, v54, s74
	v_or3_b32 v36, v3, v2, v6
	v_cmp_ne_u16_sdwa vcc, v54, v37 src0_sel:BYTE_0 src1_sel:DWORD
	v_mov_b32_e32 v3, 0
	v_mov_b32_e32 v2, 0
	s_and_saveexec_b64 s[18:19], vcc
	s_cbranch_execz .LBB2_3277
; %bb.3272:                             ;   in Loop: Header=BB2_2591 Depth=2
	v_cmp_ne_u16_sdwa vcc, v54, s69 src0_sel:BYTE_0 src1_sel:DWORD
	v_bfrev_b32_e32 v2, 1
	s_and_saveexec_b64 s[52:53], vcc
	s_cbranch_execz .LBB2_3276
; %bb.3273:                             ;   in Loop: Header=BB2_2591 Depth=2
	v_and_b32_e32 v7, 0x7f, v54
	v_cmp_ne_u32_e32 vcc, s68, v7
	v_mov_b32_e32 v2, 0x7f800001
	s_and_saveexec_b64 s[54:55], vcc
	s_cbranch_execz .LBB2_3275
; %bb.3274:                             ;   in Loop: Header=BB2_2591 Depth=2
	v_and_b32_e32 v2, 7, v54
	v_ffbh_u32_e32 v2, v2
	v_min_u32_e32 v2, 32, v2
	v_subrev_u32_e32 v9, 28, v2
	v_cmp_gt_u32_e32 vcc, 8, v7
	v_lshrrev_b32_e32 v8, 3, v7
	v_sub_u32_e32 v2, 29, v2
	v_cndmask_b32_e32 v7, 0, v9, vcc
	v_cndmask_b32_e32 v2, v8, v2, vcc
	v_lshlrev_b64 v[8:9], v7, v[36:37]
	v_lshlrev_b32_e32 v7, 20, v8
	v_lshlrev_b32_e32 v8, 24, v36
	v_and_b32_e32 v7, 0x700000, v7
	v_and_b32_e32 v8, 0x80000000, v8
	v_lshl_add_u32 v2, v2, 23, v50
	v_or3_b32 v2, v8, v2, v7
.LBB2_3275:                             ;   in Loop: Header=BB2_2591 Depth=2
	s_or_b64 exec, exec, s[54:55]
.LBB2_3276:                             ;   in Loop: Header=BB2_2591 Depth=2
	s_or_b64 exec, exec, s[52:53]
.LBB2_3277:                             ;   in Loop: Header=BB2_2591 Depth=2
	s_or_b64 exec, exec, s[18:19]
	v_cmp_ne_u16_sdwa vcc, v15, v37 src0_sel:BYTE_0 src1_sel:DWORD
	s_and_saveexec_b64 s[18:19], vcc
	s_cbranch_execz .LBB2_3283
; %bb.3278:                             ;   in Loop: Header=BB2_2591 Depth=2
	v_cmp_ne_u16_sdwa vcc, v15, s69 src0_sel:BYTE_0 src1_sel:DWORD
	v_bfrev_b32_e32 v3, 1
	s_and_saveexec_b64 s[52:53], vcc
	s_cbranch_execz .LBB2_3282
; %bb.3279:                             ;   in Loop: Header=BB2_2591 Depth=2
	v_and_b32_e32 v7, 0x7f, v15
	v_cmp_ne_u32_e32 vcc, s68, v7
	v_mov_b32_e32 v3, 0x7f800001
	s_and_saveexec_b64 s[54:55], vcc
	s_cbranch_execz .LBB2_3281
; %bb.3280:                             ;   in Loop: Header=BB2_2591 Depth=2
	v_and_b32_e32 v3, 7, v15
	v_ffbh_u32_e32 v3, v3
	v_min_u32_e32 v3, 32, v3
	v_subrev_u32_e32 v23, 28, v3
	v_cmp_gt_u32_e32 vcc, 8, v7
	v_mov_b32_e32 v8, v15
	v_mov_b32_e32 v9, v37
	v_lshrrev_b32_e32 v22, 3, v7
	v_sub_u32_e32 v3, 29, v3
	v_cndmask_b32_e32 v7, 0, v23, vcc
	v_cndmask_b32_e32 v3, v22, v3, vcc
	v_lshlrev_b64 v[22:23], v7, v[8:9]
	v_lshlrev_b32_e32 v7, 20, v22
	v_lshlrev_b32_e32 v8, 24, v8
	v_and_b32_e32 v7, 0x700000, v7
	v_and_b32_e32 v8, 0x80000000, v8
	v_lshl_add_u32 v3, v3, 23, v50
	v_or3_b32 v3, v8, v3, v7
.LBB2_3281:                             ;   in Loop: Header=BB2_2591 Depth=2
	s_or_b64 exec, exec, s[54:55]
.LBB2_3282:                             ;   in Loop: Header=BB2_2591 Depth=2
	s_or_b64 exec, exec, s[52:53]
.LBB2_3283:                             ;   in Loop: Header=BB2_2591 Depth=2
	s_or_b64 exec, exec, s[18:19]
	v_add_f32_e32 v8, v2, v3
	v_and_b32_sdwa v7, v8, s69 dst_sel:DWORD dst_unused:UNUSED_PAD src0_sel:BYTE_3 src1_sel:DWORD
	v_and_b32_e32 v22, 0x7f800000, v8
	v_mov_b32_e32 v23, v37
	v_and_b32_e32 v2, 0x7fffff, v8
	v_mov_b32_e32 v3, v37
	v_or_b32_e32 v61, 0x7e, v7
	v_cmp_ne_u64_e32 vcc, s[38:39], v[22:23]
	s_and_saveexec_b64 s[18:19], vcc
	s_xor_b64 s[52:53], exec, s[18:19]
	s_cbranch_execz .LBB2_3293
; %bb.3284:                             ;   in Loop: Header=BB2_2591 Depth=2
	v_and_b32_e32 v22, 0x7fffffff, v8
	v_mov_b32_e32 v23, v37
	v_cmp_gt_u64_e32 vcc, s[40:41], v[22:23]
	s_and_saveexec_b64 s[54:55], vcc
	s_cbranch_execz .LBB2_3292
; %bb.3285:                             ;   in Loop: Header=BB2_2591 Depth=2
	v_cmp_ne_u32_e32 vcc, 0, v8
	v_mov_b32_e32 v61, 0
	s_and_saveexec_b64 s[56:57], vcc
	s_cbranch_execz .LBB2_3291
; %bb.3286:                             ;   in Loop: Header=BB2_2591 Depth=2
	v_bfe_u32 v8, v8, 23, 8
	v_sub_u32_e32 v22, 0x79, v8
	v_cmp_gt_u32_e32 vcc, s71, v8
	v_add_u32_e32 v9, 0xffffff81, v8
	v_cndmask_b32_e32 v22, 0, v22, vcc
	v_cmp_eq_u32_e32 vcc, 0, v8
	v_mov_b32_e32 v8, 0xffffff82
	v_cndmask_b32_e32 v24, v9, v8, vcc
	v_mov_b32_e32 v8, 0x78
	v_cndmask_b32_e32 v25, v22, v8, vcc
	v_add_u32_e32 v8, 20, v25
	v_or_b32_e32 v23, 0x800000, v2
	v_lshlrev_b64 v[8:9], v8, -1
	v_cndmask_b32_e32 v2, v23, v2, vcc
	v_not_b32_e32 v8, v8
	v_and_b32_e32 v22, v2, v8
	v_add_u32_e32 v8, 19, v25
	v_lshrrev_b64 v[2:3], v25, v[2:3]
	v_not_b32_e32 v9, v9
	v_lshlrev_b64 v[50:51], v8, 1
	v_lshrrev_b32_e32 v8, 23, v2
	v_and_b32_e32 v23, 0, v9
	v_add3_u32 v24, v25, v24, v8
	v_bfe_u32 v8, v2, 20, 1
	v_add_u32_e32 v8, -1, v8
	v_cmp_eq_u64_e32 vcc, v[22:23], v[50:51]
	v_cndmask_b32_e32 v8, 0, v8, vcc
	v_add_u32_e32 v8, v8, v2
	v_and_b32_e32 v8, 0xfffff, v8
	v_add_co_u32_e32 v2, vcc, v8, v2
	v_add_u32_e32 v9, 6, v24
	v_addc_co_u32_e32 v3, vcc, 0, v3, vcc
	v_cmp_ne_u32_e32 vcc, 0, v9
                                        ; implicit-def: $vgpr8
	s_and_saveexec_b64 s[18:19], vcc
	s_xor_b64 s[18:19], exec, s[18:19]
; %bb.3287:                             ;   in Loop: Header=BB2_2591 Depth=2
	v_add_u32_e32 v8, 7, v24
	v_cmp_lt_u64_e32 vcc, s[44:45], v[2:3]
	v_cndmask_b32_e32 v8, v9, v8, vcc
	v_cndmask_b32_e64 v9, 0, 1, vcc
	v_lshrrev_b64 v[2:3], v9, v[2:3]
; %bb.3288:                             ;   in Loop: Header=BB2_2591 Depth=2
	s_andn2_saveexec_b64 s[18:19], s[18:19]
; %bb.3289:                             ;   in Loop: Header=BB2_2591 Depth=2
	v_bfe_u32 v8, v2, 23, 1
; %bb.3290:                             ;   in Loop: Header=BB2_2591 Depth=2
	s_or_b64 exec, exec, s[18:19]
	v_lshrrev_b64 v[2:3], 20, v[2:3]
	v_cmp_gt_i32_e32 vcc, 16, v8
	v_cndmask_b32_e32 v3, 0, v3, vcc
	v_cndmask_b32_e32 v2, 7, v2, vcc
	v_cmp_eq_u64_e64 s[18:19], 0, v[2:3]
	v_min_i32_e32 v3, 15, v8
	v_cmp_eq_u32_e32 vcc, 0, v8
	v_lshlrev_b32_e32 v3, 3, v3
	v_and_or_b32 v2, v2, 7, v3
	s_and_b64 s[18:19], vcc, s[18:19]
	v_cndmask_b32_e64 v2, v2, 0, s[18:19]
	v_or_b32_e32 v61, v2, v7
	v_bfrev_b32_e32 v50, 60
.LBB2_3291:                             ;   in Loop: Header=BB2_2591 Depth=2
	s_or_b64 exec, exec, s[56:57]
.LBB2_3292:                             ;   in Loop: Header=BB2_2591 Depth=2
	s_or_b64 exec, exec, s[54:55]
                                        ; implicit-def: $vgpr8
                                        ; implicit-def: $vgpr2_vgpr3
.LBB2_3293:                             ;   in Loop: Header=BB2_2591 Depth=2
	s_andn2_saveexec_b64 s[18:19], s[52:53]
; %bb.3294:                             ;   in Loop: Header=BB2_2591 Depth=2
	v_or_b32_sdwa v7, v8, s68 dst_sel:DWORD dst_unused:UNUSED_PAD src0_sel:BYTE_3 src1_sel:DWORD
	v_cmp_eq_u64_e32 vcc, 0, v[2:3]
	v_cndmask_b32_e32 v61, v7, v61, vcc
; %bb.3295:                             ;   in Loop: Header=BB2_2591 Depth=2
	s_or_b64 exec, exec, s[18:19]
	v_lshrrev_b16_e32 v2, 8, v6
	v_cmp_ne_u16_e32 vcc, 0, v2
	v_mov_b32_e32 v3, 0
	v_mov_b32_e32 v7, 0
	s_and_saveexec_b64 s[18:19], vcc
	s_cbranch_execz .LBB2_3301
; %bb.3296:                             ;   in Loop: Header=BB2_2591 Depth=2
	v_cmp_ne_u16_e32 vcc, s69, v2
	v_bfrev_b32_e32 v7, 1
	s_and_saveexec_b64 s[52:53], vcc
	s_cbranch_execz .LBB2_3300
; %bb.3297:                             ;   in Loop: Header=BB2_2591 Depth=2
	v_and_b32_e32 v8, 0x7f, v2
	v_cmp_ne_u32_e32 vcc, s68, v8
	v_mov_b32_e32 v7, 0x7f800001
	s_and_saveexec_b64 s[54:55], vcc
	s_cbranch_execz .LBB2_3299
; %bb.3298:                             ;   in Loop: Header=BB2_2591 Depth=2
	v_and_b32_e32 v7, 7, v2
	v_ffbh_u32_e32 v22, v7
	v_min_u32_e32 v24, 32, v22
	v_subrev_u32_e32 v22, 28, v24
	v_lshlrev_b64 v[22:23], v22, v[2:3]
	v_lshrrev_b32_e32 v9, 3, v8
	v_sub_u32_e32 v2, 29, v24
	v_and_b32_e32 v22, 7, v22
	v_cmp_gt_u32_e32 vcc, 8, v8
	v_cndmask_b32_e32 v2, v9, v2, vcc
	v_cndmask_b32_e32 v7, v7, v22, vcc
	v_lshlrev_b32_e32 v6, 16, v6
	v_lshlrev_b32_e32 v7, 20, v7
	v_and_b32_e32 v6, 0x80000000, v6
	v_lshl_add_u32 v2, v2, 23, v50
	v_or3_b32 v7, v6, v2, v7
.LBB2_3299:                             ;   in Loop: Header=BB2_2591 Depth=2
	s_or_b64 exec, exec, s[54:55]
.LBB2_3300:                             ;   in Loop: Header=BB2_2591 Depth=2
	s_or_b64 exec, exec, s[52:53]
.LBB2_3301:                             ;   in Loop: Header=BB2_2591 Depth=2
	s_or_b64 exec, exec, s[18:19]
	v_mov_b32_e32 v2, v15
	v_lshrrev_b16_e32 v24, 8, v2
	v_cmp_ne_u16_e32 vcc, 0, v24
	s_and_saveexec_b64 s[18:19], vcc
	s_cbranch_execz .LBB2_3307
; %bb.3302:                             ;   in Loop: Header=BB2_2591 Depth=2
	v_cmp_ne_u16_e32 vcc, s69, v24
	v_bfrev_b32_e32 v3, 1
	s_and_saveexec_b64 s[52:53], vcc
	s_cbranch_execz .LBB2_3306
; %bb.3303:                             ;   in Loop: Header=BB2_2591 Depth=2
	v_and_b32_e32 v6, 0x7f, v24
	v_cmp_ne_u32_e32 vcc, s68, v6
	v_mov_b32_e32 v3, 0x7f800001
	s_and_saveexec_b64 s[54:55], vcc
	s_cbranch_execz .LBB2_3305
; %bb.3304:                             ;   in Loop: Header=BB2_2591 Depth=2
	v_and_b32_e32 v3, 7, v24
	v_ffbh_u32_e32 v8, v3
	v_min_u32_e32 v23, 32, v8
	v_subrev_u32_e32 v8, 28, v23
	v_lshlrev_b64 v[8:9], v8, v[24:25]
	v_lshrrev_b32_e32 v22, 3, v6
	v_sub_u32_e32 v9, 29, v23
	v_and_b32_e32 v8, 7, v8
	v_cmp_gt_u32_e32 vcc, 8, v6
	v_cndmask_b32_e32 v6, v22, v9, vcc
	v_cndmask_b32_e32 v3, v3, v8, vcc
	v_lshlrev_b32_e32 v2, 16, v2
	v_lshlrev_b32_e32 v3, 20, v3
	v_and_b32_e32 v2, 0x80000000, v2
	v_lshl_add_u32 v6, v6, 23, v50
	v_or3_b32 v3, v2, v6, v3
.LBB2_3305:                             ;   in Loop: Header=BB2_2591 Depth=2
	s_or_b64 exec, exec, s[54:55]
.LBB2_3306:                             ;   in Loop: Header=BB2_2591 Depth=2
	s_or_b64 exec, exec, s[52:53]
.LBB2_3307:                             ;   in Loop: Header=BB2_2591 Depth=2
	s_or_b64 exec, exec, s[18:19]
	v_add_f32_e32 v7, v7, v3
	v_and_b32_sdwa v6, v7, s69 dst_sel:DWORD dst_unused:UNUSED_PAD src0_sel:BYTE_3 src1_sel:DWORD
	v_and_b32_e32 v8, 0x7f800000, v7
	v_mov_b32_e32 v9, v37
	v_and_b32_e32 v2, 0x7fffff, v7
	v_mov_b32_e32 v3, v37
	v_or_b32_e32 v24, 0x7e, v6
	v_cmp_ne_u64_e32 vcc, s[38:39], v[8:9]
	s_and_saveexec_b64 s[18:19], vcc
	s_xor_b64 s[52:53], exec, s[18:19]
	s_cbranch_execz .LBB2_3317
; %bb.3308:                             ;   in Loop: Header=BB2_2591 Depth=2
	v_and_b32_e32 v8, 0x7fffffff, v7
	v_mov_b32_e32 v9, v37
	v_cmp_gt_u64_e32 vcc, s[40:41], v[8:9]
	s_and_saveexec_b64 s[54:55], vcc
	s_cbranch_execz .LBB2_3316
; %bb.3309:                             ;   in Loop: Header=BB2_2591 Depth=2
	v_cmp_ne_u32_e32 vcc, 0, v7
	v_mov_b32_e32 v24, 0
	s_and_saveexec_b64 s[56:57], vcc
	s_cbranch_execz .LBB2_3315
; %bb.3310:                             ;   in Loop: Header=BB2_2591 Depth=2
	v_bfe_u32 v7, v7, 23, 8
	v_sub_u32_e32 v9, 0x79, v7
	v_cmp_gt_u32_e32 vcc, s71, v7
	v_add_u32_e32 v8, 0xffffff81, v7
	v_cndmask_b32_e32 v9, 0, v9, vcc
	v_cmp_eq_u32_e32 vcc, 0, v7
	v_mov_b32_e32 v7, 0xffffff82
	v_cndmask_b32_e32 v7, v8, v7, vcc
	v_mov_b32_e32 v8, 0x78
	v_cndmask_b32_e32 v38, v9, v8, vcc
	v_add_u32_e32 v8, 20, v38
	v_or_b32_e32 v22, 0x800000, v2
	v_lshlrev_b64 v[8:9], v8, -1
	v_cndmask_b32_e32 v2, v22, v2, vcc
	v_not_b32_e32 v8, v8
	v_and_b32_e32 v22, v2, v8
	v_add_u32_e32 v8, 19, v38
	v_lshrrev_b64 v[2:3], v38, v[2:3]
	v_not_b32_e32 v9, v9
	v_lshlrev_b64 v[24:25], v8, 1
	v_lshrrev_b32_e32 v8, 23, v2
	v_and_b32_e32 v23, 0, v9
	v_add3_u32 v9, v38, v7, v8
	v_bfe_u32 v7, v2, 20, 1
	v_add_u32_e32 v7, -1, v7
	v_cmp_eq_u64_e32 vcc, v[22:23], v[24:25]
	v_cndmask_b32_e32 v7, 0, v7, vcc
	v_add_u32_e32 v7, v7, v2
	v_and_b32_e32 v7, 0xfffff, v7
	v_add_co_u32_e32 v2, vcc, v7, v2
	v_add_u32_e32 v8, 6, v9
	v_addc_co_u32_e32 v3, vcc, 0, v3, vcc
	v_cmp_ne_u32_e32 vcc, 0, v8
                                        ; implicit-def: $vgpr7
	s_and_saveexec_b64 s[18:19], vcc
	s_xor_b64 s[18:19], exec, s[18:19]
; %bb.3311:                             ;   in Loop: Header=BB2_2591 Depth=2
	v_add_u32_e32 v7, 7, v9
	v_cmp_lt_u64_e32 vcc, s[44:45], v[2:3]
	v_cndmask_b32_e32 v7, v8, v7, vcc
	v_cndmask_b32_e64 v8, 0, 1, vcc
	v_lshrrev_b64 v[2:3], v8, v[2:3]
; %bb.3312:                             ;   in Loop: Header=BB2_2591 Depth=2
	s_andn2_saveexec_b64 s[18:19], s[18:19]
; %bb.3313:                             ;   in Loop: Header=BB2_2591 Depth=2
	v_bfe_u32 v7, v2, 23, 1
; %bb.3314:                             ;   in Loop: Header=BB2_2591 Depth=2
	s_or_b64 exec, exec, s[18:19]
	v_lshrrev_b64 v[2:3], 20, v[2:3]
	v_cmp_gt_i32_e32 vcc, 16, v7
	v_cndmask_b32_e32 v3, 0, v3, vcc
	v_cndmask_b32_e32 v2, 7, v2, vcc
	v_cmp_eq_u64_e64 s[18:19], 0, v[2:3]
	v_min_i32_e32 v3, 15, v7
	v_cmp_eq_u32_e32 vcc, 0, v7
	v_lshlrev_b32_e32 v3, 3, v3
	v_and_or_b32 v2, v2, 7, v3
	s_and_b64 s[18:19], vcc, s[18:19]
	v_cndmask_b32_e64 v2, v2, 0, s[18:19]
	v_or_b32_e32 v24, v2, v6
.LBB2_3315:                             ;   in Loop: Header=BB2_2591 Depth=2
	s_or_b64 exec, exec, s[56:57]
.LBB2_3316:                             ;   in Loop: Header=BB2_2591 Depth=2
	s_or_b64 exec, exec, s[54:55]
                                        ; implicit-def: $vgpr7
                                        ; implicit-def: $vgpr2_vgpr3
.LBB2_3317:                             ;   in Loop: Header=BB2_2591 Depth=2
	s_andn2_saveexec_b64 s[18:19], s[52:53]
; %bb.3318:                             ;   in Loop: Header=BB2_2591 Depth=2
	v_or_b32_sdwa v6, v7, s68 dst_sel:DWORD dst_unused:UNUSED_PAD src0_sel:BYTE_3 src1_sel:DWORD
	v_cmp_eq_u64_e32 vcc, 0, v[2:3]
	v_cndmask_b32_e32 v24, v6, v24, vcc
; %bb.3319:                             ;   in Loop: Header=BB2_2591 Depth=2
	s_or_b64 exec, exec, s[18:19]
	v_lshrrev_b32_e32 v2, 16, v36
	v_cmp_ne_u16_sdwa vcc, v2, v37 src0_sel:BYTE_0 src1_sel:DWORD
	v_mov_b32_e32 v3, 0
	v_mov_b32_e32 v6, 0
	s_and_saveexec_b64 s[18:19], vcc
	s_cbranch_execz .LBB2_3325
; %bb.3320:                             ;   in Loop: Header=BB2_2591 Depth=2
	v_cmp_ne_u16_sdwa vcc, v2, s69 src0_sel:BYTE_0 src1_sel:DWORD
	v_bfrev_b32_e32 v6, 1
	s_and_saveexec_b64 s[52:53], vcc
	s_cbranch_execz .LBB2_3324
; %bb.3321:                             ;   in Loop: Header=BB2_2591 Depth=2
	v_bfe_u32 v7, v36, 16, 7
	v_cmp_ne_u32_e32 vcc, s68, v7
	v_mov_b32_e32 v6, 0x7f800001
	s_and_saveexec_b64 s[54:55], vcc
	s_cbranch_execz .LBB2_3323
; %bb.3322:                             ;   in Loop: Header=BB2_2591 Depth=2
	v_and_b32_e32 v6, 7, v2
	v_ffbh_u32_e32 v8, v6
	v_min_u32_e32 v23, 32, v8
	v_subrev_u32_e32 v8, 28, v23
	v_lshlrev_b64 v[8:9], v8, v[2:3]
	v_lshrrev_b32_e32 v22, 3, v7
	v_sub_u32_e32 v9, 29, v23
	v_and_b32_e32 v8, 7, v8
	v_cmp_gt_u32_e32 vcc, 8, v7
	v_cndmask_b32_e32 v7, v22, v9, vcc
	v_cndmask_b32_e32 v6, v6, v8, vcc
	v_lshlrev_b32_e32 v2, 24, v2
	v_lshlrev_b32_e32 v6, 20, v6
	v_and_b32_e32 v2, 0x80000000, v2
	v_lshl_add_u32 v7, v7, 23, v50
	v_or3_b32 v6, v2, v7, v6
.LBB2_3323:                             ;   in Loop: Header=BB2_2591 Depth=2
	s_or_b64 exec, exec, s[54:55]
.LBB2_3324:                             ;   in Loop: Header=BB2_2591 Depth=2
	s_or_b64 exec, exec, s[52:53]
.LBB2_3325:                             ;   in Loop: Header=BB2_2591 Depth=2
	s_or_b64 exec, exec, s[18:19]
	v_lshrrev_b32_e32 v2, 16, v15
	v_cmp_ne_u16_sdwa vcc, v2, v37 src0_sel:BYTE_0 src1_sel:DWORD
	s_and_saveexec_b64 s[18:19], vcc
	s_cbranch_execz .LBB2_3331
; %bb.3326:                             ;   in Loop: Header=BB2_2591 Depth=2
	v_cmp_ne_u16_sdwa vcc, v2, s69 src0_sel:BYTE_0 src1_sel:DWORD
	v_bfrev_b32_e32 v3, 1
	s_and_saveexec_b64 s[52:53], vcc
	s_cbranch_execz .LBB2_3330
; %bb.3327:                             ;   in Loop: Header=BB2_2591 Depth=2
	v_bfe_u32 v7, v15, 16, 7
	v_cmp_ne_u32_e32 vcc, s68, v7
	v_mov_b32_e32 v3, 0x7f800001
	s_and_saveexec_b64 s[54:55], vcc
	s_cbranch_execz .LBB2_3329
; %bb.3328:                             ;   in Loop: Header=BB2_2591 Depth=2
	v_and_b32_e32 v8, 7, v2
	v_ffbh_u32_e32 v3, v8
	v_min_u32_e32 v22, 32, v3
	v_subrev_u32_e32 v3, 28, v22
	v_lshlrev_b64 v[2:3], v3, v[2:3]
	v_lshrrev_b32_e32 v9, 3, v7
	v_sub_u32_e32 v3, 29, v22
	v_and_b32_e32 v2, 7, v2
	v_cmp_gt_u32_e32 vcc, 8, v7
	v_cndmask_b32_e32 v3, v9, v3, vcc
	v_cndmask_b32_e32 v2, v8, v2, vcc
	v_lshlrev_b32_e32 v7, 8, v15
	v_lshlrev_b32_e32 v2, 20, v2
	v_and_b32_e32 v7, 0x80000000, v7
	v_lshl_add_u32 v3, v3, 23, v50
	v_or3_b32 v3, v7, v3, v2
.LBB2_3329:                             ;   in Loop: Header=BB2_2591 Depth=2
	s_or_b64 exec, exec, s[54:55]
.LBB2_3330:                             ;   in Loop: Header=BB2_2591 Depth=2
	s_or_b64 exec, exec, s[52:53]
.LBB2_3331:                             ;   in Loop: Header=BB2_2591 Depth=2
	s_or_b64 exec, exec, s[18:19]
	v_add_f32_e32 v7, v6, v3
	v_and_b32_sdwa v6, v7, s69 dst_sel:DWORD dst_unused:UNUSED_PAD src0_sel:BYTE_3 src1_sel:DWORD
	v_and_b32_e32 v8, 0x7f800000, v7
	v_mov_b32_e32 v9, v37
	v_and_b32_e32 v2, 0x7fffff, v7
	v_mov_b32_e32 v3, v37
	v_or_b32_e32 v38, 0x7e, v6
	v_cmp_ne_u64_e32 vcc, s[38:39], v[8:9]
	s_and_saveexec_b64 s[18:19], vcc
	s_xor_b64 s[52:53], exec, s[18:19]
	s_cbranch_execz .LBB2_3341
; %bb.3332:                             ;   in Loop: Header=BB2_2591 Depth=2
	v_and_b32_e32 v8, 0x7fffffff, v7
	v_mov_b32_e32 v9, v37
	v_cmp_gt_u64_e32 vcc, s[40:41], v[8:9]
	s_and_saveexec_b64 s[54:55], vcc
	s_cbranch_execz .LBB2_3340
; %bb.3333:                             ;   in Loop: Header=BB2_2591 Depth=2
	v_cmp_ne_u32_e32 vcc, 0, v7
	v_mov_b32_e32 v38, 0
	s_and_saveexec_b64 s[56:57], vcc
	s_cbranch_execz .LBB2_3339
; %bb.3334:                             ;   in Loop: Header=BB2_2591 Depth=2
	v_bfe_u32 v7, v7, 23, 8
	v_sub_u32_e32 v9, 0x79, v7
	v_cmp_gt_u32_e32 vcc, s71, v7
	v_add_u32_e32 v8, 0xffffff81, v7
	v_cndmask_b32_e32 v9, 0, v9, vcc
	v_cmp_eq_u32_e32 vcc, 0, v7
	v_mov_b32_e32 v7, 0xffffff82
	v_cndmask_b32_e32 v7, v8, v7, vcc
	v_mov_b32_e32 v8, 0x78
	v_cndmask_b32_e32 v25, v9, v8, vcc
	v_add_u32_e32 v8, 20, v25
	v_or_b32_e32 v22, 0x800000, v2
	v_lshlrev_b64 v[8:9], v8, -1
	v_cndmask_b32_e32 v2, v22, v2, vcc
	v_not_b32_e32 v8, v8
	v_and_b32_e32 v22, v2, v8
	v_add_u32_e32 v8, 19, v25
	v_lshrrev_b64 v[2:3], v25, v[2:3]
	v_not_b32_e32 v9, v9
	v_lshlrev_b64 v[50:51], v8, 1
	v_lshrrev_b32_e32 v8, 23, v2
	v_and_b32_e32 v23, 0, v9
	v_add3_u32 v9, v25, v7, v8
	v_bfe_u32 v7, v2, 20, 1
	v_add_u32_e32 v7, -1, v7
	v_cmp_eq_u64_e32 vcc, v[22:23], v[50:51]
	v_cndmask_b32_e32 v7, 0, v7, vcc
	v_add_u32_e32 v7, v7, v2
	v_and_b32_e32 v7, 0xfffff, v7
	v_add_co_u32_e32 v2, vcc, v7, v2
	v_add_u32_e32 v8, 6, v9
	v_addc_co_u32_e32 v3, vcc, 0, v3, vcc
	v_cmp_ne_u32_e32 vcc, 0, v8
                                        ; implicit-def: $vgpr7
	s_and_saveexec_b64 s[18:19], vcc
	s_xor_b64 s[18:19], exec, s[18:19]
; %bb.3335:                             ;   in Loop: Header=BB2_2591 Depth=2
	v_add_u32_e32 v7, 7, v9
	v_cmp_lt_u64_e32 vcc, s[44:45], v[2:3]
	v_cndmask_b32_e32 v7, v8, v7, vcc
	v_cndmask_b32_e64 v8, 0, 1, vcc
	v_lshrrev_b64 v[2:3], v8, v[2:3]
; %bb.3336:                             ;   in Loop: Header=BB2_2591 Depth=2
	s_andn2_saveexec_b64 s[18:19], s[18:19]
; %bb.3337:                             ;   in Loop: Header=BB2_2591 Depth=2
	v_bfe_u32 v7, v2, 23, 1
; %bb.3338:                             ;   in Loop: Header=BB2_2591 Depth=2
	s_or_b64 exec, exec, s[18:19]
	v_lshrrev_b64 v[2:3], 20, v[2:3]
	v_cmp_gt_i32_e32 vcc, 16, v7
	v_cndmask_b32_e32 v3, 0, v3, vcc
	v_cndmask_b32_e32 v2, 7, v2, vcc
	v_cmp_eq_u64_e64 s[18:19], 0, v[2:3]
	v_min_i32_e32 v3, 15, v7
	v_lshlrev_b32_e32 v3, 3, v3
	v_cmp_eq_u32_e32 vcc, 0, v7
	v_and_b32_e32 v3, 0xf8, v3
	v_and_or_b32 v2, v2, 7, v3
	s_and_b64 s[18:19], vcc, s[18:19]
	v_cndmask_b32_e64 v2, v2, 0, s[18:19]
	v_or_b32_e32 v38, v2, v6
	v_bfrev_b32_e32 v50, 60
.LBB2_3339:                             ;   in Loop: Header=BB2_2591 Depth=2
	s_or_b64 exec, exec, s[56:57]
.LBB2_3340:                             ;   in Loop: Header=BB2_2591 Depth=2
	s_or_b64 exec, exec, s[54:55]
                                        ; implicit-def: $vgpr7
                                        ; implicit-def: $vgpr2_vgpr3
.LBB2_3341:                             ;   in Loop: Header=BB2_2591 Depth=2
	s_andn2_saveexec_b64 s[18:19], s[52:53]
; %bb.3342:                             ;   in Loop: Header=BB2_2591 Depth=2
	v_or_b32_sdwa v6, v7, s68 dst_sel:DWORD dst_unused:UNUSED_PAD src0_sel:BYTE_3 src1_sel:DWORD
	v_cmp_eq_u64_e32 vcc, 0, v[2:3]
	v_cndmask_b32_e32 v38, v6, v38, vcc
; %bb.3343:                             ;   in Loop: Header=BB2_2591 Depth=2
	s_or_b64 exec, exec, s[18:19]
	v_cmp_lt_u32_e32 vcc, s43, v36
	v_mov_b32_e32 v3, 0
	v_mov_b32_e32 v6, 0
	s_and_saveexec_b64 s[18:19], vcc
	s_cbranch_execz .LBB2_3349
; %bb.3344:                             ;   in Loop: Header=BB2_2591 Depth=2
	v_lshrrev_b32_e32 v2, 24, v36
	v_cmp_ne_u32_sdwa vcc, v36, s69 src0_sel:BYTE_3 src1_sel:DWORD
	v_bfrev_b32_e32 v6, 1
	s_and_saveexec_b64 s[52:53], vcc
	s_cbranch_execz .LBB2_3348
; %bb.3345:                             ;   in Loop: Header=BB2_2591 Depth=2
	v_bfe_u32 v7, v36, 24, 7
	v_cmp_ne_u32_e32 vcc, s68, v7
	v_mov_b32_e32 v6, 0x7f800001
	s_and_saveexec_b64 s[54:55], vcc
	s_cbranch_execz .LBB2_3347
; %bb.3346:                             ;   in Loop: Header=BB2_2591 Depth=2
	v_and_b32_e32 v6, 7, v2
	v_ffbh_u32_e32 v8, v6
	v_min_u32_e32 v23, 32, v8
	v_subrev_u32_e32 v8, 28, v23
	v_lshlrev_b64 v[8:9], v8, v[2:3]
	v_lshrrev_b32_e32 v22, 3, v7
	v_sub_u32_e32 v2, 29, v23
	v_and_b32_e32 v8, 7, v8
	v_cmp_gt_u32_e32 vcc, 8, v7
	v_mov_b32_e32 v7, 24
	v_cndmask_b32_e32 v2, v22, v2, vcc
	v_cndmask_b32_e32 v6, v6, v8, vcc
	v_lshlrev_b32_sdwa v7, v7, v36 dst_sel:DWORD dst_unused:UNUSED_PAD src0_sel:DWORD src1_sel:BYTE_3
	v_lshlrev_b32_e32 v6, 20, v6
	v_and_b32_e32 v7, 0x80000000, v7
	v_lshl_add_u32 v2, v2, 23, v50
	v_or3_b32 v6, v7, v2, v6
.LBB2_3347:                             ;   in Loop: Header=BB2_2591 Depth=2
	s_or_b64 exec, exec, s[54:55]
.LBB2_3348:                             ;   in Loop: Header=BB2_2591 Depth=2
	s_or_b64 exec, exec, s[52:53]
.LBB2_3349:                             ;   in Loop: Header=BB2_2591 Depth=2
	s_or_b64 exec, exec, s[18:19]
	v_cmp_lt_u64_e32 vcc, s[42:43], v[14:15]
	s_and_saveexec_b64 s[18:19], vcc
	s_cbranch_execz .LBB2_3355
; %bb.3350:                             ;   in Loop: Header=BB2_2591 Depth=2
	v_lshrrev_b32_e32 v2, 24, v15
	v_cmp_ne_u32_e32 vcc, s69, v2
	v_bfrev_b32_e32 v3, 1
	s_and_saveexec_b64 s[52:53], vcc
	s_cbranch_execz .LBB2_3354
; %bb.3351:                             ;   in Loop: Header=BB2_2591 Depth=2
	v_bfe_u32 v7, v15, 24, 7
	v_cmp_ne_u32_e32 vcc, s68, v7
	v_mov_b32_e32 v3, 0x7f800001
	s_and_saveexec_b64 s[54:55], vcc
	s_cbranch_execz .LBB2_3353
; %bb.3352:                             ;   in Loop: Header=BB2_2591 Depth=2
	v_and_b32_e32 v3, 7, v2
	v_ffbh_u32_e32 v8, v3
	v_min_u32_e32 v15, 32, v8
	v_subrev_u32_e32 v8, 28, v15
	v_lshlrev_b64 v[8:9], v8, v[2:3]
	v_lshrrev_b32_e32 v14, 3, v7
	v_sub_u32_e32 v9, 29, v15
	v_and_b32_e32 v8, 7, v8
	v_cmp_gt_u32_e32 vcc, 8, v7
	v_cndmask_b32_e32 v7, v14, v9, vcc
	v_cndmask_b32_e32 v3, v3, v8, vcc
	v_lshlrev_b32_e32 v2, 24, v2
	v_lshlrev_b32_e32 v3, 20, v3
	v_and_b32_e32 v2, 0x80000000, v2
	v_lshl_add_u32 v7, v7, 23, v50
	v_or3_b32 v3, v2, v7, v3
.LBB2_3353:                             ;   in Loop: Header=BB2_2591 Depth=2
	s_or_b64 exec, exec, s[54:55]
.LBB2_3354:                             ;   in Loop: Header=BB2_2591 Depth=2
	s_or_b64 exec, exec, s[52:53]
.LBB2_3355:                             ;   in Loop: Header=BB2_2591 Depth=2
	s_or_b64 exec, exec, s[18:19]
	v_add_f32_e32 v2, v6, v3
	v_and_b32_sdwa v7, v2, s69 dst_sel:DWORD dst_unused:UNUSED_PAD src0_sel:BYTE_3 src1_sel:DWORD
	v_and_b32_e32 v8, 0x7f800000, v2
	v_mov_b32_e32 v9, v37
	v_and_b32_e32 v36, 0x7fffff, v2
	v_or_b32_e32 v6, 0x7e, v7
	v_cmp_ne_u64_e32 vcc, s[38:39], v[8:9]
	s_and_saveexec_b64 s[18:19], vcc
	s_xor_b64 s[52:53], exec, s[18:19]
	s_cbranch_execz .LBB2_3365
; %bb.3356:                             ;   in Loop: Header=BB2_2591 Depth=2
	v_and_b32_e32 v8, 0x7fffffff, v2
	v_mov_b32_e32 v9, v37
	v_cmp_gt_u64_e32 vcc, s[40:41], v[8:9]
	s_and_saveexec_b64 s[54:55], vcc
	s_cbranch_execz .LBB2_3364
; %bb.3357:                             ;   in Loop: Header=BB2_2591 Depth=2
	v_cmp_ne_u32_e32 vcc, 0, v2
	v_mov_b32_e32 v6, 0
	s_and_saveexec_b64 s[56:57], vcc
	s_cbranch_execz .LBB2_3363
; %bb.3358:                             ;   in Loop: Header=BB2_2591 Depth=2
	v_bfe_u32 v2, v2, 23, 8
	v_sub_u32_e32 v6, 0x79, v2
	v_cmp_gt_u32_e32 vcc, s71, v2
	v_add_u32_e32 v3, 0xffffff81, v2
	v_cndmask_b32_e32 v6, 0, v6, vcc
	v_cmp_eq_u32_e32 vcc, 0, v2
	v_mov_b32_e32 v2, 0xffffff82
	v_cndmask_b32_e32 v9, v3, v2, vcc
	v_mov_b32_e32 v2, 0x78
	v_or_b32_e32 v8, 0x800000, v36
	v_cndmask_b32_e32 v6, v6, v2, vcc
	v_cndmask_b32_e32 v36, v8, v36, vcc
	v_add_u32_e32 v2, 20, v6
	v_lshlrev_b64 v[2:3], v2, -1
	v_add_u32_e32 v8, 19, v6
	v_lshrrev_b64 v[22:23], v6, v[36:37]
	v_not_b32_e32 v3, v3
	v_not_b32_e32 v2, v2
	v_lshlrev_b64 v[14:15], v8, 1
	v_lshrrev_b32_e32 v8, 23, v22
	v_and_b32_e32 v3, 0, v3
	v_and_b32_e32 v2, v36, v2
	v_add3_u32 v9, v6, v9, v8
	v_bfe_u32 v6, v22, 20, 1
	v_add_u32_e32 v6, -1, v6
	v_cmp_eq_u64_e32 vcc, v[2:3], v[14:15]
	v_cndmask_b32_e32 v2, 0, v6, vcc
	v_add_u32_e32 v2, v2, v22
	v_and_b32_e32 v2, 0xfffff, v2
	v_add_co_u32_e32 v2, vcc, v2, v22
	v_add_u32_e32 v8, 6, v9
	v_addc_co_u32_e32 v3, vcc, 0, v23, vcc
	v_cmp_ne_u32_e32 vcc, 0, v8
                                        ; implicit-def: $vgpr6
	s_and_saveexec_b64 s[18:19], vcc
	s_xor_b64 s[18:19], exec, s[18:19]
; %bb.3359:                             ;   in Loop: Header=BB2_2591 Depth=2
	v_add_u32_e32 v6, 7, v9
	v_cmp_lt_u64_e32 vcc, s[44:45], v[2:3]
	v_cndmask_b32_e32 v6, v8, v6, vcc
	v_cndmask_b32_e64 v8, 0, 1, vcc
	v_lshrrev_b64 v[2:3], v8, v[2:3]
; %bb.3360:                             ;   in Loop: Header=BB2_2591 Depth=2
	s_andn2_saveexec_b64 s[18:19], s[18:19]
; %bb.3361:                             ;   in Loop: Header=BB2_2591 Depth=2
	v_bfe_u32 v6, v2, 23, 1
; %bb.3362:                             ;   in Loop: Header=BB2_2591 Depth=2
	s_or_b64 exec, exec, s[18:19]
	v_lshrrev_b64 v[2:3], 20, v[2:3]
	v_cmp_gt_i32_e32 vcc, 16, v6
	v_cndmask_b32_e32 v3, 0, v3, vcc
	v_cndmask_b32_e32 v2, 7, v2, vcc
	v_cmp_eq_u64_e64 s[18:19], 0, v[2:3]
	v_min_i32_e32 v3, 15, v6
	v_lshlrev_b32_e32 v3, 3, v3
	v_cmp_eq_u32_e32 vcc, 0, v6
	v_and_b32_e32 v3, 0xf8, v3
	v_and_or_b32 v2, v2, 7, v3
	s_and_b64 s[18:19], vcc, s[18:19]
	v_cndmask_b32_e64 v2, v2, 0, s[18:19]
	v_or_b32_e32 v6, v2, v7
.LBB2_3363:                             ;   in Loop: Header=BB2_2591 Depth=2
	s_or_b64 exec, exec, s[56:57]
.LBB2_3364:                             ;   in Loop: Header=BB2_2591 Depth=2
	s_or_b64 exec, exec, s[54:55]
                                        ; implicit-def: $vgpr2
.LBB2_3365:                             ;   in Loop: Header=BB2_2591 Depth=2
	s_andn2_saveexec_b64 s[18:19], s[52:53]
; %bb.3366:                             ;   in Loop: Header=BB2_2591 Depth=2
	v_or_b32_sdwa v2, v2, s68 dst_sel:DWORD dst_unused:UNUSED_PAD src0_sel:BYTE_3 src1_sel:DWORD
	v_cmp_eq_u64_e32 vcc, 0, v[36:37]
	v_cndmask_b32_e32 v6, v2, v6, vcc
; %bb.3367:                             ;   in Loop: Header=BB2_2591 Depth=2
	s_or_b64 exec, exec, s[18:19]
	v_lshlrev_b32_e32 v7, 8, v20
	v_cmp_ne_u16_sdwa vcc, v5, v37 src0_sel:BYTE_0 src1_sel:DWORD
	v_mov_b32_e32 v2, 0
	v_mov_b32_e32 v3, 0
	s_and_saveexec_b64 s[18:19], vcc
	s_cbranch_execz .LBB2_3373
; %bb.3368:                             ;   in Loop: Header=BB2_2591 Depth=2
	v_cmp_ne_u16_sdwa vcc, v5, s69 src0_sel:BYTE_0 src1_sel:DWORD
	v_bfrev_b32_e32 v3, 1
	s_and_saveexec_b64 s[52:53], vcc
	s_cbranch_execz .LBB2_3372
; %bb.3369:                             ;   in Loop: Header=BB2_2591 Depth=2
	v_and_b32_e32 v8, 0x7f, v5
	v_cmp_ne_u32_e32 vcc, s68, v8
	v_mov_b32_e32 v3, 0x7f800001
	s_and_saveexec_b64 s[54:55], vcc
	s_cbranch_execz .LBB2_3371
; %bb.3370:                             ;   in Loop: Header=BB2_2591 Depth=2
	v_and_b32_e32 v3, 7, v5
	v_ffbh_u32_e32 v3, v3
	v_min_u32_e32 v3, 32, v3
	v_subrev_u32_e32 v15, 28, v3
	v_cmp_gt_u32_e32 vcc, 8, v8
	v_lshrrev_b32_e32 v9, 3, v8
	v_perm_b32 v14, v7, v5, s72
	v_sub_u32_e32 v3, 29, v3
	v_cndmask_b32_e32 v8, 0, v15, vcc
	v_cndmask_b32_e32 v3, v9, v3, vcc
	v_lshlrev_b64 v[8:9], v8, v[14:15]
	v_lshlrev_b32_e32 v8, 20, v8
	v_lshlrev_b32_e32 v5, 24, v5
	v_and_b32_e32 v8, 0x700000, v8
	v_and_b32_e32 v5, 0x80000000, v5
	v_lshl_add_u32 v3, v3, 23, v50
	v_or3_b32 v3, v5, v3, v8
.LBB2_3371:                             ;   in Loop: Header=BB2_2591 Depth=2
	s_or_b64 exec, exec, s[54:55]
.LBB2_3372:                             ;   in Loop: Header=BB2_2591 Depth=2
	s_or_b64 exec, exec, s[52:53]
.LBB2_3373:                             ;   in Loop: Header=BB2_2591 Depth=2
	s_or_b64 exec, exec, s[18:19]
	v_cmp_ne_u16_sdwa vcc, v16, v37 src0_sel:BYTE_0 src1_sel:DWORD
	s_and_saveexec_b64 s[18:19], vcc
	s_cbranch_execz .LBB2_3379
; %bb.3374:                             ;   in Loop: Header=BB2_2591 Depth=2
	v_cmp_ne_u16_sdwa vcc, v16, s69 src0_sel:BYTE_0 src1_sel:DWORD
	v_bfrev_b32_e32 v2, 1
	s_and_saveexec_b64 s[52:53], vcc
	s_cbranch_execz .LBB2_3378
; %bb.3375:                             ;   in Loop: Header=BB2_2591 Depth=2
	v_and_b32_e32 v5, 0x7f, v16
	v_cmp_ne_u32_e32 vcc, s68, v5
	v_mov_b32_e32 v2, 0x7f800001
	s_and_saveexec_b64 s[54:55], vcc
	s_cbranch_execz .LBB2_3377
; %bb.3376:                             ;   in Loop: Header=BB2_2591 Depth=2
	v_and_b32_e32 v2, 7, v16
	v_ffbh_u32_e32 v2, v2
	v_min_u32_e32 v2, 32, v2
	v_subrev_u32_e32 v9, 28, v2
	v_cmp_gt_u32_e32 vcc, 8, v5
	v_lshrrev_b32_e32 v8, 3, v5
	v_sub_u32_e32 v2, 29, v2
	v_cndmask_b32_e32 v5, 0, v9, vcc
	v_cndmask_b32_e32 v2, v8, v2, vcc
	v_lshlrev_b64 v[8:9], v5, v[16:17]
	v_lshlrev_b32_e32 v5, 20, v8
	v_lshlrev_b32_e32 v8, 24, v16
	v_and_b32_e32 v5, 0x700000, v5
	v_and_b32_e32 v8, 0x80000000, v8
	v_lshl_add_u32 v2, v2, 23, v50
	v_or3_b32 v2, v8, v2, v5
.LBB2_3377:                             ;   in Loop: Header=BB2_2591 Depth=2
	s_or_b64 exec, exec, s[54:55]
.LBB2_3378:                             ;   in Loop: Header=BB2_2591 Depth=2
	s_or_b64 exec, exec, s[52:53]
.LBB2_3379:                             ;   in Loop: Header=BB2_2591 Depth=2
	s_or_b64 exec, exec, s[18:19]
	v_add_f32_e32 v2, v3, v2
	v_and_b32_sdwa v8, v2, s69 dst_sel:DWORD dst_unused:UNUSED_PAD src0_sel:BYTE_3 src1_sel:DWORD
	v_and_b32_e32 v14, 0x7f800000, v2
	v_mov_b32_e32 v15, v37
	v_and_b32_e32 v36, 0x7fffff, v2
	v_or_b32_e32 v5, 0x7e, v8
	v_cmp_ne_u64_e32 vcc, s[38:39], v[14:15]
	s_and_saveexec_b64 s[18:19], vcc
	s_xor_b64 s[52:53], exec, s[18:19]
	s_cbranch_execz .LBB2_3389
; %bb.3380:                             ;   in Loop: Header=BB2_2591 Depth=2
	v_and_b32_e32 v14, 0x7fffffff, v2
	v_mov_b32_e32 v15, v37
	v_cmp_gt_u64_e32 vcc, s[40:41], v[14:15]
	s_and_saveexec_b64 s[54:55], vcc
	s_cbranch_execz .LBB2_3388
; %bb.3381:                             ;   in Loop: Header=BB2_2591 Depth=2
	v_cmp_ne_u32_e32 vcc, 0, v2
	v_mov_b32_e32 v5, 0
	s_and_saveexec_b64 s[56:57], vcc
	s_cbranch_execz .LBB2_3387
; %bb.3382:                             ;   in Loop: Header=BB2_2591 Depth=2
	v_bfe_u32 v2, v2, 23, 8
	v_sub_u32_e32 v5, 0x79, v2
	v_cmp_gt_u32_e32 vcc, s71, v2
	v_add_u32_e32 v3, 0xffffff81, v2
	v_cndmask_b32_e32 v5, 0, v5, vcc
	v_cmp_eq_u32_e32 vcc, 0, v2
	v_mov_b32_e32 v2, 0xffffff82
	v_cndmask_b32_e32 v14, v3, v2, vcc
	v_mov_b32_e32 v2, 0x78
	v_or_b32_e32 v9, 0x800000, v36
	v_cndmask_b32_e32 v5, v5, v2, vcc
	v_cndmask_b32_e32 v36, v9, v36, vcc
	v_add_u32_e32 v2, 20, v5
	v_lshlrev_b64 v[2:3], v2, -1
	v_add_u32_e32 v9, 19, v5
	v_lshrrev_b64 v[50:51], v5, v[36:37]
	v_not_b32_e32 v3, v3
	v_not_b32_e32 v2, v2
	v_lshlrev_b64 v[22:23], v9, 1
	v_lshrrev_b32_e32 v9, 23, v50
	v_and_b32_e32 v3, 0, v3
	v_and_b32_e32 v2, v36, v2
	v_add3_u32 v14, v5, v14, v9
	v_bfe_u32 v5, v50, 20, 1
	v_add_u32_e32 v5, -1, v5
	v_cmp_eq_u64_e32 vcc, v[2:3], v[22:23]
	v_cndmask_b32_e32 v2, 0, v5, vcc
	v_add_u32_e32 v2, v2, v50
	v_and_b32_e32 v2, 0xfffff, v2
	v_add_co_u32_e32 v2, vcc, v2, v50
	v_add_u32_e32 v9, 6, v14
	v_addc_co_u32_e32 v3, vcc, 0, v51, vcc
	v_cmp_ne_u32_e32 vcc, 0, v9
                                        ; implicit-def: $vgpr5
	s_and_saveexec_b64 s[18:19], vcc
	s_xor_b64 s[18:19], exec, s[18:19]
; %bb.3383:                             ;   in Loop: Header=BB2_2591 Depth=2
	v_add_u32_e32 v5, 7, v14
	v_cmp_lt_u64_e32 vcc, s[44:45], v[2:3]
	v_cndmask_b32_e32 v5, v9, v5, vcc
	v_cndmask_b32_e64 v9, 0, 1, vcc
	v_lshrrev_b64 v[2:3], v9, v[2:3]
; %bb.3384:                             ;   in Loop: Header=BB2_2591 Depth=2
	s_andn2_saveexec_b64 s[18:19], s[18:19]
; %bb.3385:                             ;   in Loop: Header=BB2_2591 Depth=2
	v_bfe_u32 v5, v2, 23, 1
; %bb.3386:                             ;   in Loop: Header=BB2_2591 Depth=2
	s_or_b64 exec, exec, s[18:19]
	v_lshrrev_b64 v[2:3], 20, v[2:3]
	v_cmp_gt_i32_e32 vcc, 16, v5
	v_cndmask_b32_e32 v3, 0, v3, vcc
	v_cndmask_b32_e32 v2, 7, v2, vcc
	v_cmp_eq_u64_e64 s[18:19], 0, v[2:3]
	v_min_i32_e32 v3, 15, v5
	v_cmp_eq_u32_e32 vcc, 0, v5
	v_lshlrev_b32_e32 v3, 3, v3
	v_and_or_b32 v2, v2, 7, v3
	s_and_b64 s[18:19], vcc, s[18:19]
	v_cndmask_b32_e64 v2, v2, 0, s[18:19]
	v_or_b32_e32 v5, v2, v8
	v_bfrev_b32_e32 v50, 60
.LBB2_3387:                             ;   in Loop: Header=BB2_2591 Depth=2
	s_or_b64 exec, exec, s[56:57]
.LBB2_3388:                             ;   in Loop: Header=BB2_2591 Depth=2
	s_or_b64 exec, exec, s[54:55]
                                        ; implicit-def: $vgpr2
.LBB2_3389:                             ;   in Loop: Header=BB2_2591 Depth=2
	s_andn2_saveexec_b64 s[18:19], s[52:53]
; %bb.3390:                             ;   in Loop: Header=BB2_2591 Depth=2
	v_or_b32_sdwa v2, v2, s68 dst_sel:DWORD dst_unused:UNUSED_PAD src0_sel:BYTE_3 src1_sel:DWORD
	v_cmp_eq_u64_e32 vcc, 0, v[36:37]
	v_cndmask_b32_e32 v5, v2, v5, vcc
; %bb.3391:                             ;   in Loop: Header=BB2_2591 Depth=2
	s_or_b64 exec, exec, s[18:19]
	v_lshrrev_b16_e32 v2, 8, v7
	v_cmp_ne_u16_e32 vcc, 0, v2
	v_mov_b32_e32 v3, 0
	v_mov_b32_e32 v8, 0
	s_and_saveexec_b64 s[18:19], vcc
	s_cbranch_execz .LBB2_3397
; %bb.3392:                             ;   in Loop: Header=BB2_2591 Depth=2
	v_cmp_ne_u16_e32 vcc, s69, v2
	v_bfrev_b32_e32 v8, 1
	s_and_saveexec_b64 s[52:53], vcc
	s_cbranch_execz .LBB2_3396
; %bb.3393:                             ;   in Loop: Header=BB2_2591 Depth=2
	v_and_b32_e32 v9, 0x7f, v2
	v_cmp_ne_u32_e32 vcc, s68, v9
	v_mov_b32_e32 v8, 0x7f800001
	s_and_saveexec_b64 s[54:55], vcc
	s_cbranch_execz .LBB2_3395
; %bb.3394:                             ;   in Loop: Header=BB2_2591 Depth=2
	v_and_b32_e32 v8, 7, v2
	v_ffbh_u32_e32 v14, v8
	v_min_u32_e32 v22, 32, v14
	v_subrev_u32_e32 v14, 28, v22
	v_lshlrev_b64 v[14:15], v14, v[2:3]
	v_lshrrev_b32_e32 v20, 3, v9
	v_sub_u32_e32 v2, 29, v22
	v_and_b32_e32 v14, 7, v14
	v_cmp_gt_u32_e32 vcc, 8, v9
	v_cndmask_b32_e32 v2, v20, v2, vcc
	v_cndmask_b32_e32 v8, v8, v14, vcc
	v_lshlrev_b32_e32 v7, 16, v7
	v_lshlrev_b32_e32 v8, 20, v8
	v_and_b32_e32 v7, 0x80000000, v7
	v_lshl_add_u32 v2, v2, 23, v50
	v_or3_b32 v8, v7, v2, v8
.LBB2_3395:                             ;   in Loop: Header=BB2_2591 Depth=2
	s_or_b64 exec, exec, s[54:55]
.LBB2_3396:                             ;   in Loop: Header=BB2_2591 Depth=2
	s_or_b64 exec, exec, s[52:53]
.LBB2_3397:                             ;   in Loop: Header=BB2_2591 Depth=2
	s_or_b64 exec, exec, s[18:19]
	v_lshrrev_b16_e32 v2, 8, v16
	v_cmp_ne_u16_e32 vcc, 0, v2
	s_and_saveexec_b64 s[18:19], vcc
	s_cbranch_execz .LBB2_3403
; %bb.3398:                             ;   in Loop: Header=BB2_2591 Depth=2
	v_cmp_ne_u16_e32 vcc, s69, v2
	v_bfrev_b32_e32 v3, 1
	s_and_saveexec_b64 s[52:53], vcc
	s_cbranch_execz .LBB2_3402
; %bb.3399:                             ;   in Loop: Header=BB2_2591 Depth=2
	v_and_b32_e32 v7, 0x7f, v2
	v_cmp_ne_u32_e32 vcc, s68, v7
	v_mov_b32_e32 v3, 0x7f800001
	s_and_saveexec_b64 s[54:55], vcc
	s_cbranch_execz .LBB2_3401
; %bb.3400:                             ;   in Loop: Header=BB2_2591 Depth=2
	v_and_b32_e32 v9, 7, v2
	v_ffbh_u32_e32 v3, v9
	v_min_u32_e32 v15, 32, v3
	v_subrev_u32_e32 v3, 28, v15
	v_lshlrev_b64 v[2:3], v3, v[2:3]
	v_lshrrev_b32_e32 v14, 3, v7
	v_sub_u32_e32 v3, 29, v15
	v_and_b32_e32 v2, 7, v2
	v_cmp_gt_u32_e32 vcc, 8, v7
	v_cndmask_b32_e32 v3, v14, v3, vcc
	v_cndmask_b32_e32 v2, v9, v2, vcc
	v_lshlrev_b32_e32 v7, 16, v16
	v_lshlrev_b32_e32 v2, 20, v2
	v_and_b32_e32 v7, 0x80000000, v7
	v_lshl_add_u32 v3, v3, 23, v50
	v_or3_b32 v3, v7, v3, v2
.LBB2_3401:                             ;   in Loop: Header=BB2_2591 Depth=2
	s_or_b64 exec, exec, s[54:55]
.LBB2_3402:                             ;   in Loop: Header=BB2_2591 Depth=2
	s_or_b64 exec, exec, s[52:53]
.LBB2_3403:                             ;   in Loop: Header=BB2_2591 Depth=2
	s_or_b64 exec, exec, s[18:19]
	v_add_f32_e32 v2, v8, v3
	v_and_b32_sdwa v8, v2, s69 dst_sel:DWORD dst_unused:UNUSED_PAD src0_sel:BYTE_3 src1_sel:DWORD
	v_and_b32_e32 v14, 0x7f800000, v2
	v_mov_b32_e32 v15, v37
	v_and_b32_e32 v36, 0x7fffff, v2
	v_or_b32_e32 v7, 0x7e, v8
	v_cmp_ne_u64_e32 vcc, s[38:39], v[14:15]
	s_and_saveexec_b64 s[18:19], vcc
	s_xor_b64 s[52:53], exec, s[18:19]
	s_cbranch_execz .LBB2_3413
; %bb.3404:                             ;   in Loop: Header=BB2_2591 Depth=2
	v_and_b32_e32 v14, 0x7fffffff, v2
	v_mov_b32_e32 v15, v37
	v_cmp_gt_u64_e32 vcc, s[40:41], v[14:15]
	s_and_saveexec_b64 s[54:55], vcc
	s_cbranch_execz .LBB2_3412
; %bb.3405:                             ;   in Loop: Header=BB2_2591 Depth=2
	v_cmp_ne_u32_e32 vcc, 0, v2
	v_mov_b32_e32 v7, 0
	s_and_saveexec_b64 s[56:57], vcc
	s_cbranch_execz .LBB2_3411
; %bb.3406:                             ;   in Loop: Header=BB2_2591 Depth=2
	v_bfe_u32 v2, v2, 23, 8
	v_sub_u32_e32 v7, 0x79, v2
	v_cmp_gt_u32_e32 vcc, s71, v2
	v_add_u32_e32 v3, 0xffffff81, v2
	v_cndmask_b32_e32 v7, 0, v7, vcc
	v_cmp_eq_u32_e32 vcc, 0, v2
	v_mov_b32_e32 v2, 0xffffff82
	v_cndmask_b32_e32 v14, v3, v2, vcc
	v_mov_b32_e32 v2, 0x78
	v_or_b32_e32 v9, 0x800000, v36
	v_cndmask_b32_e32 v7, v7, v2, vcc
	v_cndmask_b32_e32 v36, v9, v36, vcc
	v_add_u32_e32 v2, 20, v7
	v_lshlrev_b64 v[2:3], v2, -1
	v_add_u32_e32 v9, 19, v7
	v_lshrrev_b64 v[50:51], v7, v[36:37]
	v_not_b32_e32 v3, v3
	v_not_b32_e32 v2, v2
	v_lshlrev_b64 v[22:23], v9, 1
	v_lshrrev_b32_e32 v9, 23, v50
	v_and_b32_e32 v3, 0, v3
	v_and_b32_e32 v2, v36, v2
	v_add3_u32 v14, v7, v14, v9
	v_bfe_u32 v7, v50, 20, 1
	v_add_u32_e32 v7, -1, v7
	v_cmp_eq_u64_e32 vcc, v[2:3], v[22:23]
	v_cndmask_b32_e32 v2, 0, v7, vcc
	v_add_u32_e32 v2, v2, v50
	v_and_b32_e32 v2, 0xfffff, v2
	v_add_co_u32_e32 v2, vcc, v2, v50
	v_add_u32_e32 v9, 6, v14
	v_addc_co_u32_e32 v3, vcc, 0, v51, vcc
	v_cmp_ne_u32_e32 vcc, 0, v9
                                        ; implicit-def: $vgpr7
	s_and_saveexec_b64 s[18:19], vcc
	s_xor_b64 s[18:19], exec, s[18:19]
; %bb.3407:                             ;   in Loop: Header=BB2_2591 Depth=2
	v_add_u32_e32 v7, 7, v14
	v_cmp_lt_u64_e32 vcc, s[44:45], v[2:3]
	v_cndmask_b32_e32 v7, v9, v7, vcc
	v_cndmask_b32_e64 v9, 0, 1, vcc
	v_lshrrev_b64 v[2:3], v9, v[2:3]
; %bb.3408:                             ;   in Loop: Header=BB2_2591 Depth=2
	s_andn2_saveexec_b64 s[18:19], s[18:19]
; %bb.3409:                             ;   in Loop: Header=BB2_2591 Depth=2
	v_bfe_u32 v7, v2, 23, 1
; %bb.3410:                             ;   in Loop: Header=BB2_2591 Depth=2
	s_or_b64 exec, exec, s[18:19]
	v_lshrrev_b64 v[2:3], 20, v[2:3]
	v_cmp_gt_i32_e32 vcc, 16, v7
	v_cndmask_b32_e32 v3, 0, v3, vcc
	v_cndmask_b32_e32 v2, 7, v2, vcc
	v_cmp_eq_u64_e64 s[18:19], 0, v[2:3]
	v_min_i32_e32 v3, 15, v7
	v_cmp_eq_u32_e32 vcc, 0, v7
	v_lshlrev_b32_e32 v3, 3, v3
	v_and_or_b32 v2, v2, 7, v3
	s_and_b64 s[18:19], vcc, s[18:19]
	v_cndmask_b32_e64 v2, v2, 0, s[18:19]
	v_or_b32_e32 v7, v2, v8
	v_bfrev_b32_e32 v50, 60
.LBB2_3411:                             ;   in Loop: Header=BB2_2591 Depth=2
	s_or_b64 exec, exec, s[56:57]
.LBB2_3412:                             ;   in Loop: Header=BB2_2591 Depth=2
	s_or_b64 exec, exec, s[54:55]
                                        ; implicit-def: $vgpr2
.LBB2_3413:                             ;   in Loop: Header=BB2_2591 Depth=2
	s_andn2_saveexec_b64 s[18:19], s[52:53]
; %bb.3414:                             ;   in Loop: Header=BB2_2591 Depth=2
	v_or_b32_sdwa v2, v2, s68 dst_sel:DWORD dst_unused:UNUSED_PAD src0_sel:BYTE_3 src1_sel:DWORD
	v_cmp_eq_u64_e32 vcc, 0, v[36:37]
	v_cndmask_b32_e32 v7, v2, v7, vcc
; %bb.3415:                             ;   in Loop: Header=BB2_2591 Depth=2
	s_or_b64 exec, exec, s[18:19]
	v_cmp_ne_u16_sdwa vcc, v58, v37 src0_sel:BYTE_0 src1_sel:DWORD
	v_mov_b32_e32 v3, 0
	v_mov_b32_e32 v8, 0
	s_and_saveexec_b64 s[18:19], vcc
	s_cbranch_execz .LBB2_3421
; %bb.3416:                             ;   in Loop: Header=BB2_2591 Depth=2
	v_cmp_ne_u16_sdwa vcc, v58, s69 src0_sel:BYTE_0 src1_sel:DWORD
	v_bfrev_b32_e32 v8, 1
	s_and_saveexec_b64 s[52:53], vcc
	s_cbranch_execz .LBB2_3420
; %bb.3417:                             ;   in Loop: Header=BB2_2591 Depth=2
	v_and_b32_e32 v2, 0x7f, v58
	v_cmp_ne_u32_e32 vcc, s68, v2
	v_mov_b32_e32 v8, 0x7f800001
	s_and_saveexec_b64 s[54:55], vcc
	s_cbranch_execz .LBB2_3419
; %bb.3418:                             ;   in Loop: Header=BB2_2591 Depth=2
	v_and_b32_e32 v14, 7, v58
	v_ffbh_u32_e32 v8, v14
	v_min_u32_e32 v20, 32, v8
	v_subrev_u32_e32 v8, 28, v20
	v_lshlrev_b64 v[8:9], v8, v[58:59]
	v_lshrrev_b32_e32 v15, 3, v2
	v_sub_u32_e32 v9, 29, v20
	v_and_b32_e32 v8, 7, v8
	v_cmp_gt_u32_e32 vcc, 8, v2
	v_cndmask_b32_e32 v2, v15, v9, vcc
	v_cndmask_b32_e32 v8, v14, v8, vcc
	v_lshlrev_b32_e32 v9, 24, v58
	v_lshlrev_b32_e32 v8, 20, v8
	v_and_b32_e32 v9, 0x80000000, v9
	v_lshl_add_u32 v2, v2, 23, v50
	v_or3_b32 v8, v9, v2, v8
.LBB2_3419:                             ;   in Loop: Header=BB2_2591 Depth=2
	s_or_b64 exec, exec, s[54:55]
.LBB2_3420:                             ;   in Loop: Header=BB2_2591 Depth=2
	s_or_b64 exec, exec, s[52:53]
.LBB2_3421:                             ;   in Loop: Header=BB2_2591 Depth=2
	s_or_b64 exec, exec, s[18:19]
	v_lshrrev_b32_e32 v2, 16, v16
	v_cmp_ne_u16_sdwa vcc, v2, v37 src0_sel:BYTE_0 src1_sel:DWORD
	s_and_saveexec_b64 s[18:19], vcc
	s_cbranch_execz .LBB2_3427
; %bb.3422:                             ;   in Loop: Header=BB2_2591 Depth=2
	v_cmp_ne_u16_sdwa vcc, v2, s69 src0_sel:BYTE_0 src1_sel:DWORD
	v_bfrev_b32_e32 v3, 1
	s_and_saveexec_b64 s[52:53], vcc
	s_cbranch_execz .LBB2_3426
; %bb.3423:                             ;   in Loop: Header=BB2_2591 Depth=2
	v_bfe_u32 v9, v16, 16, 7
	v_cmp_ne_u32_e32 vcc, s68, v9
	v_mov_b32_e32 v3, 0x7f800001
	s_and_saveexec_b64 s[54:55], vcc
	s_cbranch_execz .LBB2_3425
; %bb.3424:                             ;   in Loop: Header=BB2_2591 Depth=2
	v_and_b32_e32 v14, 7, v2
	v_ffbh_u32_e32 v3, v14
	v_min_u32_e32 v20, 32, v3
	v_subrev_u32_e32 v3, 28, v20
	v_lshlrev_b64 v[2:3], v3, v[2:3]
	v_lshrrev_b32_e32 v15, 3, v9
	v_sub_u32_e32 v3, 29, v20
	v_and_b32_e32 v2, 7, v2
	v_cmp_gt_u32_e32 vcc, 8, v9
	v_cndmask_b32_e32 v3, v15, v3, vcc
	v_cndmask_b32_e32 v2, v14, v2, vcc
	v_lshlrev_b32_e32 v9, 8, v16
	v_lshlrev_b32_e32 v2, 20, v2
	v_and_b32_e32 v9, 0x80000000, v9
	v_lshl_add_u32 v3, v3, 23, v50
	v_or3_b32 v3, v9, v3, v2
.LBB2_3425:                             ;   in Loop: Header=BB2_2591 Depth=2
	s_or_b64 exec, exec, s[54:55]
.LBB2_3426:                             ;   in Loop: Header=BB2_2591 Depth=2
	s_or_b64 exec, exec, s[52:53]
.LBB2_3427:                             ;   in Loop: Header=BB2_2591 Depth=2
	s_or_b64 exec, exec, s[18:19]
	v_add_f32_e32 v2, v8, v3
	v_and_b32_sdwa v9, v2, s69 dst_sel:DWORD dst_unused:UNUSED_PAD src0_sel:BYTE_3 src1_sel:DWORD
	v_and_b32_e32 v14, 0x7f800000, v2
	v_mov_b32_e32 v15, v37
	v_and_b32_e32 v36, 0x7fffff, v2
	v_or_b32_e32 v8, 0x7e, v9
	v_cmp_ne_u64_e32 vcc, s[38:39], v[14:15]
	s_and_saveexec_b64 s[18:19], vcc
	s_xor_b64 s[52:53], exec, s[18:19]
	s_cbranch_execz .LBB2_3437
; %bb.3428:                             ;   in Loop: Header=BB2_2591 Depth=2
	v_and_b32_e32 v14, 0x7fffffff, v2
	v_mov_b32_e32 v15, v37
	v_cmp_gt_u64_e32 vcc, s[40:41], v[14:15]
	s_and_saveexec_b64 s[54:55], vcc
	s_cbranch_execz .LBB2_3436
; %bb.3429:                             ;   in Loop: Header=BB2_2591 Depth=2
	v_cmp_ne_u32_e32 vcc, 0, v2
	v_mov_b32_e32 v8, 0
	s_and_saveexec_b64 s[56:57], vcc
	s_cbranch_execz .LBB2_3435
; %bb.3430:                             ;   in Loop: Header=BB2_2591 Depth=2
	v_bfe_u32 v2, v2, 23, 8
	v_sub_u32_e32 v8, 0x79, v2
	v_cmp_gt_u32_e32 vcc, s71, v2
	v_add_u32_e32 v3, 0xffffff81, v2
	v_cndmask_b32_e32 v8, 0, v8, vcc
	v_cmp_eq_u32_e32 vcc, 0, v2
	v_mov_b32_e32 v2, 0xffffff82
	v_cndmask_b32_e32 v15, v3, v2, vcc
	v_mov_b32_e32 v2, 0x78
	v_or_b32_e32 v14, 0x800000, v36
	v_cndmask_b32_e32 v8, v8, v2, vcc
	v_cndmask_b32_e32 v36, v14, v36, vcc
	v_add_u32_e32 v2, 20, v8
	v_lshlrev_b64 v[2:3], v2, -1
	v_add_u32_e32 v14, 19, v8
	v_lshrrev_b64 v[50:51], v8, v[36:37]
	v_not_b32_e32 v3, v3
	v_not_b32_e32 v2, v2
	v_lshlrev_b64 v[22:23], v14, 1
	v_lshrrev_b32_e32 v14, 23, v50
	v_and_b32_e32 v3, 0, v3
	v_and_b32_e32 v2, v36, v2
	v_add3_u32 v15, v8, v15, v14
	v_bfe_u32 v8, v50, 20, 1
	v_add_u32_e32 v8, -1, v8
	v_cmp_eq_u64_e32 vcc, v[2:3], v[22:23]
	v_cndmask_b32_e32 v2, 0, v8, vcc
	v_add_u32_e32 v2, v2, v50
	v_and_b32_e32 v2, 0xfffff, v2
	v_add_co_u32_e32 v2, vcc, v2, v50
	v_add_u32_e32 v14, 6, v15
	v_addc_co_u32_e32 v3, vcc, 0, v51, vcc
	v_cmp_ne_u32_e32 vcc, 0, v14
                                        ; implicit-def: $vgpr8
	s_and_saveexec_b64 s[18:19], vcc
	s_xor_b64 s[18:19], exec, s[18:19]
; %bb.3431:                             ;   in Loop: Header=BB2_2591 Depth=2
	v_add_u32_e32 v8, 7, v15
	v_cmp_lt_u64_e32 vcc, s[44:45], v[2:3]
	v_cndmask_b32_e32 v8, v14, v8, vcc
	v_cndmask_b32_e64 v14, 0, 1, vcc
	v_lshrrev_b64 v[2:3], v14, v[2:3]
; %bb.3432:                             ;   in Loop: Header=BB2_2591 Depth=2
	s_andn2_saveexec_b64 s[18:19], s[18:19]
; %bb.3433:                             ;   in Loop: Header=BB2_2591 Depth=2
	v_bfe_u32 v8, v2, 23, 1
; %bb.3434:                             ;   in Loop: Header=BB2_2591 Depth=2
	s_or_b64 exec, exec, s[18:19]
	v_lshrrev_b64 v[2:3], 20, v[2:3]
	v_cmp_gt_i32_e32 vcc, 16, v8
	v_cndmask_b32_e32 v3, 0, v3, vcc
	v_cndmask_b32_e32 v2, 7, v2, vcc
	v_cmp_eq_u64_e64 s[18:19], 0, v[2:3]
	v_min_i32_e32 v3, 15, v8
	v_cmp_eq_u32_e32 vcc, 0, v8
	v_lshlrev_b32_e32 v3, 3, v3
	v_and_or_b32 v2, v2, 7, v3
	s_and_b64 s[18:19], vcc, s[18:19]
	v_cndmask_b32_e64 v2, v2, 0, s[18:19]
	v_or_b32_e32 v8, v2, v9
	v_bfrev_b32_e32 v50, 60
.LBB2_3435:                             ;   in Loop: Header=BB2_2591 Depth=2
	s_or_b64 exec, exec, s[56:57]
.LBB2_3436:                             ;   in Loop: Header=BB2_2591 Depth=2
	s_or_b64 exec, exec, s[54:55]
                                        ; implicit-def: $vgpr2
.LBB2_3437:                             ;   in Loop: Header=BB2_2591 Depth=2
	s_andn2_saveexec_b64 s[18:19], s[52:53]
; %bb.3438:                             ;   in Loop: Header=BB2_2591 Depth=2
	v_or_b32_sdwa v2, v2, s68 dst_sel:DWORD dst_unused:UNUSED_PAD src0_sel:BYTE_3 src1_sel:DWORD
	v_cmp_eq_u64_e32 vcc, 0, v[36:37]
	v_cndmask_b32_e32 v8, v2, v8, vcc
; %bb.3439:                             ;   in Loop: Header=BB2_2591 Depth=2
	s_or_b64 exec, exec, s[18:19]
	v_lshlrev_b32_e32 v2, 8, v4
	v_and_b32_e32 v2, 0xff00, v2
	v_cmp_ne_u32_e32 vcc, 0, v2
	v_mov_b32_e32 v3, 0
	v_mov_b32_e32 v4, 0
	s_and_saveexec_b64 s[18:19], vcc
	s_cbranch_execz .LBB2_3445
; %bb.3440:                             ;   in Loop: Header=BB2_2591 Depth=2
	v_cmp_ne_u32_e32 vcc, s73, v2
	v_bfrev_b32_e32 v4, 1
	s_and_saveexec_b64 s[52:53], vcc
	s_cbranch_execz .LBB2_3444
; %bb.3441:                             ;   in Loop: Header=BB2_2591 Depth=2
	v_bfe_u32 v9, v2, 8, 7
	v_cmp_ne_u32_e32 vcc, s68, v9
	v_mov_b32_e32 v4, 0x7f800001
	s_and_saveexec_b64 s[54:55], vcc
	s_cbranch_execz .LBB2_3443
; %bb.3442:                             ;   in Loop: Header=BB2_2591 Depth=2
	v_lshrrev_b32_e32 v4, 8, v2
	v_and_b32_e32 v20, 7, v4
	v_ffbh_u32_e32 v14, v20
	v_min_u32_e32 v23, 32, v14
	v_subrev_u32_e32 v14, 28, v23
	v_lshlrev_b64 v[14:15], v14, v[4:5]
	v_lshrrev_b32_e32 v22, 3, v9
	v_sub_u32_e32 v4, 29, v23
	v_and_b32_e32 v14, 7, v14
	v_cmp_gt_u32_e32 vcc, 8, v9
	v_cndmask_b32_e32 v4, v22, v4, vcc
	v_cndmask_b32_e32 v9, v20, v14, vcc
	v_lshlrev_b32_e32 v2, 16, v2
	v_lshlrev_b32_e32 v9, 20, v9
	v_and_b32_e32 v2, 0x80000000, v2
	v_lshl_add_u32 v4, v4, 23, v50
	v_or3_b32 v4, v2, v4, v9
.LBB2_3443:                             ;   in Loop: Header=BB2_2591 Depth=2
	s_or_b64 exec, exec, s[54:55]
.LBB2_3444:                             ;   in Loop: Header=BB2_2591 Depth=2
	s_or_b64 exec, exec, s[52:53]
.LBB2_3445:                             ;   in Loop: Header=BB2_2591 Depth=2
	s_or_b64 exec, exec, s[18:19]
	v_cmp_lt_u32_e32 vcc, s43, v16
	s_and_saveexec_b64 s[18:19], vcc
	s_cbranch_execz .LBB2_3451
; %bb.3446:                             ;   in Loop: Header=BB2_2591 Depth=2
	v_lshrrev_b32_e32 v2, 24, v16
	v_cmp_ne_u32_e32 vcc, s69, v2
	v_bfrev_b32_e32 v3, 1
	s_and_saveexec_b64 s[52:53], vcc
	s_cbranch_execz .LBB2_3450
; %bb.3447:                             ;   in Loop: Header=BB2_2591 Depth=2
	v_bfe_u32 v9, v16, 24, 7
	v_cmp_ne_u32_e32 vcc, s68, v9
	v_mov_b32_e32 v3, 0x7f800001
	s_and_saveexec_b64 s[54:55], vcc
	s_cbranch_execz .LBB2_3449
; %bb.3448:                             ;   in Loop: Header=BB2_2591 Depth=2
	v_and_b32_e32 v3, 7, v2
	v_ffbh_u32_e32 v14, v3
	v_min_u32_e32 v22, 32, v14
	v_subrev_u32_e32 v14, 28, v22
	v_lshlrev_b64 v[14:15], v14, v[2:3]
	v_lshrrev_b32_e32 v20, 3, v9
	v_sub_u32_e32 v15, 29, v22
	v_and_b32_e32 v14, 7, v14
	v_cmp_gt_u32_e32 vcc, 8, v9
	v_cndmask_b32_e32 v9, v20, v15, vcc
	v_cndmask_b32_e32 v3, v3, v14, vcc
	v_lshlrev_b32_e32 v2, 24, v2
	v_lshlrev_b32_e32 v3, 20, v3
	v_and_b32_e32 v2, 0x80000000, v2
	v_lshl_add_u32 v9, v9, 23, v50
	v_or3_b32 v3, v2, v9, v3
.LBB2_3449:                             ;   in Loop: Header=BB2_2591 Depth=2
	s_or_b64 exec, exec, s[54:55]
.LBB2_3450:                             ;   in Loop: Header=BB2_2591 Depth=2
	s_or_b64 exec, exec, s[52:53]
.LBB2_3451:                             ;   in Loop: Header=BB2_2591 Depth=2
	s_or_b64 exec, exec, s[18:19]
	v_add_f32_e32 v2, v4, v3
	v_and_b32_sdwa v9, v2, s69 dst_sel:DWORD dst_unused:UNUSED_PAD src0_sel:BYTE_3 src1_sel:DWORD
	v_and_b32_e32 v14, 0x7f800000, v2
	v_mov_b32_e32 v15, v37
	v_and_b32_e32 v36, 0x7fffff, v2
	v_or_b32_e32 v4, 0x7e, v9
	v_cmp_ne_u64_e32 vcc, s[38:39], v[14:15]
	s_and_saveexec_b64 s[18:19], vcc
	s_xor_b64 s[52:53], exec, s[18:19]
	s_cbranch_execz .LBB2_3461
; %bb.3452:                             ;   in Loop: Header=BB2_2591 Depth=2
	v_and_b32_e32 v14, 0x7fffffff, v2
	v_mov_b32_e32 v15, v37
	v_cmp_gt_u64_e32 vcc, s[40:41], v[14:15]
	s_and_saveexec_b64 s[54:55], vcc
	s_cbranch_execz .LBB2_3460
; %bb.3453:                             ;   in Loop: Header=BB2_2591 Depth=2
	v_cmp_ne_u32_e32 vcc, 0, v2
	v_mov_b32_e32 v4, 0
	s_and_saveexec_b64 s[56:57], vcc
	s_cbranch_execz .LBB2_3459
; %bb.3454:                             ;   in Loop: Header=BB2_2591 Depth=2
	v_bfe_u32 v2, v2, 23, 8
	v_sub_u32_e32 v4, 0x79, v2
	v_cmp_gt_u32_e32 vcc, s71, v2
	v_add_u32_e32 v3, 0xffffff81, v2
	v_cndmask_b32_e32 v4, 0, v4, vcc
	v_cmp_eq_u32_e32 vcc, 0, v2
	v_mov_b32_e32 v2, 0xffffff82
	v_cndmask_b32_e32 v15, v3, v2, vcc
	v_mov_b32_e32 v2, 0x78
	v_or_b32_e32 v14, 0x800000, v36
	v_cndmask_b32_e32 v4, v4, v2, vcc
	v_cndmask_b32_e32 v36, v14, v36, vcc
	v_add_u32_e32 v2, 20, v4
	v_lshlrev_b64 v[2:3], v2, -1
	v_add_u32_e32 v14, 19, v4
	v_lshrrev_b64 v[50:51], v4, v[36:37]
	v_not_b32_e32 v3, v3
	v_not_b32_e32 v2, v2
	v_lshlrev_b64 v[22:23], v14, 1
	v_lshrrev_b32_e32 v14, 23, v50
	v_and_b32_e32 v3, 0, v3
	v_and_b32_e32 v2, v36, v2
	v_add3_u32 v15, v4, v15, v14
	v_bfe_u32 v4, v50, 20, 1
	v_add_u32_e32 v4, -1, v4
	v_cmp_eq_u64_e32 vcc, v[2:3], v[22:23]
	v_cndmask_b32_e32 v2, 0, v4, vcc
	v_add_u32_e32 v2, v2, v50
	v_and_b32_e32 v2, 0xfffff, v2
	v_add_co_u32_e32 v2, vcc, v2, v50
	v_add_u32_e32 v14, 6, v15
	v_addc_co_u32_e32 v3, vcc, 0, v51, vcc
	v_cmp_ne_u32_e32 vcc, 0, v14
                                        ; implicit-def: $vgpr4
	s_and_saveexec_b64 s[18:19], vcc
	s_xor_b64 s[18:19], exec, s[18:19]
; %bb.3455:                             ;   in Loop: Header=BB2_2591 Depth=2
	v_add_u32_e32 v4, 7, v15
	v_cmp_lt_u64_e32 vcc, s[44:45], v[2:3]
	v_cndmask_b32_e32 v4, v14, v4, vcc
	v_cndmask_b32_e64 v14, 0, 1, vcc
	v_lshrrev_b64 v[2:3], v14, v[2:3]
; %bb.3456:                             ;   in Loop: Header=BB2_2591 Depth=2
	s_andn2_saveexec_b64 s[18:19], s[18:19]
; %bb.3457:                             ;   in Loop: Header=BB2_2591 Depth=2
	v_bfe_u32 v4, v2, 23, 1
; %bb.3458:                             ;   in Loop: Header=BB2_2591 Depth=2
	s_or_b64 exec, exec, s[18:19]
	v_lshrrev_b64 v[2:3], 20, v[2:3]
	v_cmp_gt_i32_e32 vcc, 16, v4
	v_cndmask_b32_e32 v3, 0, v3, vcc
	v_cndmask_b32_e32 v2, 7, v2, vcc
	v_cmp_eq_u64_e64 s[18:19], 0, v[2:3]
	v_min_i32_e32 v3, 15, v4
	v_cmp_eq_u32_e32 vcc, 0, v4
	v_lshlrev_b32_e32 v3, 3, v3
	v_and_or_b32 v2, v2, 7, v3
	s_and_b64 s[18:19], vcc, s[18:19]
	v_cndmask_b32_e64 v2, v2, 0, s[18:19]
	v_or_b32_e32 v4, v2, v9
	v_bfrev_b32_e32 v50, 60
.LBB2_3459:                             ;   in Loop: Header=BB2_2591 Depth=2
	s_or_b64 exec, exec, s[56:57]
.LBB2_3460:                             ;   in Loop: Header=BB2_2591 Depth=2
	s_or_b64 exec, exec, s[54:55]
                                        ; implicit-def: $vgpr2
.LBB2_3461:                             ;   in Loop: Header=BB2_2591 Depth=2
	s_andn2_saveexec_b64 s[18:19], s[52:53]
; %bb.3462:                             ;   in Loop: Header=BB2_2591 Depth=2
	v_or_b32_sdwa v2, v2, s68 dst_sel:DWORD dst_unused:UNUSED_PAD src0_sel:BYTE_3 src1_sel:DWORD
	v_cmp_eq_u64_e32 vcc, 0, v[36:37]
	v_cndmask_b32_e32 v4, v2, v4, vcc
; %bb.3463:                             ;   in Loop: Header=BB2_2591 Depth=2
	s_or_b64 exec, exec, s[18:19]
	v_lshlrev_b32_e32 v14, 8, v33
	v_lshlrev_b32_e32 v2, 24, v18
	v_perm_b32 v3, v62, v31, s74
	v_or3_b32 v36, v3, v2, v14
	v_cmp_ne_u16_sdwa vcc, v31, v37 src0_sel:BYTE_0 src1_sel:DWORD
	v_mov_b32_e32 v3, 0
	v_mov_b32_e32 v2, 0
	s_and_saveexec_b64 s[18:19], vcc
	s_cbranch_execz .LBB2_3469
; %bb.3464:                             ;   in Loop: Header=BB2_2591 Depth=2
	v_cmp_ne_u16_sdwa vcc, v31, s69 src0_sel:BYTE_0 src1_sel:DWORD
	v_bfrev_b32_e32 v2, 1
	s_and_saveexec_b64 s[52:53], vcc
	s_cbranch_execz .LBB2_3468
; %bb.3465:                             ;   in Loop: Header=BB2_2591 Depth=2
	v_and_b32_e32 v9, 0x7f, v31
	v_cmp_ne_u32_e32 vcc, s68, v9
	v_mov_b32_e32 v2, 0x7f800001
	s_and_saveexec_b64 s[54:55], vcc
	s_cbranch_execz .LBB2_3467
; %bb.3466:                             ;   in Loop: Header=BB2_2591 Depth=2
	v_and_b32_e32 v2, 7, v31
	v_ffbh_u32_e32 v2, v2
	v_min_u32_e32 v2, 32, v2
	v_subrev_u32_e32 v18, 28, v2
	v_cmp_gt_u32_e32 vcc, 8, v9
	v_lshrrev_b32_e32 v15, 3, v9
	v_cndmask_b32_e32 v9, 0, v18, vcc
	v_sub_u32_e32 v2, 29, v2
	v_lshlrev_b64 v[22:23], v9, v[36:37]
	v_cndmask_b32_e32 v2, v15, v2, vcc
	v_lshlrev_b32_e32 v9, 20, v22
	v_lshlrev_b32_e32 v15, 24, v36
	v_and_b32_e32 v9, 0x700000, v9
	v_and_b32_e32 v15, 0x80000000, v15
	v_lshl_add_u32 v2, v2, 23, v50
	v_or3_b32 v2, v15, v2, v9
.LBB2_3467:                             ;   in Loop: Header=BB2_2591 Depth=2
	s_or_b64 exec, exec, s[54:55]
.LBB2_3468:                             ;   in Loop: Header=BB2_2591 Depth=2
	s_or_b64 exec, exec, s[52:53]
.LBB2_3469:                             ;   in Loop: Header=BB2_2591 Depth=2
	s_or_b64 exec, exec, s[18:19]
	v_cmp_ne_u16_sdwa vcc, v17, v37 src0_sel:BYTE_0 src1_sel:DWORD
	s_and_saveexec_b64 s[18:19], vcc
	s_cbranch_execz .LBB2_3475
; %bb.3470:                             ;   in Loop: Header=BB2_2591 Depth=2
	v_cmp_ne_u16_sdwa vcc, v17, s69 src0_sel:BYTE_0 src1_sel:DWORD
	v_bfrev_b32_e32 v3, 1
	s_and_saveexec_b64 s[52:53], vcc
	s_cbranch_execz .LBB2_3474
; %bb.3471:                             ;   in Loop: Header=BB2_2591 Depth=2
	v_and_b32_e32 v9, 0x7f, v17
	v_cmp_ne_u32_e32 vcc, s68, v9
	v_mov_b32_e32 v3, 0x7f800001
	s_and_saveexec_b64 s[54:55], vcc
	s_cbranch_execz .LBB2_3473
; %bb.3472:                             ;   in Loop: Header=BB2_2591 Depth=2
	v_and_b32_e32 v3, 7, v17
	v_ffbh_u32_e32 v3, v3
	v_min_u32_e32 v3, 32, v3
	v_subrev_u32_e32 v18, 28, v3
	v_cmp_gt_u32_e32 vcc, 8, v9
	v_mov_b32_e32 v22, v17
	v_mov_b32_e32 v23, v37
	v_lshrrev_b32_e32 v15, 3, v9
	v_cndmask_b32_e32 v9, 0, v18, vcc
	v_sub_u32_e32 v3, 29, v3
	v_lshlrev_b64 v[50:51], v9, v[22:23]
	v_cndmask_b32_e32 v3, v15, v3, vcc
	v_lshlrev_b32_e32 v9, 20, v50
	v_bfrev_b32_e32 v50, 60
	v_lshlrev_b32_e32 v15, 24, v22
	v_and_b32_e32 v9, 0x700000, v9
	v_and_b32_e32 v15, 0x80000000, v15
	v_lshl_add_u32 v3, v3, 23, v50
	v_or3_b32 v3, v15, v3, v9
.LBB2_3473:                             ;   in Loop: Header=BB2_2591 Depth=2
	s_or_b64 exec, exec, s[54:55]
.LBB2_3474:                             ;   in Loop: Header=BB2_2591 Depth=2
	s_or_b64 exec, exec, s[52:53]
.LBB2_3475:                             ;   in Loop: Header=BB2_2591 Depth=2
	s_or_b64 exec, exec, s[18:19]
	v_add_f32_e32 v18, v2, v3
	v_and_b32_sdwa v15, v18, s69 dst_sel:DWORD dst_unused:UNUSED_PAD src0_sel:BYTE_3 src1_sel:DWORD
	v_and_b32_e32 v22, 0x7f800000, v18
	v_mov_b32_e32 v23, v37
	v_and_b32_e32 v2, 0x7fffff, v18
	v_mov_b32_e32 v3, v37
	v_or_b32_e32 v9, 0x7e, v15
	v_cmp_ne_u64_e32 vcc, s[38:39], v[22:23]
	s_and_saveexec_b64 s[18:19], vcc
	s_xor_b64 s[52:53], exec, s[18:19]
	s_cbranch_execz .LBB2_3485
; %bb.3476:                             ;   in Loop: Header=BB2_2591 Depth=2
	v_and_b32_e32 v22, 0x7fffffff, v18
	v_mov_b32_e32 v23, v37
	v_cmp_gt_u64_e32 vcc, s[40:41], v[22:23]
	s_and_saveexec_b64 s[54:55], vcc
	s_cbranch_execz .LBB2_3484
; %bb.3477:                             ;   in Loop: Header=BB2_2591 Depth=2
	v_cmp_ne_u32_e32 vcc, 0, v18
	v_mov_b32_e32 v9, 0
	s_and_saveexec_b64 s[56:57], vcc
	s_cbranch_execz .LBB2_3483
; %bb.3478:                             ;   in Loop: Header=BB2_2591 Depth=2
	v_bfe_u32 v9, v18, 23, 8
	v_sub_u32_e32 v20, 0x79, v9
	v_cmp_gt_u32_e32 vcc, s71, v9
	v_add_u32_e32 v18, 0xffffff81, v9
	v_cndmask_b32_e32 v20, 0, v20, vcc
	v_cmp_eq_u32_e32 vcc, 0, v9
	v_mov_b32_e32 v9, 0xffffff82
	v_cndmask_b32_e32 v9, v18, v9, vcc
	v_mov_b32_e32 v18, 0x78
	v_cndmask_b32_e32 v18, v20, v18, vcc
	v_or_b32_e32 v22, 0x800000, v2
	v_add_u32_e32 v20, 20, v18
	v_cndmask_b32_e32 v2, v22, v2, vcc
	v_lshlrev_b64 v[22:23], v20, -1
	v_not_b32_e32 v20, v23
	v_not_b32_e32 v22, v22
	v_and_b32_e32 v23, 0, v20
	v_and_b32_e32 v22, v2, v22
	v_add_u32_e32 v20, 19, v18
	v_lshrrev_b64 v[2:3], v18, v[2:3]
	v_lshlrev_b64 v[50:51], v20, 1
	v_lshrrev_b32_e32 v20, 23, v2
	v_add3_u32 v20, v18, v9, v20
	v_bfe_u32 v9, v2, 20, 1
	v_add_u32_e32 v9, -1, v9
	v_cmp_eq_u64_e32 vcc, v[22:23], v[50:51]
	v_cndmask_b32_e32 v9, 0, v9, vcc
	v_add_u32_e32 v9, v9, v2
	v_and_b32_e32 v9, 0xfffff, v9
	v_add_co_u32_e32 v2, vcc, v9, v2
	v_add_u32_e32 v18, 6, v20
	v_addc_co_u32_e32 v3, vcc, 0, v3, vcc
	v_cmp_ne_u32_e32 vcc, 0, v18
                                        ; implicit-def: $vgpr9
	s_and_saveexec_b64 s[18:19], vcc
	s_xor_b64 s[18:19], exec, s[18:19]
; %bb.3479:                             ;   in Loop: Header=BB2_2591 Depth=2
	v_add_u32_e32 v9, 7, v20
	v_cmp_lt_u64_e32 vcc, s[44:45], v[2:3]
	v_cndmask_b32_e32 v9, v18, v9, vcc
	v_cndmask_b32_e64 v18, 0, 1, vcc
	v_lshrrev_b64 v[2:3], v18, v[2:3]
; %bb.3480:                             ;   in Loop: Header=BB2_2591 Depth=2
	s_andn2_saveexec_b64 s[18:19], s[18:19]
; %bb.3481:                             ;   in Loop: Header=BB2_2591 Depth=2
	v_bfe_u32 v9, v2, 23, 1
; %bb.3482:                             ;   in Loop: Header=BB2_2591 Depth=2
	s_or_b64 exec, exec, s[18:19]
	v_lshrrev_b64 v[2:3], 20, v[2:3]
	v_cmp_gt_i32_e32 vcc, 16, v9
	v_cndmask_b32_e32 v3, 0, v3, vcc
	v_cndmask_b32_e32 v2, 7, v2, vcc
	v_cmp_eq_u64_e64 s[18:19], 0, v[2:3]
	v_min_i32_e32 v3, 15, v9
	v_cmp_eq_u32_e32 vcc, 0, v9
	v_lshlrev_b32_e32 v3, 3, v3
	v_and_or_b32 v2, v2, 7, v3
	s_and_b64 s[18:19], vcc, s[18:19]
	v_cndmask_b32_e64 v2, v2, 0, s[18:19]
	v_or_b32_e32 v9, v2, v15
	v_bfrev_b32_e32 v50, 60
.LBB2_3483:                             ;   in Loop: Header=BB2_2591 Depth=2
	s_or_b64 exec, exec, s[56:57]
.LBB2_3484:                             ;   in Loop: Header=BB2_2591 Depth=2
	s_or_b64 exec, exec, s[54:55]
                                        ; implicit-def: $vgpr18
                                        ; implicit-def: $vgpr2_vgpr3
.LBB2_3485:                             ;   in Loop: Header=BB2_2591 Depth=2
	s_andn2_saveexec_b64 s[18:19], s[52:53]
; %bb.3486:                             ;   in Loop: Header=BB2_2591 Depth=2
	v_or_b32_sdwa v15, v18, s68 dst_sel:DWORD dst_unused:UNUSED_PAD src0_sel:BYTE_3 src1_sel:DWORD
	v_cmp_eq_u64_e32 vcc, 0, v[2:3]
	v_cndmask_b32_e32 v9, v15, v9, vcc
; %bb.3487:                             ;   in Loop: Header=BB2_2591 Depth=2
	s_or_b64 exec, exec, s[18:19]
	v_lshrrev_b16_e32 v2, 8, v14
	v_cmp_ne_u16_e32 vcc, 0, v2
	v_mov_b32_e32 v3, 0
	v_mov_b32_e32 v15, 0
	s_and_saveexec_b64 s[18:19], vcc
	s_cbranch_execz .LBB2_3493
; %bb.3488:                             ;   in Loop: Header=BB2_2591 Depth=2
	v_cmp_ne_u16_e32 vcc, s69, v2
	v_bfrev_b32_e32 v15, 1
	s_and_saveexec_b64 s[52:53], vcc
	s_cbranch_execz .LBB2_3492
; %bb.3489:                             ;   in Loop: Header=BB2_2591 Depth=2
	v_and_b32_e32 v18, 0x7f, v2
	v_cmp_ne_u32_e32 vcc, s68, v18
	v_mov_b32_e32 v15, 0x7f800001
	s_and_saveexec_b64 s[54:55], vcc
	s_cbranch_execz .LBB2_3491
; %bb.3490:                             ;   in Loop: Header=BB2_2591 Depth=2
	v_and_b32_e32 v15, 7, v2
	v_ffbh_u32_e32 v22, v15
	v_min_u32_e32 v25, 32, v22
	v_subrev_u32_e32 v22, 28, v25
	v_lshlrev_b64 v[22:23], v22, v[2:3]
	v_lshrrev_b32_e32 v20, 3, v18
	v_sub_u32_e32 v2, 29, v25
	v_and_b32_e32 v22, 7, v22
	v_cmp_gt_u32_e32 vcc, 8, v18
	v_cndmask_b32_e32 v2, v20, v2, vcc
	v_cndmask_b32_e32 v15, v15, v22, vcc
	v_lshlrev_b32_e32 v14, 16, v14
	v_lshlrev_b32_e32 v15, 20, v15
	v_and_b32_e32 v14, 0x80000000, v14
	v_lshl_add_u32 v2, v2, 23, v50
	v_or3_b32 v15, v14, v2, v15
.LBB2_3491:                             ;   in Loop: Header=BB2_2591 Depth=2
	s_or_b64 exec, exec, s[54:55]
.LBB2_3492:                             ;   in Loop: Header=BB2_2591 Depth=2
	s_or_b64 exec, exec, s[52:53]
.LBB2_3493:                             ;   in Loop: Header=BB2_2591 Depth=2
	s_or_b64 exec, exec, s[18:19]
	v_mov_b32_e32 v2, v17
	v_lshrrev_b16_e32 v14, 8, v2
	v_cmp_ne_u16_e32 vcc, 0, v14
	s_and_saveexec_b64 s[18:19], vcc
	s_cbranch_execz .LBB2_3499
; %bb.3494:                             ;   in Loop: Header=BB2_2591 Depth=2
	v_cmp_ne_u16_e32 vcc, s69, v14
	v_bfrev_b32_e32 v3, 1
	s_and_saveexec_b64 s[52:53], vcc
	s_cbranch_execz .LBB2_3498
; %bb.3495:                             ;   in Loop: Header=BB2_2591 Depth=2
	v_and_b32_e32 v18, 0x7f, v14
	v_cmp_ne_u32_e32 vcc, s68, v18
	v_mov_b32_e32 v3, 0x7f800001
	s_and_saveexec_b64 s[54:55], vcc
	s_cbranch_execz .LBB2_3497
; %bb.3496:                             ;   in Loop: Header=BB2_2591 Depth=2
	v_and_b32_e32 v3, 7, v14
	v_ffbh_u32_e32 v22, v3
	v_min_u32_e32 v25, 32, v22
	v_subrev_u32_e32 v22, 28, v25
	v_lshlrev_b64 v[22:23], v22, v[14:15]
	v_lshrrev_b32_e32 v20, 3, v18
	v_sub_u32_e32 v14, 29, v25
	v_and_b32_e32 v22, 7, v22
	v_cmp_gt_u32_e32 vcc, 8, v18
	v_cndmask_b32_e32 v14, v20, v14, vcc
	v_cndmask_b32_e32 v3, v3, v22, vcc
	v_lshlrev_b32_e32 v2, 16, v2
	v_lshlrev_b32_e32 v3, 20, v3
	v_and_b32_e32 v2, 0x80000000, v2
	v_lshl_add_u32 v14, v14, 23, v50
	v_or3_b32 v3, v2, v14, v3
.LBB2_3497:                             ;   in Loop: Header=BB2_2591 Depth=2
	s_or_b64 exec, exec, s[54:55]
.LBB2_3498:                             ;   in Loop: Header=BB2_2591 Depth=2
	s_or_b64 exec, exec, s[52:53]
.LBB2_3499:                             ;   in Loop: Header=BB2_2591 Depth=2
	s_or_b64 exec, exec, s[18:19]
	v_add_f32_e32 v18, v15, v3
	v_and_b32_sdwa v14, v18, s69 dst_sel:DWORD dst_unused:UNUSED_PAD src0_sel:BYTE_3 src1_sel:DWORD
	v_and_b32_e32 v22, 0x7f800000, v18
	v_mov_b32_e32 v23, v37
	v_and_b32_e32 v2, 0x7fffff, v18
	v_mov_b32_e32 v3, v37
	v_or_b32_e32 v15, 0x7e, v14
	v_cmp_ne_u64_e32 vcc, s[38:39], v[22:23]
	s_and_saveexec_b64 s[18:19], vcc
	s_xor_b64 s[52:53], exec, s[18:19]
	s_cbranch_execz .LBB2_3509
; %bb.3500:                             ;   in Loop: Header=BB2_2591 Depth=2
	v_and_b32_e32 v22, 0x7fffffff, v18
	v_mov_b32_e32 v23, v37
	v_cmp_gt_u64_e32 vcc, s[40:41], v[22:23]
	s_and_saveexec_b64 s[54:55], vcc
	s_cbranch_execz .LBB2_3508
; %bb.3501:                             ;   in Loop: Header=BB2_2591 Depth=2
	v_cmp_ne_u32_e32 vcc, 0, v18
	v_mov_b32_e32 v15, 0
	s_and_saveexec_b64 s[56:57], vcc
	s_cbranch_execz .LBB2_3507
; %bb.3502:                             ;   in Loop: Header=BB2_2591 Depth=2
	v_bfe_u32 v15, v18, 23, 8
	v_sub_u32_e32 v20, 0x79, v15
	v_cmp_gt_u32_e32 vcc, s71, v15
	v_add_u32_e32 v18, 0xffffff81, v15
	v_cndmask_b32_e32 v20, 0, v20, vcc
	v_cmp_eq_u32_e32 vcc, 0, v15
	v_mov_b32_e32 v15, 0xffffff82
	v_cndmask_b32_e32 v15, v18, v15, vcc
	v_mov_b32_e32 v18, 0x78
	v_cndmask_b32_e32 v18, v20, v18, vcc
	v_or_b32_e32 v22, 0x800000, v2
	v_add_u32_e32 v20, 20, v18
	v_cndmask_b32_e32 v2, v22, v2, vcc
	v_lshlrev_b64 v[22:23], v20, -1
	v_not_b32_e32 v20, v23
	v_not_b32_e32 v22, v22
	v_and_b32_e32 v23, 0, v20
	v_and_b32_e32 v22, v2, v22
	v_add_u32_e32 v20, 19, v18
	v_lshrrev_b64 v[2:3], v18, v[2:3]
	v_lshlrev_b64 v[50:51], v20, 1
	v_lshrrev_b32_e32 v20, 23, v2
	v_add3_u32 v20, v18, v15, v20
	v_bfe_u32 v15, v2, 20, 1
	v_add_u32_e32 v15, -1, v15
	v_cmp_eq_u64_e32 vcc, v[22:23], v[50:51]
	v_cndmask_b32_e32 v15, 0, v15, vcc
	v_add_u32_e32 v15, v15, v2
	v_and_b32_e32 v15, 0xfffff, v15
	v_add_co_u32_e32 v2, vcc, v15, v2
	v_add_u32_e32 v18, 6, v20
	v_addc_co_u32_e32 v3, vcc, 0, v3, vcc
	v_cmp_ne_u32_e32 vcc, 0, v18
                                        ; implicit-def: $vgpr15
	s_and_saveexec_b64 s[18:19], vcc
	s_xor_b64 s[18:19], exec, s[18:19]
; %bb.3503:                             ;   in Loop: Header=BB2_2591 Depth=2
	v_add_u32_e32 v15, 7, v20
	v_cmp_lt_u64_e32 vcc, s[44:45], v[2:3]
	v_cndmask_b32_e32 v15, v18, v15, vcc
	v_cndmask_b32_e64 v18, 0, 1, vcc
	v_lshrrev_b64 v[2:3], v18, v[2:3]
; %bb.3504:                             ;   in Loop: Header=BB2_2591 Depth=2
	s_andn2_saveexec_b64 s[18:19], s[18:19]
; %bb.3505:                             ;   in Loop: Header=BB2_2591 Depth=2
	v_bfe_u32 v15, v2, 23, 1
; %bb.3506:                             ;   in Loop: Header=BB2_2591 Depth=2
	s_or_b64 exec, exec, s[18:19]
	v_lshrrev_b64 v[2:3], 20, v[2:3]
	v_cmp_gt_i32_e32 vcc, 16, v15
	v_cndmask_b32_e32 v3, 0, v3, vcc
	v_cndmask_b32_e32 v2, 7, v2, vcc
	v_cmp_eq_u64_e64 s[18:19], 0, v[2:3]
	v_min_i32_e32 v3, 15, v15
	v_cmp_eq_u32_e32 vcc, 0, v15
	v_lshlrev_b32_e32 v3, 3, v3
	v_and_or_b32 v2, v2, 7, v3
	s_and_b64 s[18:19], vcc, s[18:19]
	v_cndmask_b32_e64 v2, v2, 0, s[18:19]
	v_or_b32_e32 v15, v2, v14
	v_bfrev_b32_e32 v50, 60
.LBB2_3507:                             ;   in Loop: Header=BB2_2591 Depth=2
	s_or_b64 exec, exec, s[56:57]
.LBB2_3508:                             ;   in Loop: Header=BB2_2591 Depth=2
	s_or_b64 exec, exec, s[54:55]
                                        ; implicit-def: $vgpr18
                                        ; implicit-def: $vgpr2_vgpr3
.LBB2_3509:                             ;   in Loop: Header=BB2_2591 Depth=2
	s_andn2_saveexec_b64 s[18:19], s[52:53]
; %bb.3510:                             ;   in Loop: Header=BB2_2591 Depth=2
	v_or_b32_sdwa v14, v18, s68 dst_sel:DWORD dst_unused:UNUSED_PAD src0_sel:BYTE_3 src1_sel:DWORD
	v_cmp_eq_u64_e32 vcc, 0, v[2:3]
	v_cndmask_b32_e32 v15, v14, v15, vcc
; %bb.3511:                             ;   in Loop: Header=BB2_2591 Depth=2
	s_or_b64 exec, exec, s[18:19]
	v_lshrrev_b32_e32 v2, 16, v36
	v_cmp_ne_u16_sdwa vcc, v2, v37 src0_sel:BYTE_0 src1_sel:DWORD
	v_mov_b32_e32 v3, 0
	v_mov_b32_e32 v14, 0
	s_and_saveexec_b64 s[18:19], vcc
	s_cbranch_execz .LBB2_3517
; %bb.3512:                             ;   in Loop: Header=BB2_2591 Depth=2
	v_cmp_ne_u16_sdwa vcc, v2, s69 src0_sel:BYTE_0 src1_sel:DWORD
	v_bfrev_b32_e32 v14, 1
	s_and_saveexec_b64 s[52:53], vcc
	s_cbranch_execz .LBB2_3516
; %bb.3513:                             ;   in Loop: Header=BB2_2591 Depth=2
	v_bfe_u32 v18, v36, 16, 7
	v_cmp_ne_u32_e32 vcc, s68, v18
	v_mov_b32_e32 v14, 0x7f800001
	s_and_saveexec_b64 s[54:55], vcc
	s_cbranch_execz .LBB2_3515
; %bb.3514:                             ;   in Loop: Header=BB2_2591 Depth=2
	v_and_b32_e32 v14, 7, v2
	v_ffbh_u32_e32 v22, v14
	v_min_u32_e32 v25, 32, v22
	v_subrev_u32_e32 v22, 28, v25
	v_lshlrev_b64 v[22:23], v22, v[2:3]
	v_lshrrev_b32_e32 v20, 3, v18
	v_sub_u32_e32 v23, 29, v25
	v_and_b32_e32 v22, 7, v22
	v_cmp_gt_u32_e32 vcc, 8, v18
	v_cndmask_b32_e32 v18, v20, v23, vcc
	v_cndmask_b32_e32 v14, v14, v22, vcc
	v_lshlrev_b32_e32 v2, 24, v2
	v_lshlrev_b32_e32 v14, 20, v14
	v_and_b32_e32 v2, 0x80000000, v2
	v_lshl_add_u32 v18, v18, 23, v50
	v_or3_b32 v14, v2, v18, v14
.LBB2_3515:                             ;   in Loop: Header=BB2_2591 Depth=2
	s_or_b64 exec, exec, s[54:55]
.LBB2_3516:                             ;   in Loop: Header=BB2_2591 Depth=2
	s_or_b64 exec, exec, s[52:53]
.LBB2_3517:                             ;   in Loop: Header=BB2_2591 Depth=2
	s_or_b64 exec, exec, s[18:19]
	v_lshrrev_b32_e32 v2, 16, v17
	v_cmp_ne_u16_sdwa vcc, v2, v37 src0_sel:BYTE_0 src1_sel:DWORD
	s_and_saveexec_b64 s[18:19], vcc
	s_cbranch_execz .LBB2_3523
; %bb.3518:                             ;   in Loop: Header=BB2_2591 Depth=2
	v_cmp_ne_u16_sdwa vcc, v2, s69 src0_sel:BYTE_0 src1_sel:DWORD
	v_bfrev_b32_e32 v3, 1
	s_and_saveexec_b64 s[52:53], vcc
	s_cbranch_execz .LBB2_3522
; %bb.3519:                             ;   in Loop: Header=BB2_2591 Depth=2
	v_bfe_u32 v18, v17, 16, 7
	v_cmp_ne_u32_e32 vcc, s68, v18
	v_mov_b32_e32 v3, 0x7f800001
	s_and_saveexec_b64 s[54:55], vcc
	s_cbranch_execz .LBB2_3521
; %bb.3520:                             ;   in Loop: Header=BB2_2591 Depth=2
	v_and_b32_e32 v20, 7, v2
	v_ffbh_u32_e32 v3, v20
	v_min_u32_e32 v23, 32, v3
	v_subrev_u32_e32 v3, 28, v23
	v_lshlrev_b64 v[2:3], v3, v[2:3]
	v_lshrrev_b32_e32 v22, 3, v18
	v_sub_u32_e32 v3, 29, v23
	v_and_b32_e32 v2, 7, v2
	v_cmp_gt_u32_e32 vcc, 8, v18
	v_cndmask_b32_e32 v3, v22, v3, vcc
	v_cndmask_b32_e32 v2, v20, v2, vcc
	v_lshlrev_b32_e32 v18, 8, v17
	v_lshlrev_b32_e32 v2, 20, v2
	v_and_b32_e32 v18, 0x80000000, v18
	v_lshl_add_u32 v3, v3, 23, v50
	v_or3_b32 v3, v18, v3, v2
.LBB2_3521:                             ;   in Loop: Header=BB2_2591 Depth=2
	s_or_b64 exec, exec, s[54:55]
.LBB2_3522:                             ;   in Loop: Header=BB2_2591 Depth=2
	s_or_b64 exec, exec, s[52:53]
.LBB2_3523:                             ;   in Loop: Header=BB2_2591 Depth=2
	s_or_b64 exec, exec, s[18:19]
	v_add_f32_e32 v20, v14, v3
	v_and_b32_sdwa v14, v20, s69 dst_sel:DWORD dst_unused:UNUSED_PAD src0_sel:BYTE_3 src1_sel:DWORD
	v_and_b32_e32 v22, 0x7f800000, v20
	v_mov_b32_e32 v23, v37
	v_and_b32_e32 v2, 0x7fffff, v20
	v_mov_b32_e32 v3, v37
	v_or_b32_e32 v18, 0x7e, v14
	v_cmp_ne_u64_e32 vcc, s[38:39], v[22:23]
	s_and_saveexec_b64 s[18:19], vcc
	s_xor_b64 s[52:53], exec, s[18:19]
	s_cbranch_execz .LBB2_3533
; %bb.3524:                             ;   in Loop: Header=BB2_2591 Depth=2
	v_and_b32_e32 v22, 0x7fffffff, v20
	v_mov_b32_e32 v23, v37
	v_cmp_gt_u64_e32 vcc, s[40:41], v[22:23]
	s_and_saveexec_b64 s[54:55], vcc
	s_cbranch_execz .LBB2_3532
; %bb.3525:                             ;   in Loop: Header=BB2_2591 Depth=2
	v_cmp_ne_u32_e32 vcc, 0, v20
	v_mov_b32_e32 v18, 0
	s_and_saveexec_b64 s[56:57], vcc
	s_cbranch_execz .LBB2_3531
; %bb.3526:                             ;   in Loop: Header=BB2_2591 Depth=2
	v_bfe_u32 v18, v20, 23, 8
	v_sub_u32_e32 v22, 0x79, v18
	v_cmp_gt_u32_e32 vcc, s71, v18
	v_add_u32_e32 v20, 0xffffff81, v18
	v_cndmask_b32_e32 v22, 0, v22, vcc
	v_cmp_eq_u32_e32 vcc, 0, v18
	v_mov_b32_e32 v18, 0xffffff82
	v_cndmask_b32_e32 v18, v20, v18, vcc
	v_mov_b32_e32 v20, 0x78
	v_cndmask_b32_e32 v20, v22, v20, vcc
	v_or_b32_e32 v23, 0x800000, v2
	v_add_u32_e32 v22, 20, v20
	v_cndmask_b32_e32 v2, v23, v2, vcc
	v_lshlrev_b64 v[22:23], v22, -1
	v_not_b32_e32 v22, v22
	v_and_b32_e32 v22, v2, v22
	v_add_u32_e32 v25, 19, v20
	v_lshrrev_b64 v[2:3], v20, v[2:3]
	v_not_b32_e32 v23, v23
	v_lshlrev_b64 v[50:51], v25, 1
	v_lshrrev_b32_e32 v25, 23, v2
	v_and_b32_e32 v23, 0, v23
	v_add3_u32 v25, v20, v18, v25
	v_bfe_u32 v18, v2, 20, 1
	v_add_u32_e32 v18, -1, v18
	v_cmp_eq_u64_e32 vcc, v[22:23], v[50:51]
	v_cndmask_b32_e32 v18, 0, v18, vcc
	v_add_u32_e32 v18, v18, v2
	v_and_b32_e32 v18, 0xfffff, v18
	v_add_co_u32_e32 v2, vcc, v18, v2
	v_add_u32_e32 v20, 6, v25
	v_addc_co_u32_e32 v3, vcc, 0, v3, vcc
	v_cmp_ne_u32_e32 vcc, 0, v20
                                        ; implicit-def: $vgpr18
	s_and_saveexec_b64 s[18:19], vcc
	s_xor_b64 s[18:19], exec, s[18:19]
; %bb.3527:                             ;   in Loop: Header=BB2_2591 Depth=2
	v_add_u32_e32 v18, 7, v25
	v_cmp_lt_u64_e32 vcc, s[44:45], v[2:3]
	v_cndmask_b32_e32 v18, v20, v18, vcc
	v_cndmask_b32_e64 v20, 0, 1, vcc
	v_lshrrev_b64 v[2:3], v20, v[2:3]
; %bb.3528:                             ;   in Loop: Header=BB2_2591 Depth=2
	s_andn2_saveexec_b64 s[18:19], s[18:19]
; %bb.3529:                             ;   in Loop: Header=BB2_2591 Depth=2
	v_bfe_u32 v18, v2, 23, 1
; %bb.3530:                             ;   in Loop: Header=BB2_2591 Depth=2
	s_or_b64 exec, exec, s[18:19]
	v_lshrrev_b64 v[2:3], 20, v[2:3]
	v_cmp_gt_i32_e32 vcc, 16, v18
	v_cndmask_b32_e32 v3, 0, v3, vcc
	v_cndmask_b32_e32 v2, 7, v2, vcc
	v_cmp_eq_u64_e64 s[18:19], 0, v[2:3]
	v_min_i32_e32 v3, 15, v18
	v_lshlrev_b32_e32 v3, 3, v3
	v_cmp_eq_u32_e32 vcc, 0, v18
	v_and_b32_e32 v3, 0xf8, v3
	v_and_or_b32 v2, v2, 7, v3
	s_and_b64 s[18:19], vcc, s[18:19]
	v_cndmask_b32_e64 v2, v2, 0, s[18:19]
	v_or_b32_e32 v18, v2, v14
	v_bfrev_b32_e32 v50, 60
.LBB2_3531:                             ;   in Loop: Header=BB2_2591 Depth=2
	s_or_b64 exec, exec, s[56:57]
.LBB2_3532:                             ;   in Loop: Header=BB2_2591 Depth=2
	s_or_b64 exec, exec, s[54:55]
                                        ; implicit-def: $vgpr20
                                        ; implicit-def: $vgpr2_vgpr3
.LBB2_3533:                             ;   in Loop: Header=BB2_2591 Depth=2
	s_andn2_saveexec_b64 s[18:19], s[52:53]
; %bb.3534:                             ;   in Loop: Header=BB2_2591 Depth=2
	v_or_b32_sdwa v14, v20, s68 dst_sel:DWORD dst_unused:UNUSED_PAD src0_sel:BYTE_3 src1_sel:DWORD
	v_cmp_eq_u64_e32 vcc, 0, v[2:3]
	v_cndmask_b32_e32 v18, v14, v18, vcc
; %bb.3535:                             ;   in Loop: Header=BB2_2591 Depth=2
	s_or_b64 exec, exec, s[18:19]
	v_cmp_lt_u32_e32 vcc, s43, v36
	v_mov_b32_e32 v3, 0
	v_mov_b32_e32 v14, 0
	s_and_saveexec_b64 s[18:19], vcc
	s_cbranch_execz .LBB2_3541
; %bb.3536:                             ;   in Loop: Header=BB2_2591 Depth=2
	v_lshrrev_b32_e32 v2, 24, v36
	v_cmp_ne_u32_sdwa vcc, v36, s69 src0_sel:BYTE_3 src1_sel:DWORD
	v_bfrev_b32_e32 v14, 1
	s_and_saveexec_b64 s[52:53], vcc
	s_cbranch_execz .LBB2_3540
; %bb.3537:                             ;   in Loop: Header=BB2_2591 Depth=2
	v_bfe_u32 v20, v36, 24, 7
	v_cmp_ne_u32_e32 vcc, s68, v20
	v_mov_b32_e32 v14, 0x7f800001
	s_and_saveexec_b64 s[54:55], vcc
	s_cbranch_execz .LBB2_3539
; %bb.3538:                             ;   in Loop: Header=BB2_2591 Depth=2
	v_and_b32_e32 v14, 7, v2
	v_ffbh_u32_e32 v22, v14
	v_min_u32_e32 v31, 32, v22
	v_subrev_u32_e32 v22, 28, v31
	v_lshlrev_b64 v[22:23], v22, v[2:3]
	v_lshrrev_b32_e32 v25, 3, v20
	v_sub_u32_e32 v2, 29, v31
	v_and_b32_e32 v22, 7, v22
	v_cmp_gt_u32_e32 vcc, 8, v20
	v_mov_b32_e32 v20, 24
	v_cndmask_b32_e32 v2, v25, v2, vcc
	v_cndmask_b32_e32 v14, v14, v22, vcc
	v_lshlrev_b32_sdwa v20, v20, v36 dst_sel:DWORD dst_unused:UNUSED_PAD src0_sel:DWORD src1_sel:BYTE_3
	v_lshlrev_b32_e32 v14, 20, v14
	v_and_b32_e32 v20, 0x80000000, v20
	v_lshl_add_u32 v2, v2, 23, v50
	v_or3_b32 v14, v20, v2, v14
.LBB2_3539:                             ;   in Loop: Header=BB2_2591 Depth=2
	s_or_b64 exec, exec, s[54:55]
.LBB2_3540:                             ;   in Loop: Header=BB2_2591 Depth=2
	s_or_b64 exec, exec, s[52:53]
.LBB2_3541:                             ;   in Loop: Header=BB2_2591 Depth=2
	s_or_b64 exec, exec, s[18:19]
	v_cmp_lt_u64_e32 vcc, s[42:43], v[16:17]
	s_and_saveexec_b64 s[18:19], vcc
	s_cbranch_execz .LBB2_3547
; %bb.3542:                             ;   in Loop: Header=BB2_2591 Depth=2
	v_lshrrev_b32_e32 v2, 24, v17
	v_cmp_ne_u32_e32 vcc, s69, v2
	v_bfrev_b32_e32 v3, 1
	s_and_saveexec_b64 s[52:53], vcc
	s_cbranch_execz .LBB2_3546
; %bb.3543:                             ;   in Loop: Header=BB2_2591 Depth=2
	v_bfe_u32 v16, v17, 24, 7
	v_cmp_ne_u32_e32 vcc, s68, v16
	v_mov_b32_e32 v3, 0x7f800001
	s_and_saveexec_b64 s[54:55], vcc
	s_cbranch_execz .LBB2_3545
; %bb.3544:                             ;   in Loop: Header=BB2_2591 Depth=2
	v_and_b32_e32 v3, 7, v2
	v_ffbh_u32_e32 v20, v3
	v_min_u32_e32 v20, 32, v20
	v_subrev_u32_e32 v22, 28, v20
	v_lshlrev_b64 v[22:23], v22, v[2:3]
	v_lshrrev_b32_e32 v17, 3, v16
	v_sub_u32_e32 v20, 29, v20
	v_and_b32_e32 v22, 7, v22
	v_cmp_gt_u32_e32 vcc, 8, v16
	v_cndmask_b32_e32 v16, v17, v20, vcc
	v_cndmask_b32_e32 v3, v3, v22, vcc
	v_lshlrev_b32_e32 v2, 24, v2
	v_lshlrev_b32_e32 v3, 20, v3
	v_and_b32_e32 v2, 0x80000000, v2
	v_lshl_add_u32 v16, v16, 23, v50
	v_or3_b32 v3, v2, v16, v3
.LBB2_3545:                             ;   in Loop: Header=BB2_2591 Depth=2
	s_or_b64 exec, exec, s[54:55]
.LBB2_3546:                             ;   in Loop: Header=BB2_2591 Depth=2
	s_or_b64 exec, exec, s[52:53]
.LBB2_3547:                             ;   in Loop: Header=BB2_2591 Depth=2
	s_or_b64 exec, exec, s[18:19]
	v_add_f32_e32 v2, v14, v3
	v_and_b32_sdwa v14, v2, s69 dst_sel:DWORD dst_unused:UNUSED_PAD src0_sel:BYTE_3 src1_sel:DWORD
	v_and_b32_e32 v22, 0x7f800000, v2
	v_mov_b32_e32 v23, v37
	v_and_b32_e32 v36, 0x7fffff, v2
	v_or_b32_e32 v16, 0x7e, v14
	v_cmp_ne_u64_e32 vcc, s[38:39], v[22:23]
	s_and_saveexec_b64 s[18:19], vcc
	s_xor_b64 s[52:53], exec, s[18:19]
	s_cbranch_execz .LBB2_3557
; %bb.3548:                             ;   in Loop: Header=BB2_2591 Depth=2
	v_and_b32_e32 v22, 0x7fffffff, v2
	v_mov_b32_e32 v23, v37
	v_cmp_gt_u64_e32 vcc, s[40:41], v[22:23]
	s_and_saveexec_b64 s[54:55], vcc
	s_cbranch_execz .LBB2_3556
; %bb.3549:                             ;   in Loop: Header=BB2_2591 Depth=2
	v_cmp_ne_u32_e32 vcc, 0, v2
	v_mov_b32_e32 v16, 0
	s_and_saveexec_b64 s[56:57], vcc
	s_cbranch_execz .LBB2_3555
; %bb.3550:                             ;   in Loop: Header=BB2_2591 Depth=2
	v_bfe_u32 v2, v2, 23, 8
	v_sub_u32_e32 v16, 0x79, v2
	v_cmp_gt_u32_e32 vcc, s71, v2
	v_add_u32_e32 v3, 0xffffff81, v2
	v_cndmask_b32_e32 v16, 0, v16, vcc
	v_cmp_eq_u32_e32 vcc, 0, v2
	v_mov_b32_e32 v2, 0xffffff82
	v_cndmask_b32_e32 v20, v3, v2, vcc
	v_mov_b32_e32 v2, 0x78
	v_or_b32_e32 v17, 0x800000, v36
	v_cndmask_b32_e32 v16, v16, v2, vcc
	v_cndmask_b32_e32 v36, v17, v36, vcc
	v_add_u32_e32 v2, 20, v16
	v_lshlrev_b64 v[2:3], v2, -1
	v_add_u32_e32 v17, 19, v16
	v_lshrrev_b64 v[50:51], v16, v[36:37]
	v_not_b32_e32 v3, v3
	v_not_b32_e32 v2, v2
	v_lshlrev_b64 v[22:23], v17, 1
	v_lshrrev_b32_e32 v17, 23, v50
	v_and_b32_e32 v3, 0, v3
	v_and_b32_e32 v2, v36, v2
	v_add3_u32 v20, v16, v20, v17
	v_bfe_u32 v16, v50, 20, 1
	v_add_u32_e32 v16, -1, v16
	v_cmp_eq_u64_e32 vcc, v[2:3], v[22:23]
	v_cndmask_b32_e32 v2, 0, v16, vcc
	v_add_u32_e32 v2, v2, v50
	v_and_b32_e32 v2, 0xfffff, v2
	v_add_co_u32_e32 v2, vcc, v2, v50
	v_add_u32_e32 v17, 6, v20
	v_addc_co_u32_e32 v3, vcc, 0, v51, vcc
	v_cmp_ne_u32_e32 vcc, 0, v17
                                        ; implicit-def: $vgpr16
	s_and_saveexec_b64 s[18:19], vcc
	s_xor_b64 s[18:19], exec, s[18:19]
; %bb.3551:                             ;   in Loop: Header=BB2_2591 Depth=2
	v_add_u32_e32 v16, 7, v20
	v_cmp_lt_u64_e32 vcc, s[44:45], v[2:3]
	v_cndmask_b32_e32 v16, v17, v16, vcc
	v_cndmask_b32_e64 v17, 0, 1, vcc
	v_lshrrev_b64 v[2:3], v17, v[2:3]
; %bb.3552:                             ;   in Loop: Header=BB2_2591 Depth=2
	s_andn2_saveexec_b64 s[18:19], s[18:19]
; %bb.3553:                             ;   in Loop: Header=BB2_2591 Depth=2
	v_bfe_u32 v16, v2, 23, 1
; %bb.3554:                             ;   in Loop: Header=BB2_2591 Depth=2
	s_or_b64 exec, exec, s[18:19]
	v_lshrrev_b64 v[2:3], 20, v[2:3]
	v_cmp_gt_i32_e32 vcc, 16, v16
	v_cndmask_b32_e32 v3, 0, v3, vcc
	v_cndmask_b32_e32 v2, 7, v2, vcc
	v_cmp_eq_u64_e64 s[18:19], 0, v[2:3]
	v_min_i32_e32 v3, 15, v16
	v_lshlrev_b32_e32 v3, 3, v3
	v_cmp_eq_u32_e32 vcc, 0, v16
	v_and_b32_e32 v3, 0xf8, v3
	v_and_or_b32 v2, v2, 7, v3
	s_and_b64 s[18:19], vcc, s[18:19]
	v_cndmask_b32_e64 v2, v2, 0, s[18:19]
	v_or_b32_e32 v16, v2, v14
	v_bfrev_b32_e32 v50, 60
.LBB2_3555:                             ;   in Loop: Header=BB2_2591 Depth=2
	s_or_b64 exec, exec, s[56:57]
.LBB2_3556:                             ;   in Loop: Header=BB2_2591 Depth=2
	s_or_b64 exec, exec, s[54:55]
                                        ; implicit-def: $vgpr2
.LBB2_3557:                             ;   in Loop: Header=BB2_2591 Depth=2
	s_andn2_saveexec_b64 s[18:19], s[52:53]
; %bb.3558:                             ;   in Loop: Header=BB2_2591 Depth=2
	v_or_b32_sdwa v2, v2, s68 dst_sel:DWORD dst_unused:UNUSED_PAD src0_sel:BYTE_3 src1_sel:DWORD
	v_cmp_eq_u64_e32 vcc, 0, v[36:37]
	v_cndmask_b32_e32 v16, v2, v16, vcc
; %bb.3559:                             ;   in Loop: Header=BB2_2591 Depth=2
	s_or_b64 exec, exec, s[18:19]
	v_lshlrev_b32_e32 v14, 8, v35
	v_cmp_ne_u16_sdwa vcc, v52, v37 src0_sel:BYTE_0 src1_sel:DWORD
	v_mov_b32_e32 v2, 0
	v_mov_b32_e32 v3, 0
	s_and_saveexec_b64 s[18:19], vcc
	s_cbranch_execz .LBB2_3565
; %bb.3560:                             ;   in Loop: Header=BB2_2591 Depth=2
	v_cmp_ne_u16_sdwa vcc, v52, s69 src0_sel:BYTE_0 src1_sel:DWORD
	v_bfrev_b32_e32 v3, 1
	s_and_saveexec_b64 s[52:53], vcc
	s_cbranch_execz .LBB2_3564
; %bb.3561:                             ;   in Loop: Header=BB2_2591 Depth=2
	v_and_b32_e32 v17, 0x7f, v52
	v_cmp_ne_u32_e32 vcc, s68, v17
	v_mov_b32_e32 v3, 0x7f800001
	s_and_saveexec_b64 s[54:55], vcc
	s_cbranch_execz .LBB2_3563
; %bb.3562:                             ;   in Loop: Header=BB2_2591 Depth=2
	v_and_b32_e32 v3, 7, v52
	v_ffbh_u32_e32 v3, v3
	v_min_u32_e32 v3, 32, v3
	v_subrev_u32_e32 v23, 28, v3
	v_cmp_gt_u32_e32 vcc, 8, v17
	v_lshrrev_b32_e32 v22, 3, v17
	v_perm_b32 v20, v14, v52, s72
	v_sub_u32_e32 v3, 29, v3
	v_cndmask_b32_e32 v17, 0, v23, vcc
	v_cndmask_b32_e32 v3, v22, v3, vcc
	v_lshlrev_b64 v[22:23], v17, v[20:21]
	v_lshlrev_b32_e32 v17, 20, v22
	v_lshlrev_b32_e32 v20, 24, v52
	v_and_b32_e32 v17, 0x700000, v17
	v_and_b32_e32 v20, 0x80000000, v20
	v_lshl_add_u32 v3, v3, 23, v50
	v_or3_b32 v3, v20, v3, v17
.LBB2_3563:                             ;   in Loop: Header=BB2_2591 Depth=2
	s_or_b64 exec, exec, s[54:55]
.LBB2_3564:                             ;   in Loop: Header=BB2_2591 Depth=2
	s_or_b64 exec, exec, s[52:53]
.LBB2_3565:                             ;   in Loop: Header=BB2_2591 Depth=2
	s_or_b64 exec, exec, s[18:19]
	s_waitcnt vmcnt(0)
	v_cmp_ne_u16_sdwa vcc, v10, v37 src0_sel:BYTE_0 src1_sel:DWORD
	s_and_saveexec_b64 s[18:19], vcc
	s_cbranch_execz .LBB2_3571
; %bb.3566:                             ;   in Loop: Header=BB2_2591 Depth=2
	v_cmp_ne_u16_sdwa vcc, v10, s69 src0_sel:BYTE_0 src1_sel:DWORD
	v_bfrev_b32_e32 v2, 1
	s_and_saveexec_b64 s[52:53], vcc
	s_cbranch_execz .LBB2_3570
; %bb.3567:                             ;   in Loop: Header=BB2_2591 Depth=2
	v_and_b32_e32 v17, 0x7f, v10
	v_cmp_ne_u32_e32 vcc, s68, v17
	v_mov_b32_e32 v2, 0x7f800001
	s_and_saveexec_b64 s[54:55], vcc
	s_cbranch_execz .LBB2_3569
; %bb.3568:                             ;   in Loop: Header=BB2_2591 Depth=2
	v_and_b32_e32 v2, 7, v10
	v_ffbh_u32_e32 v2, v2
	v_min_u32_e32 v2, 32, v2
	v_subrev_u32_e32 v22, 28, v2
	v_cmp_gt_u32_e32 vcc, 8, v17
	v_lshrrev_b32_e32 v20, 3, v17
	v_cndmask_b32_e32 v17, 0, v22, vcc
	v_sub_u32_e32 v2, 29, v2
	v_lshlrev_b64 v[22:23], v17, v[10:11]
	v_cndmask_b32_e32 v2, v20, v2, vcc
	v_lshlrev_b32_e32 v17, 20, v22
	v_lshlrev_b32_e32 v20, 24, v10
	v_and_b32_e32 v17, 0x700000, v17
	v_and_b32_e32 v20, 0x80000000, v20
	v_lshl_add_u32 v2, v2, 23, v50
	v_or3_b32 v2, v20, v2, v17
.LBB2_3569:                             ;   in Loop: Header=BB2_2591 Depth=2
	s_or_b64 exec, exec, s[54:55]
.LBB2_3570:                             ;   in Loop: Header=BB2_2591 Depth=2
	s_or_b64 exec, exec, s[52:53]
.LBB2_3571:                             ;   in Loop: Header=BB2_2591 Depth=2
	s_or_b64 exec, exec, s[18:19]
	v_add_f32_e32 v2, v3, v2
	v_and_b32_sdwa v20, v2, s69 dst_sel:DWORD dst_unused:UNUSED_PAD src0_sel:BYTE_3 src1_sel:DWORD
	v_and_b32_e32 v22, 0x7f800000, v2
	v_mov_b32_e32 v23, v37
	v_and_b32_e32 v36, 0x7fffff, v2
	v_or_b32_e32 v17, 0x7e, v20
	v_cmp_ne_u64_e32 vcc, s[38:39], v[22:23]
	s_and_saveexec_b64 s[18:19], vcc
	s_xor_b64 s[52:53], exec, s[18:19]
	s_cbranch_execz .LBB2_3581
; %bb.3572:                             ;   in Loop: Header=BB2_2591 Depth=2
	v_and_b32_e32 v22, 0x7fffffff, v2
	v_mov_b32_e32 v23, v37
	v_cmp_gt_u64_e32 vcc, s[40:41], v[22:23]
	s_and_saveexec_b64 s[54:55], vcc
	s_cbranch_execz .LBB2_3580
; %bb.3573:                             ;   in Loop: Header=BB2_2591 Depth=2
	v_cmp_ne_u32_e32 vcc, 0, v2
	v_mov_b32_e32 v17, 0
	s_and_saveexec_b64 s[56:57], vcc
	s_cbranch_execz .LBB2_3579
; %bb.3574:                             ;   in Loop: Header=BB2_2591 Depth=2
	v_bfe_u32 v2, v2, 23, 8
	v_sub_u32_e32 v17, 0x79, v2
	v_cmp_gt_u32_e32 vcc, s71, v2
	v_add_u32_e32 v3, 0xffffff81, v2
	v_cndmask_b32_e32 v17, 0, v17, vcc
	v_cmp_eq_u32_e32 vcc, 0, v2
	v_mov_b32_e32 v2, 0xffffff82
	v_cndmask_b32_e32 v25, v3, v2, vcc
	v_mov_b32_e32 v2, 0x78
	v_or_b32_e32 v22, 0x800000, v36
	v_cndmask_b32_e32 v17, v17, v2, vcc
	v_cndmask_b32_e32 v36, v22, v36, vcc
	v_add_u32_e32 v2, 20, v17
	v_lshlrev_b64 v[2:3], v2, -1
	v_lshrrev_b64 v[50:51], v17, v[36:37]
	v_not_b32_e32 v3, v3
	v_not_b32_e32 v2, v2
	v_add_u32_e32 v22, 19, v17
	v_lshrrev_b32_e32 v31, 23, v50
	v_and_b32_e32 v3, 0, v3
	v_and_b32_e32 v2, v36, v2
	v_lshlrev_b64 v[22:23], v22, 1
	v_add3_u32 v31, v17, v25, v31
	v_bfe_u32 v17, v50, 20, 1
	v_add_u32_e32 v17, -1, v17
	v_cmp_eq_u64_e32 vcc, v[2:3], v[22:23]
	v_cndmask_b32_e32 v2, 0, v17, vcc
	v_add_u32_e32 v2, v2, v50
	v_and_b32_e32 v2, 0xfffff, v2
	v_add_co_u32_e32 v2, vcc, v2, v50
	v_add_u32_e32 v25, 6, v31
	v_addc_co_u32_e32 v3, vcc, 0, v51, vcc
	v_cmp_ne_u32_e32 vcc, 0, v25
                                        ; implicit-def: $vgpr17
	s_and_saveexec_b64 s[18:19], vcc
	s_xor_b64 s[18:19], exec, s[18:19]
; %bb.3575:                             ;   in Loop: Header=BB2_2591 Depth=2
	v_cmp_lt_u64_e32 vcc, s[44:45], v[2:3]
	v_add_u32_e32 v17, 7, v31
	v_cndmask_b32_e64 v22, 0, 1, vcc
	v_cndmask_b32_e32 v17, v25, v17, vcc
	v_lshrrev_b64 v[2:3], v22, v[2:3]
; %bb.3576:                             ;   in Loop: Header=BB2_2591 Depth=2
	s_andn2_saveexec_b64 s[18:19], s[18:19]
; %bb.3577:                             ;   in Loop: Header=BB2_2591 Depth=2
	v_bfe_u32 v17, v2, 23, 1
; %bb.3578:                             ;   in Loop: Header=BB2_2591 Depth=2
	s_or_b64 exec, exec, s[18:19]
	v_lshrrev_b64 v[2:3], 20, v[2:3]
	v_cmp_gt_i32_e32 vcc, 16, v17
	v_cndmask_b32_e32 v3, 0, v3, vcc
	v_cndmask_b32_e32 v2, 7, v2, vcc
	v_cmp_eq_u64_e64 s[18:19], 0, v[2:3]
	v_min_i32_e32 v3, 15, v17
	v_cmp_eq_u32_e32 vcc, 0, v17
	v_lshlrev_b32_e32 v3, 3, v3
	v_and_or_b32 v2, v2, 7, v3
	s_and_b64 s[18:19], vcc, s[18:19]
	v_cndmask_b32_e64 v2, v2, 0, s[18:19]
	v_or_b32_e32 v17, v2, v20
	v_bfrev_b32_e32 v50, 60
.LBB2_3579:                             ;   in Loop: Header=BB2_2591 Depth=2
	s_or_b64 exec, exec, s[56:57]
.LBB2_3580:                             ;   in Loop: Header=BB2_2591 Depth=2
	s_or_b64 exec, exec, s[54:55]
                                        ; implicit-def: $vgpr2
.LBB2_3581:                             ;   in Loop: Header=BB2_2591 Depth=2
	s_andn2_saveexec_b64 s[18:19], s[52:53]
; %bb.3582:                             ;   in Loop: Header=BB2_2591 Depth=2
	v_or_b32_sdwa v2, v2, s68 dst_sel:DWORD dst_unused:UNUSED_PAD src0_sel:BYTE_3 src1_sel:DWORD
	v_cmp_eq_u64_e32 vcc, 0, v[36:37]
	v_cndmask_b32_e32 v17, v2, v17, vcc
; %bb.3583:                             ;   in Loop: Header=BB2_2591 Depth=2
	s_or_b64 exec, exec, s[18:19]
	v_lshrrev_b16_e32 v2, 8, v14
	v_cmp_ne_u16_e32 vcc, 0, v2
	v_mov_b32_e32 v3, 0
	v_mov_b32_e32 v20, 0
	s_and_saveexec_b64 s[18:19], vcc
	s_cbranch_execz .LBB2_3589
; %bb.3584:                             ;   in Loop: Header=BB2_2591 Depth=2
	v_cmp_ne_u16_e32 vcc, s69, v2
	v_bfrev_b32_e32 v20, 1
	s_and_saveexec_b64 s[52:53], vcc
	s_cbranch_execz .LBB2_3588
; %bb.3585:                             ;   in Loop: Header=BB2_2591 Depth=2
	v_and_b32_e32 v25, 0x7f, v2
	v_cmp_ne_u32_e32 vcc, s68, v25
	v_mov_b32_e32 v20, 0x7f800001
	s_and_saveexec_b64 s[54:55], vcc
	s_cbranch_execz .LBB2_3587
; %bb.3586:                             ;   in Loop: Header=BB2_2591 Depth=2
	v_and_b32_e32 v20, 7, v2
	v_ffbh_u32_e32 v22, v20
	v_min_u32_e32 v33, 32, v22
	v_subrev_u32_e32 v22, 28, v33
	v_lshlrev_b64 v[22:23], v22, v[2:3]
	v_lshrrev_b32_e32 v31, 3, v25
	v_sub_u32_e32 v2, 29, v33
	v_and_b32_e32 v22, 7, v22
	v_cmp_gt_u32_e32 vcc, 8, v25
	v_cndmask_b32_e32 v2, v31, v2, vcc
	v_cndmask_b32_e32 v20, v20, v22, vcc
	v_lshlrev_b32_e32 v14, 16, v14
	v_lshlrev_b32_e32 v20, 20, v20
	v_and_b32_e32 v14, 0x80000000, v14
	v_lshl_add_u32 v2, v2, 23, v50
	v_or3_b32 v20, v14, v2, v20
.LBB2_3587:                             ;   in Loop: Header=BB2_2591 Depth=2
	s_or_b64 exec, exec, s[54:55]
.LBB2_3588:                             ;   in Loop: Header=BB2_2591 Depth=2
	s_or_b64 exec, exec, s[52:53]
.LBB2_3589:                             ;   in Loop: Header=BB2_2591 Depth=2
	s_or_b64 exec, exec, s[18:19]
	v_lshrrev_b16_e32 v2, 8, v10
	v_cmp_ne_u16_e32 vcc, 0, v2
	s_and_saveexec_b64 s[18:19], vcc
	s_cbranch_execz .LBB2_3595
; %bb.3590:                             ;   in Loop: Header=BB2_2591 Depth=2
	v_cmp_ne_u16_e32 vcc, s69, v2
	v_bfrev_b32_e32 v3, 1
	s_and_saveexec_b64 s[52:53], vcc
	s_cbranch_execz .LBB2_3594
; %bb.3591:                             ;   in Loop: Header=BB2_2591 Depth=2
	v_and_b32_e32 v14, 0x7f, v2
	v_cmp_ne_u32_e32 vcc, s68, v14
	v_mov_b32_e32 v3, 0x7f800001
	s_and_saveexec_b64 s[54:55], vcc
	s_cbranch_execz .LBB2_3593
; %bb.3592:                             ;   in Loop: Header=BB2_2591 Depth=2
	v_and_b32_e32 v22, 7, v2
	v_ffbh_u32_e32 v3, v22
	v_min_u32_e32 v25, 32, v3
	v_subrev_u32_e32 v3, 28, v25
	v_lshlrev_b64 v[2:3], v3, v[2:3]
	v_lshrrev_b32_e32 v23, 3, v14
	v_sub_u32_e32 v3, 29, v25
	v_and_b32_e32 v2, 7, v2
	v_cmp_gt_u32_e32 vcc, 8, v14
	v_cndmask_b32_e32 v3, v23, v3, vcc
	v_cndmask_b32_e32 v2, v22, v2, vcc
	v_lshlrev_b32_e32 v14, 16, v10
	v_lshlrev_b32_e32 v2, 20, v2
	v_and_b32_e32 v14, 0x80000000, v14
	v_lshl_add_u32 v3, v3, 23, v50
	v_or3_b32 v3, v14, v3, v2
.LBB2_3593:                             ;   in Loop: Header=BB2_2591 Depth=2
	s_or_b64 exec, exec, s[54:55]
.LBB2_3594:                             ;   in Loop: Header=BB2_2591 Depth=2
	s_or_b64 exec, exec, s[52:53]
.LBB2_3595:                             ;   in Loop: Header=BB2_2591 Depth=2
	s_or_b64 exec, exec, s[18:19]
	v_add_f32_e32 v2, v20, v3
	v_and_b32_sdwa v14, v2, s69 dst_sel:DWORD dst_unused:UNUSED_PAD src0_sel:BYTE_3 src1_sel:DWORD
	v_and_b32_e32 v22, 0x7f800000, v2
	v_mov_b32_e32 v23, v37
	v_and_b32_e32 v36, 0x7fffff, v2
	v_or_b32_e32 v20, 0x7e, v14
	v_cmp_ne_u64_e32 vcc, s[38:39], v[22:23]
	s_and_saveexec_b64 s[18:19], vcc
	s_xor_b64 s[52:53], exec, s[18:19]
	s_cbranch_execz .LBB2_3605
; %bb.3596:                             ;   in Loop: Header=BB2_2591 Depth=2
	v_and_b32_e32 v22, 0x7fffffff, v2
	v_mov_b32_e32 v23, v37
	v_cmp_gt_u64_e32 vcc, s[40:41], v[22:23]
	s_and_saveexec_b64 s[54:55], vcc
	s_cbranch_execz .LBB2_3604
; %bb.3597:                             ;   in Loop: Header=BB2_2591 Depth=2
	v_cmp_ne_u32_e32 vcc, 0, v2
	v_mov_b32_e32 v20, 0
	s_and_saveexec_b64 s[56:57], vcc
	s_cbranch_execz .LBB2_3603
; %bb.3598:                             ;   in Loop: Header=BB2_2591 Depth=2
	v_bfe_u32 v2, v2, 23, 8
	v_sub_u32_e32 v20, 0x79, v2
	v_cmp_gt_u32_e32 vcc, s71, v2
	v_add_u32_e32 v3, 0xffffff81, v2
	v_cndmask_b32_e32 v20, 0, v20, vcc
	v_cmp_eq_u32_e32 vcc, 0, v2
	v_mov_b32_e32 v2, 0xffffff82
	v_cndmask_b32_e32 v25, v3, v2, vcc
	v_mov_b32_e32 v2, 0x78
	v_or_b32_e32 v22, 0x800000, v36
	v_cndmask_b32_e32 v20, v20, v2, vcc
	v_cndmask_b32_e32 v36, v22, v36, vcc
	v_add_u32_e32 v2, 20, v20
	v_lshlrev_b64 v[2:3], v2, -1
	v_lshrrev_b64 v[50:51], v20, v[36:37]
	v_not_b32_e32 v3, v3
	v_not_b32_e32 v2, v2
	v_add_u32_e32 v22, 19, v20
	v_lshrrev_b32_e32 v31, 23, v50
	v_and_b32_e32 v3, 0, v3
	v_and_b32_e32 v2, v36, v2
	v_lshlrev_b64 v[22:23], v22, 1
	v_add3_u32 v31, v20, v25, v31
	v_bfe_u32 v20, v50, 20, 1
	v_add_u32_e32 v20, -1, v20
	v_cmp_eq_u64_e32 vcc, v[2:3], v[22:23]
	v_cndmask_b32_e32 v2, 0, v20, vcc
	v_add_u32_e32 v2, v2, v50
	v_and_b32_e32 v2, 0xfffff, v2
	v_add_co_u32_e32 v2, vcc, v2, v50
	v_add_u32_e32 v25, 6, v31
	v_addc_co_u32_e32 v3, vcc, 0, v51, vcc
	v_cmp_ne_u32_e32 vcc, 0, v25
                                        ; implicit-def: $vgpr20
	s_and_saveexec_b64 s[18:19], vcc
	s_xor_b64 s[18:19], exec, s[18:19]
; %bb.3599:                             ;   in Loop: Header=BB2_2591 Depth=2
	v_cmp_lt_u64_e32 vcc, s[44:45], v[2:3]
	v_add_u32_e32 v20, 7, v31
	v_cndmask_b32_e64 v22, 0, 1, vcc
	v_cndmask_b32_e32 v20, v25, v20, vcc
	v_lshrrev_b64 v[2:3], v22, v[2:3]
; %bb.3600:                             ;   in Loop: Header=BB2_2591 Depth=2
	s_andn2_saveexec_b64 s[18:19], s[18:19]
; %bb.3601:                             ;   in Loop: Header=BB2_2591 Depth=2
	v_bfe_u32 v20, v2, 23, 1
; %bb.3602:                             ;   in Loop: Header=BB2_2591 Depth=2
	s_or_b64 exec, exec, s[18:19]
	v_lshrrev_b64 v[2:3], 20, v[2:3]
	v_cmp_gt_i32_e32 vcc, 16, v20
	v_cndmask_b32_e32 v3, 0, v3, vcc
	v_cndmask_b32_e32 v2, 7, v2, vcc
	v_cmp_eq_u64_e64 s[18:19], 0, v[2:3]
	v_min_i32_e32 v3, 15, v20
	v_cmp_eq_u32_e32 vcc, 0, v20
	v_lshlrev_b32_e32 v3, 3, v3
	v_and_or_b32 v2, v2, 7, v3
	s_and_b64 s[18:19], vcc, s[18:19]
	v_cndmask_b32_e64 v2, v2, 0, s[18:19]
	v_or_b32_e32 v20, v2, v14
	v_bfrev_b32_e32 v50, 60
.LBB2_3603:                             ;   in Loop: Header=BB2_2591 Depth=2
	s_or_b64 exec, exec, s[56:57]
.LBB2_3604:                             ;   in Loop: Header=BB2_2591 Depth=2
	s_or_b64 exec, exec, s[54:55]
                                        ; implicit-def: $vgpr2
.LBB2_3605:                             ;   in Loop: Header=BB2_2591 Depth=2
	s_andn2_saveexec_b64 s[18:19], s[52:53]
; %bb.3606:                             ;   in Loop: Header=BB2_2591 Depth=2
	v_or_b32_sdwa v2, v2, s68 dst_sel:DWORD dst_unused:UNUSED_PAD src0_sel:BYTE_3 src1_sel:DWORD
	v_cmp_eq_u64_e32 vcc, 0, v[36:37]
	v_cndmask_b32_e32 v20, v2, v20, vcc
; %bb.3607:                             ;   in Loop: Header=BB2_2591 Depth=2
	s_or_b64 exec, exec, s[18:19]
	v_cmp_ne_u16_sdwa vcc, v56, v37 src0_sel:BYTE_0 src1_sel:DWORD
	v_mov_b32_e32 v3, 0
	v_mov_b32_e32 v14, 0
	s_and_saveexec_b64 s[18:19], vcc
	s_cbranch_execz .LBB2_3613
; %bb.3608:                             ;   in Loop: Header=BB2_2591 Depth=2
	v_cmp_ne_u16_sdwa vcc, v56, s69 src0_sel:BYTE_0 src1_sel:DWORD
	v_bfrev_b32_e32 v14, 1
	s_and_saveexec_b64 s[52:53], vcc
	s_cbranch_execz .LBB2_3612
; %bb.3609:                             ;   in Loop: Header=BB2_2591 Depth=2
	v_and_b32_e32 v2, 0x7f, v56
	v_cmp_ne_u32_e32 vcc, s68, v2
	v_mov_b32_e32 v14, 0x7f800001
	s_and_saveexec_b64 s[54:55], vcc
	s_cbranch_execz .LBB2_3611
; %bb.3610:                             ;   in Loop: Header=BB2_2591 Depth=2
	v_and_b32_e32 v14, 7, v56
	v_ffbh_u32_e32 v22, v14
	v_min_u32_e32 v31, 32, v22
	v_subrev_u32_e32 v22, 28, v31
	v_lshlrev_b64 v[22:23], v22, v[56:57]
	v_lshrrev_b32_e32 v25, 3, v2
	v_sub_u32_e32 v23, 29, v31
	v_and_b32_e32 v22, 7, v22
	v_cmp_gt_u32_e32 vcc, 8, v2
	v_cndmask_b32_e32 v2, v25, v23, vcc
	v_cndmask_b32_e32 v14, v14, v22, vcc
	v_lshlrev_b32_e32 v22, 24, v56
	v_lshlrev_b32_e32 v14, 20, v14
	v_and_b32_e32 v22, 0x80000000, v22
	v_lshl_add_u32 v2, v2, 23, v50
	v_or3_b32 v14, v22, v2, v14
.LBB2_3611:                             ;   in Loop: Header=BB2_2591 Depth=2
	s_or_b64 exec, exec, s[54:55]
.LBB2_3612:                             ;   in Loop: Header=BB2_2591 Depth=2
	s_or_b64 exec, exec, s[52:53]
.LBB2_3613:                             ;   in Loop: Header=BB2_2591 Depth=2
	s_or_b64 exec, exec, s[18:19]
	v_lshrrev_b32_e32 v2, 16, v10
	v_cmp_ne_u16_sdwa vcc, v2, v37 src0_sel:BYTE_0 src1_sel:DWORD
	s_and_saveexec_b64 s[18:19], vcc
	s_cbranch_execz .LBB2_3619
; %bb.3614:                             ;   in Loop: Header=BB2_2591 Depth=2
	v_cmp_ne_u16_sdwa vcc, v2, s69 src0_sel:BYTE_0 src1_sel:DWORD
	v_bfrev_b32_e32 v3, 1
	s_and_saveexec_b64 s[52:53], vcc
	s_cbranch_execz .LBB2_3618
; %bb.3615:                             ;   in Loop: Header=BB2_2591 Depth=2
	v_bfe_u32 v25, v10, 16, 7
	v_cmp_ne_u32_e32 vcc, s68, v25
	v_mov_b32_e32 v3, 0x7f800001
	s_and_saveexec_b64 s[54:55], vcc
	s_cbranch_execz .LBB2_3617
; %bb.3616:                             ;   in Loop: Header=BB2_2591 Depth=2
	v_and_b32_e32 v22, 7, v2
	v_ffbh_u32_e32 v3, v22
	v_min_u32_e32 v31, 32, v3
	v_subrev_u32_e32 v3, 28, v31
	v_lshlrev_b64 v[2:3], v3, v[2:3]
	v_lshrrev_b32_e32 v23, 3, v25
	v_sub_u32_e32 v3, 29, v31
	v_and_b32_e32 v2, 7, v2
	v_cmp_gt_u32_e32 vcc, 8, v25
	v_cndmask_b32_e32 v3, v23, v3, vcc
	v_cndmask_b32_e32 v2, v22, v2, vcc
	v_lshlrev_b32_e32 v22, 8, v10
	v_lshlrev_b32_e32 v2, 20, v2
	v_and_b32_e32 v22, 0x80000000, v22
	v_lshl_add_u32 v3, v3, 23, v50
	v_or3_b32 v3, v22, v3, v2
.LBB2_3617:                             ;   in Loop: Header=BB2_2591 Depth=2
	s_or_b64 exec, exec, s[54:55]
.LBB2_3618:                             ;   in Loop: Header=BB2_2591 Depth=2
	s_or_b64 exec, exec, s[52:53]
.LBB2_3619:                             ;   in Loop: Header=BB2_2591 Depth=2
	s_or_b64 exec, exec, s[18:19]
	v_add_f32_e32 v2, v14, v3
	v_and_b32_sdwa v14, v2, s69 dst_sel:DWORD dst_unused:UNUSED_PAD src0_sel:BYTE_3 src1_sel:DWORD
	v_and_b32_e32 v22, 0x7f800000, v2
	v_mov_b32_e32 v23, v37
	v_and_b32_e32 v36, 0x7fffff, v2
	v_or_b32_e32 v25, 0x7e, v14
	v_cmp_ne_u64_e32 vcc, s[38:39], v[22:23]
	s_and_saveexec_b64 s[18:19], vcc
	s_xor_b64 s[52:53], exec, s[18:19]
	s_cbranch_execz .LBB2_3629
; %bb.3620:                             ;   in Loop: Header=BB2_2591 Depth=2
	v_and_b32_e32 v22, 0x7fffffff, v2
	v_mov_b32_e32 v23, v37
	v_cmp_gt_u64_e32 vcc, s[40:41], v[22:23]
	s_and_saveexec_b64 s[54:55], vcc
	s_cbranch_execz .LBB2_3628
; %bb.3621:                             ;   in Loop: Header=BB2_2591 Depth=2
	v_cmp_ne_u32_e32 vcc, 0, v2
	v_mov_b32_e32 v25, 0
	s_and_saveexec_b64 s[56:57], vcc
	s_cbranch_execz .LBB2_3627
; %bb.3622:                             ;   in Loop: Header=BB2_2591 Depth=2
	v_bfe_u32 v2, v2, 23, 8
	v_sub_u32_e32 v22, 0x79, v2
	v_cmp_gt_u32_e32 vcc, s71, v2
	v_add_u32_e32 v3, 0xffffff81, v2
	v_cndmask_b32_e32 v22, 0, v22, vcc
	v_cmp_eq_u32_e32 vcc, 0, v2
	v_mov_b32_e32 v2, 0xffffff82
	v_cndmask_b32_e32 v25, v3, v2, vcc
	v_mov_b32_e32 v2, 0x78
	v_or_b32_e32 v23, 0x800000, v36
	v_cndmask_b32_e32 v31, v22, v2, vcc
	v_cndmask_b32_e32 v36, v23, v36, vcc
	v_add_u32_e32 v2, 20, v31
	v_lshlrev_b64 v[2:3], v2, -1
	v_lshrrev_b64 v[50:51], v31, v[36:37]
	v_not_b32_e32 v3, v3
	v_not_b32_e32 v2, v2
	v_add_u32_e32 v22, 19, v31
	v_lshrrev_b32_e32 v33, 23, v50
	v_and_b32_e32 v3, 0, v3
	v_and_b32_e32 v2, v36, v2
	v_lshlrev_b64 v[22:23], v22, 1
	v_add3_u32 v33, v31, v25, v33
	v_bfe_u32 v25, v50, 20, 1
	v_add_u32_e32 v25, -1, v25
	v_cmp_eq_u64_e32 vcc, v[2:3], v[22:23]
	v_cndmask_b32_e32 v2, 0, v25, vcc
	v_add_u32_e32 v2, v2, v50
	v_and_b32_e32 v2, 0xfffff, v2
	v_add_co_u32_e32 v2, vcc, v2, v50
	v_add_u32_e32 v31, 6, v33
	v_addc_co_u32_e32 v3, vcc, 0, v51, vcc
	v_cmp_ne_u32_e32 vcc, 0, v31
                                        ; implicit-def: $vgpr25
	s_and_saveexec_b64 s[18:19], vcc
	s_xor_b64 s[18:19], exec, s[18:19]
; %bb.3623:                             ;   in Loop: Header=BB2_2591 Depth=2
	v_add_u32_e32 v22, 7, v33
	v_cmp_lt_u64_e32 vcc, s[44:45], v[2:3]
	v_cndmask_b32_e32 v25, v31, v22, vcc
	v_cndmask_b32_e64 v22, 0, 1, vcc
	v_lshrrev_b64 v[2:3], v22, v[2:3]
; %bb.3624:                             ;   in Loop: Header=BB2_2591 Depth=2
	s_andn2_saveexec_b64 s[18:19], s[18:19]
; %bb.3625:                             ;   in Loop: Header=BB2_2591 Depth=2
	v_bfe_u32 v25, v2, 23, 1
; %bb.3626:                             ;   in Loop: Header=BB2_2591 Depth=2
	s_or_b64 exec, exec, s[18:19]
	v_lshrrev_b64 v[2:3], 20, v[2:3]
	v_cmp_gt_i32_e32 vcc, 16, v25
	v_cndmask_b32_e32 v3, 0, v3, vcc
	v_cndmask_b32_e32 v2, 7, v2, vcc
	v_cmp_eq_u64_e64 s[18:19], 0, v[2:3]
	v_min_i32_e32 v3, 15, v25
	v_cmp_eq_u32_e32 vcc, 0, v25
	v_lshlrev_b32_e32 v3, 3, v3
	v_and_or_b32 v2, v2, 7, v3
	s_and_b64 s[18:19], vcc, s[18:19]
	v_cndmask_b32_e64 v2, v2, 0, s[18:19]
	v_or_b32_e32 v25, v2, v14
	v_bfrev_b32_e32 v50, 60
.LBB2_3627:                             ;   in Loop: Header=BB2_2591 Depth=2
	s_or_b64 exec, exec, s[56:57]
.LBB2_3628:                             ;   in Loop: Header=BB2_2591 Depth=2
	s_or_b64 exec, exec, s[54:55]
                                        ; implicit-def: $vgpr2
.LBB2_3629:                             ;   in Loop: Header=BB2_2591 Depth=2
	s_andn2_saveexec_b64 s[18:19], s[52:53]
; %bb.3630:                             ;   in Loop: Header=BB2_2591 Depth=2
	v_or_b32_sdwa v2, v2, s68 dst_sel:DWORD dst_unused:UNUSED_PAD src0_sel:BYTE_3 src1_sel:DWORD
	v_cmp_eq_u64_e32 vcc, 0, v[36:37]
	v_cndmask_b32_e32 v25, v2, v25, vcc
; %bb.3631:                             ;   in Loop: Header=BB2_2591 Depth=2
	s_or_b64 exec, exec, s[18:19]
	v_lshlrev_b32_e32 v2, 8, v30
	v_and_b32_e32 v2, 0xff00, v2
	v_cmp_ne_u32_e32 vcc, 0, v2
	v_mov_b32_e32 v3, 0
	v_mov_b32_e32 v14, 0
	s_and_saveexec_b64 s[18:19], vcc
	s_cbranch_execz .LBB2_3637
; %bb.3632:                             ;   in Loop: Header=BB2_2591 Depth=2
	v_cmp_ne_u32_e32 vcc, s73, v2
	v_bfrev_b32_e32 v14, 1
	s_and_saveexec_b64 s[52:53], vcc
	s_cbranch_execz .LBB2_3636
; %bb.3633:                             ;   in Loop: Header=BB2_2591 Depth=2
	v_bfe_u32 v30, v2, 8, 7
	v_cmp_ne_u32_e32 vcc, s68, v30
	v_mov_b32_e32 v14, 0x7f800001
	s_and_saveexec_b64 s[54:55], vcc
	s_cbranch_execz .LBB2_3635
; %bb.3634:                             ;   in Loop: Header=BB2_2591 Depth=2
	v_lshrrev_b32_e32 v14, 8, v2
	v_and_b32_e32 v31, 7, v14
	v_ffbh_u32_e32 v22, v31
	v_min_u32_e32 v35, 32, v22
	v_subrev_u32_e32 v22, 28, v35
	v_lshlrev_b64 v[22:23], v22, v[14:15]
	v_lshrrev_b32_e32 v33, 3, v30
	v_sub_u32_e32 v14, 29, v35
	v_and_b32_e32 v22, 7, v22
	v_cmp_gt_u32_e32 vcc, 8, v30
	v_cndmask_b32_e32 v14, v33, v14, vcc
	v_cndmask_b32_e32 v22, v31, v22, vcc
	v_lshlrev_b32_e32 v2, 16, v2
	v_lshlrev_b32_e32 v22, 20, v22
	v_and_b32_e32 v2, 0x80000000, v2
	v_lshl_add_u32 v14, v14, 23, v50
	v_or3_b32 v14, v2, v14, v22
.LBB2_3635:                             ;   in Loop: Header=BB2_2591 Depth=2
	s_or_b64 exec, exec, s[54:55]
.LBB2_3636:                             ;   in Loop: Header=BB2_2591 Depth=2
	s_or_b64 exec, exec, s[52:53]
.LBB2_3637:                             ;   in Loop: Header=BB2_2591 Depth=2
	s_or_b64 exec, exec, s[18:19]
	v_cmp_lt_u32_e32 vcc, s43, v10
	s_and_saveexec_b64 s[18:19], vcc
	s_cbranch_execz .LBB2_3643
; %bb.3638:                             ;   in Loop: Header=BB2_2591 Depth=2
	v_lshrrev_b32_e32 v2, 24, v10
	v_cmp_ne_u32_e32 vcc, s69, v2
	v_bfrev_b32_e32 v3, 1
	s_and_saveexec_b64 s[52:53], vcc
	s_cbranch_execz .LBB2_3642
; %bb.3639:                             ;   in Loop: Header=BB2_2591 Depth=2
	v_bfe_u32 v30, v10, 24, 7
	v_cmp_ne_u32_e32 vcc, s68, v30
	v_mov_b32_e32 v3, 0x7f800001
	s_and_saveexec_b64 s[54:55], vcc
	s_cbranch_execz .LBB2_3641
; %bb.3640:                             ;   in Loop: Header=BB2_2591 Depth=2
	v_and_b32_e32 v3, 7, v2
	v_ffbh_u32_e32 v22, v3
	v_min_u32_e32 v33, 32, v22
	v_subrev_u32_e32 v22, 28, v33
	v_lshlrev_b64 v[22:23], v22, v[2:3]
	v_lshrrev_b32_e32 v31, 3, v30
	v_sub_u32_e32 v23, 29, v33
	v_and_b32_e32 v22, 7, v22
	v_cmp_gt_u32_e32 vcc, 8, v30
	v_cndmask_b32_e32 v23, v31, v23, vcc
	v_cndmask_b32_e32 v3, v3, v22, vcc
	v_lshlrev_b32_e32 v2, 24, v2
	v_lshlrev_b32_e32 v3, 20, v3
	v_and_b32_e32 v2, 0x80000000, v2
	v_lshl_add_u32 v22, v23, 23, v50
	v_or3_b32 v3, v2, v22, v3
.LBB2_3641:                             ;   in Loop: Header=BB2_2591 Depth=2
	s_or_b64 exec, exec, s[54:55]
.LBB2_3642:                             ;   in Loop: Header=BB2_2591 Depth=2
	s_or_b64 exec, exec, s[52:53]
.LBB2_3643:                             ;   in Loop: Header=BB2_2591 Depth=2
	s_or_b64 exec, exec, s[18:19]
	v_add_f32_e32 v2, v14, v3
	v_and_b32_sdwa v14, v2, s69 dst_sel:DWORD dst_unused:UNUSED_PAD src0_sel:BYTE_3 src1_sel:DWORD
	v_and_b32_e32 v22, 0x7f800000, v2
	v_mov_b32_e32 v23, v37
	v_and_b32_e32 v36, 0x7fffff, v2
	v_or_b32_e32 v30, 0x7e, v14
	v_cmp_ne_u64_e32 vcc, s[38:39], v[22:23]
	s_and_saveexec_b64 s[18:19], vcc
	s_xor_b64 s[52:53], exec, s[18:19]
	s_cbranch_execz .LBB2_3653
; %bb.3644:                             ;   in Loop: Header=BB2_2591 Depth=2
	v_and_b32_e32 v22, 0x7fffffff, v2
	v_mov_b32_e32 v23, v37
	v_cmp_gt_u64_e32 vcc, s[40:41], v[22:23]
	s_and_saveexec_b64 s[54:55], vcc
	s_cbranch_execz .LBB2_3652
; %bb.3645:                             ;   in Loop: Header=BB2_2591 Depth=2
	v_cmp_ne_u32_e32 vcc, 0, v2
	v_mov_b32_e32 v30, 0
	s_and_saveexec_b64 s[56:57], vcc
	s_cbranch_execz .LBB2_3651
; %bb.3646:                             ;   in Loop: Header=BB2_2591 Depth=2
	v_bfe_u32 v2, v2, 23, 8
	v_sub_u32_e32 v22, 0x79, v2
	v_cmp_gt_u32_e32 vcc, s71, v2
	v_add_u32_e32 v3, 0xffffff81, v2
	v_cndmask_b32_e32 v22, 0, v22, vcc
	v_cmp_eq_u32_e32 vcc, 0, v2
	v_mov_b32_e32 v2, 0xffffff82
	v_cndmask_b32_e32 v30, v3, v2, vcc
	v_mov_b32_e32 v2, 0x78
	v_or_b32_e32 v23, 0x800000, v36
	v_cndmask_b32_e32 v31, v22, v2, vcc
	v_cndmask_b32_e32 v36, v23, v36, vcc
	v_add_u32_e32 v2, 20, v31
	v_lshlrev_b64 v[2:3], v2, -1
	v_lshrrev_b64 v[50:51], v31, v[36:37]
	v_not_b32_e32 v3, v3
	v_not_b32_e32 v2, v2
	v_add_u32_e32 v22, 19, v31
	v_lshrrev_b32_e32 v33, 23, v50
	v_and_b32_e32 v3, 0, v3
	v_and_b32_e32 v2, v36, v2
	v_lshlrev_b64 v[22:23], v22, 1
	v_add3_u32 v33, v31, v30, v33
	v_bfe_u32 v30, v50, 20, 1
	v_add_u32_e32 v30, -1, v30
	v_cmp_eq_u64_e32 vcc, v[2:3], v[22:23]
	v_cndmask_b32_e32 v2, 0, v30, vcc
	v_add_u32_e32 v2, v2, v50
	v_and_b32_e32 v2, 0xfffff, v2
	v_add_co_u32_e32 v2, vcc, v2, v50
	v_add_u32_e32 v31, 6, v33
	v_addc_co_u32_e32 v3, vcc, 0, v51, vcc
	v_cmp_ne_u32_e32 vcc, 0, v31
                                        ; implicit-def: $vgpr30
	s_and_saveexec_b64 s[18:19], vcc
	s_xor_b64 s[18:19], exec, s[18:19]
; %bb.3647:                             ;   in Loop: Header=BB2_2591 Depth=2
	v_add_u32_e32 v22, 7, v33
	v_cmp_lt_u64_e32 vcc, s[44:45], v[2:3]
	v_cndmask_b32_e32 v30, v31, v22, vcc
	v_cndmask_b32_e64 v22, 0, 1, vcc
	v_lshrrev_b64 v[2:3], v22, v[2:3]
; %bb.3648:                             ;   in Loop: Header=BB2_2591 Depth=2
	s_andn2_saveexec_b64 s[18:19], s[18:19]
; %bb.3649:                             ;   in Loop: Header=BB2_2591 Depth=2
	v_bfe_u32 v30, v2, 23, 1
; %bb.3650:                             ;   in Loop: Header=BB2_2591 Depth=2
	s_or_b64 exec, exec, s[18:19]
	v_lshrrev_b64 v[2:3], 20, v[2:3]
	v_cmp_gt_i32_e32 vcc, 16, v30
	v_cndmask_b32_e32 v3, 0, v3, vcc
	v_cndmask_b32_e32 v2, 7, v2, vcc
	v_cmp_eq_u64_e64 s[18:19], 0, v[2:3]
	v_min_i32_e32 v3, 15, v30
	v_cmp_eq_u32_e32 vcc, 0, v30
	v_lshlrev_b32_e32 v3, 3, v3
	v_and_or_b32 v2, v2, 7, v3
	s_and_b64 s[18:19], vcc, s[18:19]
	v_cndmask_b32_e64 v2, v2, 0, s[18:19]
	v_or_b32_e32 v30, v2, v14
	v_bfrev_b32_e32 v50, 60
.LBB2_3651:                             ;   in Loop: Header=BB2_2591 Depth=2
	s_or_b64 exec, exec, s[56:57]
.LBB2_3652:                             ;   in Loop: Header=BB2_2591 Depth=2
	s_or_b64 exec, exec, s[54:55]
                                        ; implicit-def: $vgpr2
.LBB2_3653:                             ;   in Loop: Header=BB2_2591 Depth=2
	s_andn2_saveexec_b64 s[18:19], s[52:53]
; %bb.3654:                             ;   in Loop: Header=BB2_2591 Depth=2
	v_or_b32_sdwa v2, v2, s68 dst_sel:DWORD dst_unused:UNUSED_PAD src0_sel:BYTE_3 src1_sel:DWORD
	v_cmp_eq_u64_e32 vcc, 0, v[36:37]
	v_cndmask_b32_e32 v30, v2, v30, vcc
; %bb.3655:                             ;   in Loop: Header=BB2_2591 Depth=2
	s_or_b64 exec, exec, s[18:19]
	v_lshlrev_b32_e32 v14, 8, v21
	v_lshlrev_b32_e32 v2, 24, v32
	v_perm_b32 v3, v34, v48, s74
	v_or3_b32 v36, v3, v2, v14
	v_cmp_ne_u16_sdwa vcc, v48, v37 src0_sel:BYTE_0 src1_sel:DWORD
	v_mov_b32_e32 v3, 0
	v_mov_b32_e32 v2, 0
	s_and_saveexec_b64 s[18:19], vcc
	s_cbranch_execz .LBB2_3661
; %bb.3656:                             ;   in Loop: Header=BB2_2591 Depth=2
	v_cmp_ne_u16_sdwa vcc, v48, s69 src0_sel:BYTE_0 src1_sel:DWORD
	v_bfrev_b32_e32 v2, 1
	s_and_saveexec_b64 s[52:53], vcc
	s_cbranch_execz .LBB2_3660
; %bb.3657:                             ;   in Loop: Header=BB2_2591 Depth=2
	v_and_b32_e32 v21, 0x7f, v48
	v_cmp_ne_u32_e32 vcc, s68, v21
	v_mov_b32_e32 v2, 0x7f800001
	s_and_saveexec_b64 s[54:55], vcc
	s_cbranch_execz .LBB2_3659
; %bb.3658:                             ;   in Loop: Header=BB2_2591 Depth=2
	v_and_b32_e32 v2, 7, v48
	v_ffbh_u32_e32 v2, v2
	v_min_u32_e32 v2, 32, v2
	v_subrev_u32_e32 v23, 28, v2
	v_cmp_gt_u32_e32 vcc, 8, v21
	v_lshrrev_b32_e32 v22, 3, v21
	v_sub_u32_e32 v2, 29, v2
	v_cndmask_b32_e32 v21, 0, v23, vcc
	v_cndmask_b32_e32 v2, v22, v2, vcc
	v_lshlrev_b64 v[22:23], v21, v[36:37]
	v_lshlrev_b32_e32 v21, 20, v22
	v_lshlrev_b32_e32 v22, 24, v36
	v_and_b32_e32 v21, 0x700000, v21
	v_and_b32_e32 v22, 0x80000000, v22
	v_lshl_add_u32 v2, v2, 23, v50
	v_or3_b32 v2, v22, v2, v21
.LBB2_3659:                             ;   in Loop: Header=BB2_2591 Depth=2
	s_or_b64 exec, exec, s[54:55]
.LBB2_3660:                             ;   in Loop: Header=BB2_2591 Depth=2
	s_or_b64 exec, exec, s[52:53]
.LBB2_3661:                             ;   in Loop: Header=BB2_2591 Depth=2
	s_or_b64 exec, exec, s[18:19]
	v_cmp_ne_u16_sdwa vcc, v11, v37 src0_sel:BYTE_0 src1_sel:DWORD
	s_and_saveexec_b64 s[18:19], vcc
	s_cbranch_execz .LBB2_3667
; %bb.3662:                             ;   in Loop: Header=BB2_2591 Depth=2
	v_cmp_ne_u16_sdwa vcc, v11, s69 src0_sel:BYTE_0 src1_sel:DWORD
	v_bfrev_b32_e32 v3, 1
	s_and_saveexec_b64 s[52:53], vcc
	s_cbranch_execz .LBB2_3666
; %bb.3663:                             ;   in Loop: Header=BB2_2591 Depth=2
	v_and_b32_e32 v21, 0x7f, v11
	v_cmp_ne_u32_e32 vcc, s68, v21
	v_mov_b32_e32 v3, 0x7f800001
	s_and_saveexec_b64 s[54:55], vcc
	s_cbranch_execz .LBB2_3665
; %bb.3664:                             ;   in Loop: Header=BB2_2591 Depth=2
	v_and_b32_e32 v3, 7, v11
	v_ffbh_u32_e32 v3, v3
	v_min_u32_e32 v3, 32, v3
	v_subrev_u32_e32 v32, 28, v3
	v_cmp_gt_u32_e32 vcc, 8, v21
	v_mov_b32_e32 v22, v11
	v_mov_b32_e32 v23, v37
	v_lshrrev_b32_e32 v31, 3, v21
	v_cndmask_b32_e32 v21, 0, v32, vcc
	v_sub_u32_e32 v3, 29, v3
	v_lshlrev_b64 v[32:33], v21, v[22:23]
	v_cndmask_b32_e32 v3, v31, v3, vcc
	v_lshlrev_b32_e32 v21, 20, v32
	v_lshlrev_b32_e32 v22, 24, v22
	v_and_b32_e32 v21, 0x700000, v21
	v_and_b32_e32 v22, 0x80000000, v22
	v_lshl_add_u32 v3, v3, 23, v50
	v_or3_b32 v3, v22, v3, v21
.LBB2_3665:                             ;   in Loop: Header=BB2_2591 Depth=2
	s_or_b64 exec, exec, s[54:55]
.LBB2_3666:                             ;   in Loop: Header=BB2_2591 Depth=2
	s_or_b64 exec, exec, s[52:53]
.LBB2_3667:                             ;   in Loop: Header=BB2_2591 Depth=2
	s_or_b64 exec, exec, s[18:19]
	v_add_f32_e32 v32, v2, v3
	v_and_b32_sdwa v31, v32, s69 dst_sel:DWORD dst_unused:UNUSED_PAD src0_sel:BYTE_3 src1_sel:DWORD
	v_and_b32_e32 v22, 0x7f800000, v32
	v_mov_b32_e32 v23, v37
	v_and_b32_e32 v2, 0x7fffff, v32
	v_mov_b32_e32 v3, v37
	v_or_b32_e32 v21, 0x7e, v31
	v_cmp_ne_u64_e32 vcc, s[38:39], v[22:23]
	s_and_saveexec_b64 s[18:19], vcc
	s_xor_b64 s[52:53], exec, s[18:19]
	s_cbranch_execz .LBB2_3677
; %bb.3668:                             ;   in Loop: Header=BB2_2591 Depth=2
	v_and_b32_e32 v22, 0x7fffffff, v32
	v_mov_b32_e32 v23, v37
	v_cmp_gt_u64_e32 vcc, s[40:41], v[22:23]
	s_and_saveexec_b64 s[54:55], vcc
	s_cbranch_execz .LBB2_3676
; %bb.3669:                             ;   in Loop: Header=BB2_2591 Depth=2
	v_cmp_ne_u32_e32 vcc, 0, v32
	v_mov_b32_e32 v21, 0
	s_and_saveexec_b64 s[56:57], vcc
	s_cbranch_execz .LBB2_3675
; %bb.3670:                             ;   in Loop: Header=BB2_2591 Depth=2
	v_bfe_u32 v21, v32, 23, 8
	v_sub_u32_e32 v23, 0x79, v21
	v_cmp_gt_u32_e32 vcc, s71, v21
	v_add_u32_e32 v22, 0xffffff81, v21
	v_cndmask_b32_e32 v23, 0, v23, vcc
	v_cmp_eq_u32_e32 vcc, 0, v21
	v_mov_b32_e32 v21, 0xffffff82
	v_cndmask_b32_e32 v21, v22, v21, vcc
	v_mov_b32_e32 v22, 0x78
	v_cndmask_b32_e32 v33, v23, v22, vcc
	v_add_u32_e32 v22, 20, v33
	v_or_b32_e32 v32, 0x800000, v2
	v_lshlrev_b64 v[22:23], v22, -1
	v_cndmask_b32_e32 v2, v32, v2, vcc
	v_not_b32_e32 v22, v22
	v_and_b32_e32 v22, v2, v22
	v_add_u32_e32 v32, 19, v33
	v_lshrrev_b64 v[2:3], v33, v[2:3]
	v_not_b32_e32 v23, v23
	v_lshlrev_b64 v[34:35], v32, 1
	v_lshrrev_b32_e32 v32, 23, v2
	v_and_b32_e32 v23, 0, v23
	v_add3_u32 v33, v33, v21, v32
	v_bfe_u32 v21, v2, 20, 1
	v_add_u32_e32 v21, -1, v21
	v_cmp_eq_u64_e32 vcc, v[22:23], v[34:35]
	v_cndmask_b32_e32 v21, 0, v21, vcc
	v_add_u32_e32 v21, v21, v2
	v_and_b32_e32 v21, 0xfffff, v21
	v_add_co_u32_e32 v2, vcc, v21, v2
	v_add_u32_e32 v32, 6, v33
	v_addc_co_u32_e32 v3, vcc, 0, v3, vcc
	v_cmp_ne_u32_e32 vcc, 0, v32
                                        ; implicit-def: $vgpr21
	s_and_saveexec_b64 s[18:19], vcc
	s_xor_b64 s[18:19], exec, s[18:19]
; %bb.3671:                             ;   in Loop: Header=BB2_2591 Depth=2
	v_cmp_lt_u64_e32 vcc, s[44:45], v[2:3]
	v_add_u32_e32 v21, 7, v33
	v_cndmask_b32_e64 v22, 0, 1, vcc
	v_cndmask_b32_e32 v21, v32, v21, vcc
	v_lshrrev_b64 v[2:3], v22, v[2:3]
; %bb.3672:                             ;   in Loop: Header=BB2_2591 Depth=2
	s_andn2_saveexec_b64 s[18:19], s[18:19]
; %bb.3673:                             ;   in Loop: Header=BB2_2591 Depth=2
	v_bfe_u32 v21, v2, 23, 1
; %bb.3674:                             ;   in Loop: Header=BB2_2591 Depth=2
	s_or_b64 exec, exec, s[18:19]
	v_lshrrev_b64 v[2:3], 20, v[2:3]
	v_cmp_gt_i32_e32 vcc, 16, v21
	v_cndmask_b32_e32 v3, 0, v3, vcc
	v_cndmask_b32_e32 v2, 7, v2, vcc
	v_cmp_eq_u64_e64 s[18:19], 0, v[2:3]
	v_min_i32_e32 v3, 15, v21
	v_cmp_eq_u32_e32 vcc, 0, v21
	v_lshlrev_b32_e32 v3, 3, v3
	v_and_or_b32 v2, v2, 7, v3
	s_and_b64 s[18:19], vcc, s[18:19]
	v_cndmask_b32_e64 v2, v2, 0, s[18:19]
	v_or_b32_e32 v21, v2, v31
.LBB2_3675:                             ;   in Loop: Header=BB2_2591 Depth=2
	s_or_b64 exec, exec, s[56:57]
.LBB2_3676:                             ;   in Loop: Header=BB2_2591 Depth=2
	s_or_b64 exec, exec, s[54:55]
                                        ; implicit-def: $vgpr32
                                        ; implicit-def: $vgpr2_vgpr3
.LBB2_3677:                             ;   in Loop: Header=BB2_2591 Depth=2
	s_andn2_saveexec_b64 s[18:19], s[52:53]
; %bb.3678:                             ;   in Loop: Header=BB2_2591 Depth=2
	v_or_b32_sdwa v22, v32, s68 dst_sel:DWORD dst_unused:UNUSED_PAD src0_sel:BYTE_3 src1_sel:DWORD
	v_cmp_eq_u64_e32 vcc, 0, v[2:3]
	v_cndmask_b32_e32 v21, v22, v21, vcc
; %bb.3679:                             ;   in Loop: Header=BB2_2591 Depth=2
	s_or_b64 exec, exec, s[18:19]
	v_lshrrev_b16_e32 v2, 8, v14
	v_cmp_ne_u16_e32 vcc, 0, v2
	v_mov_b32_e32 v3, 0
	v_mov_b32_e32 v31, 0
	s_and_saveexec_b64 s[18:19], vcc
	s_cbranch_execz .LBB2_3685
; %bb.3680:                             ;   in Loop: Header=BB2_2591 Depth=2
	v_cmp_ne_u16_e32 vcc, s69, v2
	v_bfrev_b32_e32 v31, 1
	s_and_saveexec_b64 s[52:53], vcc
	s_cbranch_execz .LBB2_3684
; %bb.3681:                             ;   in Loop: Header=BB2_2591 Depth=2
	v_and_b32_e32 v32, 0x7f, v2
	v_cmp_ne_u32_e32 vcc, s68, v32
	v_mov_b32_e32 v31, 0x7f800001
	s_and_saveexec_b64 s[54:55], vcc
	s_cbranch_execz .LBB2_3683
; %bb.3682:                             ;   in Loop: Header=BB2_2591 Depth=2
	v_and_b32_e32 v31, 7, v2
	v_ffbh_u32_e32 v22, v31
	v_min_u32_e32 v34, 32, v22
	v_subrev_u32_e32 v22, 28, v34
	v_lshlrev_b64 v[22:23], v22, v[2:3]
	v_lshrrev_b32_e32 v33, 3, v32
	v_sub_u32_e32 v2, 29, v34
	v_and_b32_e32 v22, 7, v22
	v_cmp_gt_u32_e32 vcc, 8, v32
	v_cndmask_b32_e32 v2, v33, v2, vcc
	v_cndmask_b32_e32 v22, v31, v22, vcc
	v_lshlrev_b32_e32 v14, 16, v14
	v_lshlrev_b32_e32 v22, 20, v22
	v_and_b32_e32 v14, 0x80000000, v14
	v_lshl_add_u32 v2, v2, 23, v50
	v_or3_b32 v31, v14, v2, v22
.LBB2_3683:                             ;   in Loop: Header=BB2_2591 Depth=2
	s_or_b64 exec, exec, s[54:55]
.LBB2_3684:                             ;   in Loop: Header=BB2_2591 Depth=2
	s_or_b64 exec, exec, s[52:53]
.LBB2_3685:                             ;   in Loop: Header=BB2_2591 Depth=2
	s_or_b64 exec, exec, s[18:19]
	v_mov_b32_e32 v2, v11
	v_lshrrev_b16_e32 v14, 8, v2
	v_cmp_ne_u16_e32 vcc, 0, v14
	s_and_saveexec_b64 s[18:19], vcc
	s_cbranch_execz .LBB2_3691
; %bb.3686:                             ;   in Loop: Header=BB2_2591 Depth=2
	v_cmp_ne_u16_e32 vcc, s69, v14
	v_bfrev_b32_e32 v3, 1
	s_and_saveexec_b64 s[52:53], vcc
	s_cbranch_execz .LBB2_3690
; %bb.3687:                             ;   in Loop: Header=BB2_2591 Depth=2
	v_and_b32_e32 v32, 0x7f, v14
	v_cmp_ne_u32_e32 vcc, s68, v32
	v_mov_b32_e32 v3, 0x7f800001
	s_and_saveexec_b64 s[54:55], vcc
	s_cbranch_execz .LBB2_3689
; %bb.3688:                             ;   in Loop: Header=BB2_2591 Depth=2
	v_and_b32_e32 v3, 7, v14
	v_ffbh_u32_e32 v22, v3
	v_min_u32_e32 v34, 32, v22
	v_subrev_u32_e32 v22, 28, v34
	v_lshlrev_b64 v[22:23], v22, v[14:15]
	v_lshrrev_b32_e32 v33, 3, v32
	v_sub_u32_e32 v14, 29, v34
	v_and_b32_e32 v22, 7, v22
	v_cmp_gt_u32_e32 vcc, 8, v32
	v_cndmask_b32_e32 v14, v33, v14, vcc
	v_cndmask_b32_e32 v3, v3, v22, vcc
	v_lshlrev_b32_e32 v2, 16, v2
	v_lshlrev_b32_e32 v3, 20, v3
	v_and_b32_e32 v2, 0x80000000, v2
	v_lshl_add_u32 v14, v14, 23, v50
	v_or3_b32 v3, v2, v14, v3
.LBB2_3689:                             ;   in Loop: Header=BB2_2591 Depth=2
	s_or_b64 exec, exec, s[54:55]
.LBB2_3690:                             ;   in Loop: Header=BB2_2591 Depth=2
	s_or_b64 exec, exec, s[52:53]
.LBB2_3691:                             ;   in Loop: Header=BB2_2591 Depth=2
	s_or_b64 exec, exec, s[18:19]
	v_add_f32_e32 v32, v31, v3
	v_and_b32_sdwa v31, v32, s69 dst_sel:DWORD dst_unused:UNUSED_PAD src0_sel:BYTE_3 src1_sel:DWORD
	v_and_b32_e32 v22, 0x7f800000, v32
	v_mov_b32_e32 v23, v37
	v_and_b32_e32 v2, 0x7fffff, v32
	v_mov_b32_e32 v3, v37
	v_or_b32_e32 v14, 0x7e, v31
	v_cmp_ne_u64_e32 vcc, s[38:39], v[22:23]
	s_and_saveexec_b64 s[18:19], vcc
	s_xor_b64 s[52:53], exec, s[18:19]
	s_cbranch_execz .LBB2_3701
; %bb.3692:                             ;   in Loop: Header=BB2_2591 Depth=2
	v_and_b32_e32 v22, 0x7fffffff, v32
	v_mov_b32_e32 v23, v37
	v_cmp_gt_u64_e32 vcc, s[40:41], v[22:23]
	s_and_saveexec_b64 s[54:55], vcc
	s_cbranch_execz .LBB2_3700
; %bb.3693:                             ;   in Loop: Header=BB2_2591 Depth=2
	v_cmp_ne_u32_e32 vcc, 0, v32
	v_mov_b32_e32 v14, 0
	s_and_saveexec_b64 s[56:57], vcc
	s_cbranch_execz .LBB2_3699
; %bb.3694:                             ;   in Loop: Header=BB2_2591 Depth=2
	v_bfe_u32 v14, v32, 23, 8
	v_sub_u32_e32 v23, 0x79, v14
	v_cmp_gt_u32_e32 vcc, s71, v14
	v_add_u32_e32 v22, 0xffffff81, v14
	v_cndmask_b32_e32 v23, 0, v23, vcc
	v_cmp_eq_u32_e32 vcc, 0, v14
	v_mov_b32_e32 v14, 0xffffff82
	v_cndmask_b32_e32 v14, v22, v14, vcc
	v_mov_b32_e32 v22, 0x78
	v_cndmask_b32_e32 v33, v23, v22, vcc
	v_add_u32_e32 v22, 20, v33
	v_or_b32_e32 v32, 0x800000, v2
	v_lshlrev_b64 v[22:23], v22, -1
	v_cndmask_b32_e32 v2, v32, v2, vcc
	v_not_b32_e32 v22, v22
	v_and_b32_e32 v22, v2, v22
	v_add_u32_e32 v32, 19, v33
	v_lshrrev_b64 v[2:3], v33, v[2:3]
	v_not_b32_e32 v23, v23
	v_lshlrev_b64 v[34:35], v32, 1
	v_lshrrev_b32_e32 v32, 23, v2
	v_and_b32_e32 v23, 0, v23
	v_add3_u32 v33, v33, v14, v32
	v_bfe_u32 v14, v2, 20, 1
	v_add_u32_e32 v14, -1, v14
	v_cmp_eq_u64_e32 vcc, v[22:23], v[34:35]
	v_cndmask_b32_e32 v14, 0, v14, vcc
	v_add_u32_e32 v14, v14, v2
	v_and_b32_e32 v14, 0xfffff, v14
	v_add_co_u32_e32 v2, vcc, v14, v2
	v_add_u32_e32 v32, 6, v33
	v_addc_co_u32_e32 v3, vcc, 0, v3, vcc
	v_cmp_ne_u32_e32 vcc, 0, v32
                                        ; implicit-def: $vgpr14
	s_and_saveexec_b64 s[18:19], vcc
	s_xor_b64 s[18:19], exec, s[18:19]
; %bb.3695:                             ;   in Loop: Header=BB2_2591 Depth=2
	v_cmp_lt_u64_e32 vcc, s[44:45], v[2:3]
	v_add_u32_e32 v14, 7, v33
	v_cndmask_b32_e64 v22, 0, 1, vcc
	v_cndmask_b32_e32 v14, v32, v14, vcc
	v_lshrrev_b64 v[2:3], v22, v[2:3]
; %bb.3696:                             ;   in Loop: Header=BB2_2591 Depth=2
	s_andn2_saveexec_b64 s[18:19], s[18:19]
; %bb.3697:                             ;   in Loop: Header=BB2_2591 Depth=2
	v_bfe_u32 v14, v2, 23, 1
; %bb.3698:                             ;   in Loop: Header=BB2_2591 Depth=2
	s_or_b64 exec, exec, s[18:19]
	v_lshrrev_b64 v[2:3], 20, v[2:3]
	v_cmp_gt_i32_e32 vcc, 16, v14
	v_cndmask_b32_e32 v3, 0, v3, vcc
	v_cndmask_b32_e32 v2, 7, v2, vcc
	v_cmp_eq_u64_e64 s[18:19], 0, v[2:3]
	v_min_i32_e32 v3, 15, v14
	v_cmp_eq_u32_e32 vcc, 0, v14
	v_lshlrev_b32_e32 v3, 3, v3
	v_and_or_b32 v2, v2, 7, v3
	s_and_b64 s[18:19], vcc, s[18:19]
	v_cndmask_b32_e64 v2, v2, 0, s[18:19]
	v_or_b32_e32 v14, v2, v31
.LBB2_3699:                             ;   in Loop: Header=BB2_2591 Depth=2
	s_or_b64 exec, exec, s[56:57]
.LBB2_3700:                             ;   in Loop: Header=BB2_2591 Depth=2
	s_or_b64 exec, exec, s[54:55]
                                        ; implicit-def: $vgpr32
                                        ; implicit-def: $vgpr2_vgpr3
.LBB2_3701:                             ;   in Loop: Header=BB2_2591 Depth=2
	s_andn2_saveexec_b64 s[18:19], s[52:53]
; %bb.3702:                             ;   in Loop: Header=BB2_2591 Depth=2
	v_or_b32_sdwa v22, v32, s68 dst_sel:DWORD dst_unused:UNUSED_PAD src0_sel:BYTE_3 src1_sel:DWORD
	v_cmp_eq_u64_e32 vcc, 0, v[2:3]
	v_cndmask_b32_e32 v14, v22, v14, vcc
; %bb.3703:                             ;   in Loop: Header=BB2_2591 Depth=2
	s_or_b64 exec, exec, s[18:19]
	v_lshrrev_b32_e32 v2, 16, v36
	v_cmp_ne_u16_sdwa vcc, v2, v37 src0_sel:BYTE_0 src1_sel:DWORD
	v_mov_b32_e32 v3, 0
	v_mov_b32_e32 v31, 0
	s_and_saveexec_b64 s[18:19], vcc
	s_cbranch_execz .LBB2_3709
; %bb.3704:                             ;   in Loop: Header=BB2_2591 Depth=2
	v_cmp_ne_u16_sdwa vcc, v2, s69 src0_sel:BYTE_0 src1_sel:DWORD
	v_bfrev_b32_e32 v31, 1
	s_and_saveexec_b64 s[52:53], vcc
	s_cbranch_execz .LBB2_3708
; %bb.3705:                             ;   in Loop: Header=BB2_2591 Depth=2
	v_bfe_u32 v32, v36, 16, 7
	v_cmp_ne_u32_e32 vcc, s68, v32
	v_mov_b32_e32 v31, 0x7f800001
	s_and_saveexec_b64 s[54:55], vcc
	s_cbranch_execz .LBB2_3707
; %bb.3706:                             ;   in Loop: Header=BB2_2591 Depth=2
	v_and_b32_e32 v31, 7, v2
	v_ffbh_u32_e32 v22, v31
	v_min_u32_e32 v34, 32, v22
	v_subrev_u32_e32 v22, 28, v34
	v_lshlrev_b64 v[22:23], v22, v[2:3]
	v_lshrrev_b32_e32 v33, 3, v32
	v_sub_u32_e32 v23, 29, v34
	v_and_b32_e32 v22, 7, v22
	v_cmp_gt_u32_e32 vcc, 8, v32
	v_cndmask_b32_e32 v23, v33, v23, vcc
	v_cndmask_b32_e32 v22, v31, v22, vcc
	v_lshlrev_b32_e32 v2, 24, v2
	v_lshlrev_b32_e32 v22, 20, v22
	v_and_b32_e32 v2, 0x80000000, v2
	v_lshl_add_u32 v23, v23, 23, v50
	v_or3_b32 v31, v2, v23, v22
.LBB2_3707:                             ;   in Loop: Header=BB2_2591 Depth=2
	s_or_b64 exec, exec, s[54:55]
.LBB2_3708:                             ;   in Loop: Header=BB2_2591 Depth=2
	s_or_b64 exec, exec, s[52:53]
.LBB2_3709:                             ;   in Loop: Header=BB2_2591 Depth=2
	s_or_b64 exec, exec, s[18:19]
	v_lshrrev_b32_e32 v2, 16, v11
	v_cmp_ne_u16_sdwa vcc, v2, v37 src0_sel:BYTE_0 src1_sel:DWORD
	s_and_saveexec_b64 s[18:19], vcc
	s_cbranch_execz .LBB2_3715
; %bb.3710:                             ;   in Loop: Header=BB2_2591 Depth=2
	v_cmp_ne_u16_sdwa vcc, v2, s69 src0_sel:BYTE_0 src1_sel:DWORD
	v_bfrev_b32_e32 v3, 1
	s_and_saveexec_b64 s[52:53], vcc
	s_cbranch_execz .LBB2_3714
; %bb.3711:                             ;   in Loop: Header=BB2_2591 Depth=2
	v_bfe_u32 v32, v11, 16, 7
	v_cmp_ne_u32_e32 vcc, s68, v32
	v_mov_b32_e32 v3, 0x7f800001
	s_and_saveexec_b64 s[54:55], vcc
	s_cbranch_execz .LBB2_3713
; %bb.3712:                             ;   in Loop: Header=BB2_2591 Depth=2
	v_and_b32_e32 v22, 7, v2
	v_ffbh_u32_e32 v3, v22
	v_min_u32_e32 v33, 32, v3
	v_subrev_u32_e32 v3, 28, v33
	v_lshlrev_b64 v[2:3], v3, v[2:3]
	v_lshrrev_b32_e32 v23, 3, v32
	v_sub_u32_e32 v3, 29, v33
	v_and_b32_e32 v2, 7, v2
	v_cmp_gt_u32_e32 vcc, 8, v32
	v_cndmask_b32_e32 v3, v23, v3, vcc
	v_cndmask_b32_e32 v2, v22, v2, vcc
	v_lshlrev_b32_e32 v22, 8, v11
	v_lshlrev_b32_e32 v2, 20, v2
	v_and_b32_e32 v22, 0x80000000, v22
	v_lshl_add_u32 v3, v3, 23, v50
	v_or3_b32 v3, v22, v3, v2
.LBB2_3713:                             ;   in Loop: Header=BB2_2591 Depth=2
	s_or_b64 exec, exec, s[54:55]
.LBB2_3714:                             ;   in Loop: Header=BB2_2591 Depth=2
	s_or_b64 exec, exec, s[52:53]
.LBB2_3715:                             ;   in Loop: Header=BB2_2591 Depth=2
	s_or_b64 exec, exec, s[18:19]
	v_add_f32_e32 v33, v31, v3
	v_and_b32_sdwa v32, v33, s69 dst_sel:DWORD dst_unused:UNUSED_PAD src0_sel:BYTE_3 src1_sel:DWORD
	v_and_b32_e32 v22, 0x7f800000, v33
	v_mov_b32_e32 v23, v37
	v_and_b32_e32 v2, 0x7fffff, v33
	v_mov_b32_e32 v3, v37
	v_or_b32_e32 v31, 0x7e, v32
	v_cmp_ne_u64_e32 vcc, s[38:39], v[22:23]
	s_and_saveexec_b64 s[18:19], vcc
	s_xor_b64 s[52:53], exec, s[18:19]
	s_cbranch_execz .LBB2_3725
; %bb.3716:                             ;   in Loop: Header=BB2_2591 Depth=2
	v_and_b32_e32 v22, 0x7fffffff, v33
	v_mov_b32_e32 v23, v37
	v_cmp_gt_u64_e32 vcc, s[40:41], v[22:23]
	s_and_saveexec_b64 s[54:55], vcc
	s_cbranch_execz .LBB2_3724
; %bb.3717:                             ;   in Loop: Header=BB2_2591 Depth=2
	v_cmp_ne_u32_e32 vcc, 0, v33
	v_mov_b32_e32 v31, 0
	s_and_saveexec_b64 s[56:57], vcc
	s_cbranch_execz .LBB2_3723
; %bb.3718:                             ;   in Loop: Header=BB2_2591 Depth=2
	v_bfe_u32 v22, v33, 23, 8
	v_sub_u32_e32 v31, 0x79, v22
	v_cmp_gt_u32_e32 vcc, s71, v22
	v_add_u32_e32 v23, 0xffffff81, v22
	v_cndmask_b32_e32 v31, 0, v31, vcc
	v_cmp_eq_u32_e32 vcc, 0, v22
	v_mov_b32_e32 v22, 0xffffff82
	v_cndmask_b32_e32 v34, v23, v22, vcc
	v_mov_b32_e32 v22, 0x78
	v_cndmask_b32_e32 v31, v31, v22, vcc
	v_add_u32_e32 v22, 20, v31
	v_or_b32_e32 v33, 0x800000, v2
	v_lshlrev_b64 v[22:23], v22, -1
	v_cndmask_b32_e32 v2, v33, v2, vcc
	v_not_b32_e32 v22, v22
	v_and_b32_e32 v22, v2, v22
	v_add_u32_e32 v33, 19, v31
	v_lshrrev_b64 v[2:3], v31, v[2:3]
	v_not_b32_e32 v23, v23
	v_lshlrev_b64 v[50:51], v33, 1
	v_lshrrev_b32_e32 v33, 23, v2
	v_and_b32_e32 v23, 0, v23
	v_add3_u32 v34, v31, v34, v33
	v_bfe_u32 v31, v2, 20, 1
	v_add_u32_e32 v31, -1, v31
	v_cmp_eq_u64_e32 vcc, v[22:23], v[50:51]
	v_cndmask_b32_e32 v22, 0, v31, vcc
	v_add_u32_e32 v22, v22, v2
	v_and_b32_e32 v22, 0xfffff, v22
	v_add_co_u32_e32 v2, vcc, v22, v2
	v_add_u32_e32 v33, 6, v34
	v_addc_co_u32_e32 v3, vcc, 0, v3, vcc
	v_cmp_ne_u32_e32 vcc, 0, v33
                                        ; implicit-def: $vgpr31
	s_and_saveexec_b64 s[18:19], vcc
	s_xor_b64 s[18:19], exec, s[18:19]
; %bb.3719:                             ;   in Loop: Header=BB2_2591 Depth=2
	v_add_u32_e32 v22, 7, v34
	v_cmp_lt_u64_e32 vcc, s[44:45], v[2:3]
	v_cndmask_b32_e32 v31, v33, v22, vcc
	v_cndmask_b32_e64 v22, 0, 1, vcc
	v_lshrrev_b64 v[2:3], v22, v[2:3]
; %bb.3720:                             ;   in Loop: Header=BB2_2591 Depth=2
	s_andn2_saveexec_b64 s[18:19], s[18:19]
; %bb.3721:                             ;   in Loop: Header=BB2_2591 Depth=2
	v_bfe_u32 v31, v2, 23, 1
; %bb.3722:                             ;   in Loop: Header=BB2_2591 Depth=2
	s_or_b64 exec, exec, s[18:19]
	v_lshrrev_b64 v[2:3], 20, v[2:3]
	v_cmp_gt_i32_e32 vcc, 16, v31
	v_cndmask_b32_e32 v3, 0, v3, vcc
	v_cndmask_b32_e32 v2, 7, v2, vcc
	v_cmp_eq_u64_e64 s[18:19], 0, v[2:3]
	v_min_i32_e32 v3, 15, v31
	v_lshlrev_b32_e32 v3, 3, v3
	v_cmp_eq_u32_e32 vcc, 0, v31
	v_and_b32_e32 v3, 0xf8, v3
	v_and_or_b32 v2, v2, 7, v3
	s_and_b64 s[18:19], vcc, s[18:19]
	v_cndmask_b32_e64 v2, v2, 0, s[18:19]
	v_or_b32_e32 v31, v2, v32
	v_bfrev_b32_e32 v50, 60
.LBB2_3723:                             ;   in Loop: Header=BB2_2591 Depth=2
	s_or_b64 exec, exec, s[56:57]
.LBB2_3724:                             ;   in Loop: Header=BB2_2591 Depth=2
	s_or_b64 exec, exec, s[54:55]
                                        ; implicit-def: $vgpr33
                                        ; implicit-def: $vgpr2_vgpr3
.LBB2_3725:                             ;   in Loop: Header=BB2_2591 Depth=2
	s_andn2_saveexec_b64 s[18:19], s[52:53]
; %bb.3726:                             ;   in Loop: Header=BB2_2591 Depth=2
	v_or_b32_sdwa v22, v33, s68 dst_sel:DWORD dst_unused:UNUSED_PAD src0_sel:BYTE_3 src1_sel:DWORD
	v_cmp_eq_u64_e32 vcc, 0, v[2:3]
	v_cndmask_b32_e32 v31, v22, v31, vcc
; %bb.3727:                             ;   in Loop: Header=BB2_2591 Depth=2
	s_or_b64 exec, exec, s[18:19]
	v_cmp_lt_u32_e32 vcc, s43, v36
	v_mov_b32_e32 v3, 0
	v_mov_b32_e32 v32, 0
	s_and_saveexec_b64 s[18:19], vcc
	s_cbranch_execz .LBB2_3733
; %bb.3728:                             ;   in Loop: Header=BB2_2591 Depth=2
	v_lshrrev_b32_e32 v2, 24, v36
	v_cmp_ne_u32_sdwa vcc, v36, s69 src0_sel:BYTE_3 src1_sel:DWORD
	v_bfrev_b32_e32 v32, 1
	s_and_saveexec_b64 s[52:53], vcc
	s_cbranch_execz .LBB2_3732
; %bb.3729:                             ;   in Loop: Header=BB2_2591 Depth=2
	v_bfe_u32 v33, v36, 24, 7
	v_cmp_ne_u32_e32 vcc, s68, v33
	v_mov_b32_e32 v32, 0x7f800001
	s_and_saveexec_b64 s[54:55], vcc
	s_cbranch_execz .LBB2_3731
; %bb.3730:                             ;   in Loop: Header=BB2_2591 Depth=2
	v_and_b32_e32 v32, 7, v2
	v_ffbh_u32_e32 v22, v32
	v_min_u32_e32 v35, 32, v22
	v_subrev_u32_e32 v22, 28, v35
	v_lshlrev_b64 v[22:23], v22, v[2:3]
	v_lshrrev_b32_e32 v34, 3, v33
	v_sub_u32_e32 v2, 29, v35
	v_and_b32_e32 v22, 7, v22
	v_cmp_gt_u32_e32 vcc, 8, v33
	v_mov_b32_e32 v23, 24
	v_cndmask_b32_e32 v2, v34, v2, vcc
	v_cndmask_b32_e32 v22, v32, v22, vcc
	v_lshlrev_b32_sdwa v23, v23, v36 dst_sel:DWORD dst_unused:UNUSED_PAD src0_sel:DWORD src1_sel:BYTE_3
	v_lshlrev_b32_e32 v22, 20, v22
	v_and_b32_e32 v23, 0x80000000, v23
	v_lshl_add_u32 v2, v2, 23, v50
	v_or3_b32 v32, v23, v2, v22
.LBB2_3731:                             ;   in Loop: Header=BB2_2591 Depth=2
	s_or_b64 exec, exec, s[54:55]
.LBB2_3732:                             ;   in Loop: Header=BB2_2591 Depth=2
	s_or_b64 exec, exec, s[52:53]
.LBB2_3733:                             ;   in Loop: Header=BB2_2591 Depth=2
	s_or_b64 exec, exec, s[18:19]
	v_cmp_lt_u64_e32 vcc, s[42:43], v[10:11]
	s_and_saveexec_b64 s[18:19], vcc
	s_cbranch_execz .LBB2_3739
; %bb.3734:                             ;   in Loop: Header=BB2_2591 Depth=2
	v_lshrrev_b32_e32 v2, 24, v11
	v_cmp_ne_u32_e32 vcc, s69, v2
	v_bfrev_b32_e32 v3, 1
	s_and_saveexec_b64 s[52:53], vcc
	s_cbranch_execz .LBB2_3738
; %bb.3735:                             ;   in Loop: Header=BB2_2591 Depth=2
	v_bfe_u32 v10, v11, 24, 7
	v_cmp_ne_u32_e32 vcc, s68, v10
	v_mov_b32_e32 v3, 0x7f800001
	s_and_saveexec_b64 s[54:55], vcc
	s_cbranch_execz .LBB2_3737
; %bb.3736:                             ;   in Loop: Header=BB2_2591 Depth=2
	v_and_b32_e32 v3, 7, v2
	v_ffbh_u32_e32 v22, v3
	v_min_u32_e32 v33, 32, v22
	v_subrev_u32_e32 v22, 28, v33
	v_lshlrev_b64 v[22:23], v22, v[2:3]
	v_lshrrev_b32_e32 v11, 3, v10
	v_sub_u32_e32 v23, 29, v33
	v_and_b32_e32 v22, 7, v22
	v_cmp_gt_u32_e32 vcc, 8, v10
	v_cndmask_b32_e32 v10, v11, v23, vcc
	v_cndmask_b32_e32 v3, v3, v22, vcc
	v_lshlrev_b32_e32 v2, 24, v2
	v_lshlrev_b32_e32 v3, 20, v3
	v_and_b32_e32 v2, 0x80000000, v2
	v_lshl_add_u32 v10, v10, 23, v50
	v_or3_b32 v3, v2, v10, v3
.LBB2_3737:                             ;   in Loop: Header=BB2_2591 Depth=2
	s_or_b64 exec, exec, s[54:55]
.LBB2_3738:                             ;   in Loop: Header=BB2_2591 Depth=2
	s_or_b64 exec, exec, s[52:53]
.LBB2_3739:                             ;   in Loop: Header=BB2_2591 Depth=2
	s_or_b64 exec, exec, s[18:19]
	v_add_f32_e32 v2, v32, v3
	v_and_b32_sdwa v10, v2, s69 dst_sel:DWORD dst_unused:UNUSED_PAD src0_sel:BYTE_3 src1_sel:DWORD
	v_and_b32_e32 v22, 0x7f800000, v2
	v_mov_b32_e32 v23, v37
	v_and_b32_e32 v36, 0x7fffff, v2
	v_or_b32_e32 v11, 0x7e, v10
	v_cmp_ne_u64_e32 vcc, s[38:39], v[22:23]
	s_and_saveexec_b64 s[18:19], vcc
	s_xor_b64 s[52:53], exec, s[18:19]
	s_cbranch_execz .LBB2_3749
; %bb.3740:                             ;   in Loop: Header=BB2_2591 Depth=2
	v_and_b32_e32 v22, 0x7fffffff, v2
	v_mov_b32_e32 v23, v37
	v_cmp_gt_u64_e32 vcc, s[40:41], v[22:23]
	s_and_saveexec_b64 s[54:55], vcc
	s_cbranch_execz .LBB2_3748
; %bb.3741:                             ;   in Loop: Header=BB2_2591 Depth=2
	v_cmp_ne_u32_e32 vcc, 0, v2
	v_mov_b32_e32 v11, 0
	s_and_saveexec_b64 s[56:57], vcc
	s_cbranch_execz .LBB2_3747
; %bb.3742:                             ;   in Loop: Header=BB2_2591 Depth=2
	v_bfe_u32 v2, v2, 23, 8
	v_sub_u32_e32 v11, 0x79, v2
	v_cmp_gt_u32_e32 vcc, s71, v2
	v_add_u32_e32 v3, 0xffffff81, v2
	v_cndmask_b32_e32 v11, 0, v11, vcc
	v_cmp_eq_u32_e32 vcc, 0, v2
	v_mov_b32_e32 v2, 0xffffff82
	v_cndmask_b32_e32 v32, v3, v2, vcc
	v_mov_b32_e32 v2, 0x78
	v_or_b32_e32 v22, 0x800000, v36
	v_cndmask_b32_e32 v11, v11, v2, vcc
	v_cndmask_b32_e32 v36, v22, v36, vcc
	v_add_u32_e32 v2, 20, v11
	v_lshlrev_b64 v[2:3], v2, -1
	v_lshrrev_b64 v[34:35], v11, v[36:37]
	v_not_b32_e32 v3, v3
	v_not_b32_e32 v2, v2
	v_add_u32_e32 v22, 19, v11
	v_lshrrev_b32_e32 v33, 23, v34
	v_and_b32_e32 v3, 0, v3
	v_and_b32_e32 v2, v36, v2
	v_lshlrev_b64 v[22:23], v22, 1
	v_add3_u32 v33, v11, v32, v33
	v_bfe_u32 v11, v34, 20, 1
	v_add_u32_e32 v11, -1, v11
	v_cmp_eq_u64_e32 vcc, v[2:3], v[22:23]
	v_cndmask_b32_e32 v2, 0, v11, vcc
	v_add_u32_e32 v2, v2, v34
	v_and_b32_e32 v2, 0xfffff, v2
	v_add_co_u32_e32 v2, vcc, v2, v34
	v_add_u32_e32 v32, 6, v33
	v_addc_co_u32_e32 v3, vcc, 0, v35, vcc
	v_cmp_ne_u32_e32 vcc, 0, v32
                                        ; implicit-def: $vgpr11
	s_and_saveexec_b64 s[18:19], vcc
	s_xor_b64 s[18:19], exec, s[18:19]
; %bb.3743:                             ;   in Loop: Header=BB2_2591 Depth=2
	v_cmp_lt_u64_e32 vcc, s[44:45], v[2:3]
	v_add_u32_e32 v11, 7, v33
	v_cndmask_b32_e64 v22, 0, 1, vcc
	v_cndmask_b32_e32 v11, v32, v11, vcc
	v_lshrrev_b64 v[2:3], v22, v[2:3]
; %bb.3744:                             ;   in Loop: Header=BB2_2591 Depth=2
	s_andn2_saveexec_b64 s[18:19], s[18:19]
; %bb.3745:                             ;   in Loop: Header=BB2_2591 Depth=2
	v_bfe_u32 v11, v2, 23, 1
; %bb.3746:                             ;   in Loop: Header=BB2_2591 Depth=2
	s_or_b64 exec, exec, s[18:19]
	v_lshrrev_b64 v[2:3], 20, v[2:3]
	v_cmp_gt_i32_e32 vcc, 16, v11
	v_cndmask_b32_e32 v3, 0, v3, vcc
	v_cndmask_b32_e32 v2, 7, v2, vcc
	v_cmp_eq_u64_e64 s[18:19], 0, v[2:3]
	v_min_i32_e32 v3, 15, v11
	v_lshlrev_b32_e32 v3, 3, v3
	v_cmp_eq_u32_e32 vcc, 0, v11
	v_and_b32_e32 v3, 0xf8, v3
	v_and_or_b32 v2, v2, 7, v3
	s_and_b64 s[18:19], vcc, s[18:19]
	v_cndmask_b32_e64 v2, v2, 0, s[18:19]
	v_or_b32_e32 v11, v2, v10
.LBB2_3747:                             ;   in Loop: Header=BB2_2591 Depth=2
	s_or_b64 exec, exec, s[56:57]
.LBB2_3748:                             ;   in Loop: Header=BB2_2591 Depth=2
	s_or_b64 exec, exec, s[54:55]
                                        ; implicit-def: $vgpr2
.LBB2_3749:                             ;   in Loop: Header=BB2_2591 Depth=2
	s_andn2_saveexec_b64 s[18:19], s[52:53]
; %bb.3750:                             ;   in Loop: Header=BB2_2591 Depth=2
	v_or_b32_sdwa v2, v2, s68 dst_sel:DWORD dst_unused:UNUSED_PAD src0_sel:BYTE_3 src1_sel:DWORD
	v_cmp_eq_u64_e32 vcc, 0, v[36:37]
	v_cndmask_b32_e32 v11, v2, v11, vcc
; %bb.3751:                             ;   in Loop: Header=BB2_2591 Depth=2
	s_or_b64 exec, exec, s[18:19]
	v_lshlrev_b32_e32 v10, 8, v57
	v_cmp_ne_u16_sdwa vcc, v39, v37 src0_sel:BYTE_0 src1_sel:DWORD
	v_mov_b32_e32 v2, 0
	v_mov_b32_e32 v3, 0
	s_and_saveexec_b64 s[18:19], vcc
	s_cbranch_execz .LBB2_3757
; %bb.3752:                             ;   in Loop: Header=BB2_2591 Depth=2
	v_cmp_ne_u16_sdwa vcc, v39, s69 src0_sel:BYTE_0 src1_sel:DWORD
	v_bfrev_b32_e32 v3, 1
	s_and_saveexec_b64 s[52:53], vcc
	s_cbranch_execz .LBB2_3756
; %bb.3753:                             ;   in Loop: Header=BB2_2591 Depth=2
	v_and_b32_e32 v32, 0x7f, v39
	v_cmp_ne_u32_e32 vcc, s68, v32
	v_mov_b32_e32 v3, 0x7f800001
	s_and_saveexec_b64 s[54:55], vcc
	s_cbranch_execz .LBB2_3755
; %bb.3754:                             ;   in Loop: Header=BB2_2591 Depth=2
	v_and_b32_e32 v3, 7, v39
	v_ffbh_u32_e32 v3, v3
	v_min_u32_e32 v3, 32, v3
	v_lshrrev_b32_e32 v23, 3, v32
	v_subrev_u32_e32 v33, 28, v3
	v_sub_u32_e32 v3, 29, v3
	v_cmp_gt_u32_e32 vcc, 8, v32
	v_perm_b32 v22, v10, v39, s72
	v_cndmask_b32_e32 v3, v23, v3, vcc
	v_cndmask_b32_e32 v23, 0, v33, vcc
	v_lshlrev_b64 v[22:23], v23, v[22:23]
	v_lshlrev_b32_e32 v22, 20, v22
	v_lshlrev_b32_e32 v23, 24, v39
	v_and_b32_e32 v22, 0x700000, v22
	v_and_b32_e32 v23, 0x80000000, v23
	v_lshl_add_u32 v3, v3, 23, v50
	v_or3_b32 v3, v23, v3, v22
.LBB2_3755:                             ;   in Loop: Header=BB2_2591 Depth=2
	s_or_b64 exec, exec, s[54:55]
.LBB2_3756:                             ;   in Loop: Header=BB2_2591 Depth=2
	s_or_b64 exec, exec, s[52:53]
.LBB2_3757:                             ;   in Loop: Header=BB2_2591 Depth=2
	s_or_b64 exec, exec, s[18:19]
	v_cmp_ne_u16_sdwa vcc, v12, v37 src0_sel:BYTE_0 src1_sel:DWORD
	s_and_saveexec_b64 s[18:19], vcc
	s_cbranch_execz .LBB2_3763
; %bb.3758:                             ;   in Loop: Header=BB2_2591 Depth=2
	v_cmp_ne_u16_sdwa vcc, v12, s69 src0_sel:BYTE_0 src1_sel:DWORD
	v_bfrev_b32_e32 v2, 1
	s_and_saveexec_b64 s[52:53], vcc
	s_cbranch_execz .LBB2_3762
; %bb.3759:                             ;   in Loop: Header=BB2_2591 Depth=2
	v_and_b32_e32 v32, 0x7f, v12
	v_cmp_ne_u32_e32 vcc, s68, v32
	v_mov_b32_e32 v2, 0x7f800001
	s_and_saveexec_b64 s[54:55], vcc
	s_cbranch_execz .LBB2_3761
; %bb.3760:                             ;   in Loop: Header=BB2_2591 Depth=2
	v_and_b32_e32 v2, 7, v12
	v_ffbh_u32_e32 v2, v2
	v_min_u32_e32 v2, 32, v2
	v_lshrrev_b32_e32 v22, 3, v32
	v_subrev_u32_e32 v23, 28, v2
	v_sub_u32_e32 v2, 29, v2
	v_cmp_gt_u32_e32 vcc, 8, v32
	v_cndmask_b32_e32 v2, v22, v2, vcc
	v_cndmask_b32_e32 v22, 0, v23, vcc
	v_lshlrev_b64 v[22:23], v22, v[12:13]
	v_lshlrev_b32_e32 v22, 20, v22
	v_lshlrev_b32_e32 v23, 24, v12
	v_and_b32_e32 v22, 0x700000, v22
	v_and_b32_e32 v23, 0x80000000, v23
	v_lshl_add_u32 v2, v2, 23, v50
	v_or3_b32 v2, v23, v2, v22
.LBB2_3761:                             ;   in Loop: Header=BB2_2591 Depth=2
	s_or_b64 exec, exec, s[54:55]
.LBB2_3762:                             ;   in Loop: Header=BB2_2591 Depth=2
	s_or_b64 exec, exec, s[52:53]
.LBB2_3763:                             ;   in Loop: Header=BB2_2591 Depth=2
	s_or_b64 exec, exec, s[18:19]
	v_add_f32_e32 v2, v3, v2
	v_and_b32_sdwa v33, v2, s69 dst_sel:DWORD dst_unused:UNUSED_PAD src0_sel:BYTE_3 src1_sel:DWORD
	v_and_b32_e32 v22, 0x7f800000, v2
	v_mov_b32_e32 v23, v37
	v_and_b32_e32 v36, 0x7fffff, v2
	v_or_b32_e32 v32, 0x7e, v33
	v_cmp_ne_u64_e32 vcc, s[38:39], v[22:23]
	s_and_saveexec_b64 s[18:19], vcc
	s_xor_b64 s[52:53], exec, s[18:19]
	s_cbranch_execz .LBB2_3773
; %bb.3764:                             ;   in Loop: Header=BB2_2591 Depth=2
	v_and_b32_e32 v22, 0x7fffffff, v2
	v_mov_b32_e32 v23, v37
	v_cmp_gt_u64_e32 vcc, s[40:41], v[22:23]
	s_and_saveexec_b64 s[54:55], vcc
	s_cbranch_execz .LBB2_3772
; %bb.3765:                             ;   in Loop: Header=BB2_2591 Depth=2
	v_cmp_ne_u32_e32 vcc, 0, v2
	v_mov_b32_e32 v32, 0
	s_and_saveexec_b64 s[56:57], vcc
	s_cbranch_execz .LBB2_3771
; %bb.3766:                             ;   in Loop: Header=BB2_2591 Depth=2
	v_bfe_u32 v2, v2, 23, 8
	v_sub_u32_e32 v22, 0x79, v2
	v_cmp_gt_u32_e32 vcc, s71, v2
	v_add_u32_e32 v3, 0xffffff81, v2
	v_cndmask_b32_e32 v22, 0, v22, vcc
	v_cmp_eq_u32_e32 vcc, 0, v2
	v_mov_b32_e32 v2, 0xffffff82
	v_cndmask_b32_e32 v32, v3, v2, vcc
	v_mov_b32_e32 v2, 0x78
	v_or_b32_e32 v23, 0x800000, v36
	v_cndmask_b32_e32 v34, v22, v2, vcc
	v_cndmask_b32_e32 v36, v23, v36, vcc
	v_add_u32_e32 v2, 20, v34
	v_lshlrev_b64 v[2:3], v2, -1
	v_lshrrev_b64 v[50:51], v34, v[36:37]
	v_not_b32_e32 v3, v3
	v_not_b32_e32 v2, v2
	v_add_u32_e32 v22, 19, v34
	v_lshrrev_b32_e32 v35, 23, v50
	v_and_b32_e32 v3, 0, v3
	v_and_b32_e32 v2, v36, v2
	v_lshlrev_b64 v[22:23], v22, 1
	v_add3_u32 v35, v34, v32, v35
	v_bfe_u32 v32, v50, 20, 1
	v_add_u32_e32 v32, -1, v32
	v_cmp_eq_u64_e32 vcc, v[2:3], v[22:23]
	v_cndmask_b32_e32 v2, 0, v32, vcc
	v_add_u32_e32 v2, v2, v50
	v_and_b32_e32 v2, 0xfffff, v2
	v_add_co_u32_e32 v2, vcc, v2, v50
	v_add_u32_e32 v34, 6, v35
	v_addc_co_u32_e32 v3, vcc, 0, v51, vcc
	v_cmp_ne_u32_e32 vcc, 0, v34
                                        ; implicit-def: $vgpr32
	s_and_saveexec_b64 s[18:19], vcc
	s_xor_b64 s[18:19], exec, s[18:19]
; %bb.3767:                             ;   in Loop: Header=BB2_2591 Depth=2
	v_add_u32_e32 v22, 7, v35
	v_cmp_lt_u64_e32 vcc, s[44:45], v[2:3]
	v_cndmask_b32_e32 v32, v34, v22, vcc
	v_cndmask_b32_e64 v22, 0, 1, vcc
	v_lshrrev_b64 v[2:3], v22, v[2:3]
; %bb.3768:                             ;   in Loop: Header=BB2_2591 Depth=2
	s_andn2_saveexec_b64 s[18:19], s[18:19]
; %bb.3769:                             ;   in Loop: Header=BB2_2591 Depth=2
	v_bfe_u32 v32, v2, 23, 1
; %bb.3770:                             ;   in Loop: Header=BB2_2591 Depth=2
	s_or_b64 exec, exec, s[18:19]
	v_lshrrev_b64 v[2:3], 20, v[2:3]
	v_cmp_gt_i32_e32 vcc, 16, v32
	v_cndmask_b32_e32 v3, 0, v3, vcc
	v_cndmask_b32_e32 v2, 7, v2, vcc
	v_cmp_eq_u64_e64 s[18:19], 0, v[2:3]
	v_min_i32_e32 v3, 15, v32
	v_cmp_eq_u32_e32 vcc, 0, v32
	v_lshlrev_b32_e32 v3, 3, v3
	v_and_or_b32 v2, v2, 7, v3
	s_and_b64 s[18:19], vcc, s[18:19]
	v_cndmask_b32_e64 v2, v2, 0, s[18:19]
	v_or_b32_e32 v32, v2, v33
	v_bfrev_b32_e32 v50, 60
.LBB2_3771:                             ;   in Loop: Header=BB2_2591 Depth=2
	s_or_b64 exec, exec, s[56:57]
.LBB2_3772:                             ;   in Loop: Header=BB2_2591 Depth=2
	s_or_b64 exec, exec, s[54:55]
                                        ; implicit-def: $vgpr2
.LBB2_3773:                             ;   in Loop: Header=BB2_2591 Depth=2
	s_andn2_saveexec_b64 s[18:19], s[52:53]
; %bb.3774:                             ;   in Loop: Header=BB2_2591 Depth=2
	v_or_b32_sdwa v2, v2, s68 dst_sel:DWORD dst_unused:UNUSED_PAD src0_sel:BYTE_3 src1_sel:DWORD
	v_cmp_eq_u64_e32 vcc, 0, v[36:37]
	v_cndmask_b32_e32 v32, v2, v32, vcc
; %bb.3775:                             ;   in Loop: Header=BB2_2591 Depth=2
	s_or_b64 exec, exec, s[18:19]
	v_lshrrev_b16_e32 v2, 8, v10
	v_cmp_ne_u16_e32 vcc, 0, v2
	v_mov_b32_e32 v3, 0
	v_mov_b32_e32 v33, 0
	s_and_saveexec_b64 s[18:19], vcc
	s_cbranch_execz .LBB2_3781
; %bb.3776:                             ;   in Loop: Header=BB2_2591 Depth=2
	v_cmp_ne_u16_e32 vcc, s69, v2
	v_bfrev_b32_e32 v33, 1
	s_and_saveexec_b64 s[52:53], vcc
	s_cbranch_execz .LBB2_3780
; %bb.3777:                             ;   in Loop: Header=BB2_2591 Depth=2
	v_and_b32_e32 v34, 0x7f, v2
	v_cmp_ne_u32_e32 vcc, s68, v34
	v_mov_b32_e32 v33, 0x7f800001
	s_and_saveexec_b64 s[54:55], vcc
	s_cbranch_execz .LBB2_3779
; %bb.3778:                             ;   in Loop: Header=BB2_2591 Depth=2
	v_and_b32_e32 v33, 7, v2
	v_ffbh_u32_e32 v22, v33
	v_min_u32_e32 v36, 32, v22
	v_subrev_u32_e32 v22, 28, v36
	v_lshlrev_b64 v[22:23], v22, v[2:3]
	v_lshrrev_b32_e32 v35, 3, v34
	v_sub_u32_e32 v2, 29, v36
	v_and_b32_e32 v22, 7, v22
	v_cmp_gt_u32_e32 vcc, 8, v34
	v_cndmask_b32_e32 v2, v35, v2, vcc
	v_cndmask_b32_e32 v22, v33, v22, vcc
	v_lshlrev_b32_e32 v10, 16, v10
	v_lshlrev_b32_e32 v22, 20, v22
	v_and_b32_e32 v10, 0x80000000, v10
	v_lshl_add_u32 v2, v2, 23, v50
	v_or3_b32 v33, v10, v2, v22
.LBB2_3779:                             ;   in Loop: Header=BB2_2591 Depth=2
	s_or_b64 exec, exec, s[54:55]
.LBB2_3780:                             ;   in Loop: Header=BB2_2591 Depth=2
	s_or_b64 exec, exec, s[52:53]
.LBB2_3781:                             ;   in Loop: Header=BB2_2591 Depth=2
	s_or_b64 exec, exec, s[18:19]
	v_lshrrev_b16_e32 v2, 8, v12
	v_cmp_ne_u16_e32 vcc, 0, v2
	s_and_saveexec_b64 s[18:19], vcc
	s_cbranch_execz .LBB2_3787
; %bb.3782:                             ;   in Loop: Header=BB2_2591 Depth=2
	v_cmp_ne_u16_e32 vcc, s69, v2
	v_bfrev_b32_e32 v3, 1
	s_and_saveexec_b64 s[52:53], vcc
	s_cbranch_execz .LBB2_3786
; %bb.3783:                             ;   in Loop: Header=BB2_2591 Depth=2
	v_and_b32_e32 v10, 0x7f, v2
	v_cmp_ne_u32_e32 vcc, s68, v10
	v_mov_b32_e32 v3, 0x7f800001
	s_and_saveexec_b64 s[54:55], vcc
	s_cbranch_execz .LBB2_3785
; %bb.3784:                             ;   in Loop: Header=BB2_2591 Depth=2
	v_and_b32_e32 v22, 7, v2
	v_ffbh_u32_e32 v3, v22
	v_min_u32_e32 v34, 32, v3
	v_subrev_u32_e32 v3, 28, v34
	v_lshlrev_b64 v[2:3], v3, v[2:3]
	v_lshrrev_b32_e32 v23, 3, v10
	v_sub_u32_e32 v3, 29, v34
	v_and_b32_e32 v2, 7, v2
	v_cmp_gt_u32_e32 vcc, 8, v10
	v_cndmask_b32_e32 v3, v23, v3, vcc
	v_cndmask_b32_e32 v2, v22, v2, vcc
	v_lshlrev_b32_e32 v10, 16, v12
	v_lshlrev_b32_e32 v2, 20, v2
	v_and_b32_e32 v10, 0x80000000, v10
	v_lshl_add_u32 v3, v3, 23, v50
	v_or3_b32 v3, v10, v3, v2
.LBB2_3785:                             ;   in Loop: Header=BB2_2591 Depth=2
	s_or_b64 exec, exec, s[54:55]
.LBB2_3786:                             ;   in Loop: Header=BB2_2591 Depth=2
	s_or_b64 exec, exec, s[52:53]
.LBB2_3787:                             ;   in Loop: Header=BB2_2591 Depth=2
	s_or_b64 exec, exec, s[18:19]
	v_add_f32_e32 v2, v33, v3
	v_and_b32_sdwa v10, v2, s69 dst_sel:DWORD dst_unused:UNUSED_PAD src0_sel:BYTE_3 src1_sel:DWORD
	v_and_b32_e32 v22, 0x7f800000, v2
	v_mov_b32_e32 v23, v37
	v_and_b32_e32 v36, 0x7fffff, v2
	v_or_b32_e32 v33, 0x7e, v10
	v_cmp_ne_u64_e32 vcc, s[38:39], v[22:23]
	s_and_saveexec_b64 s[18:19], vcc
	s_xor_b64 s[52:53], exec, s[18:19]
	s_cbranch_execz .LBB2_3797
; %bb.3788:                             ;   in Loop: Header=BB2_2591 Depth=2
	v_and_b32_e32 v22, 0x7fffffff, v2
	v_mov_b32_e32 v23, v37
	v_cmp_gt_u64_e32 vcc, s[40:41], v[22:23]
	s_and_saveexec_b64 s[54:55], vcc
	s_cbranch_execz .LBB2_3796
; %bb.3789:                             ;   in Loop: Header=BB2_2591 Depth=2
	v_cmp_ne_u32_e32 vcc, 0, v2
	v_mov_b32_e32 v33, 0
	s_and_saveexec_b64 s[56:57], vcc
	s_cbranch_execz .LBB2_3795
; %bb.3790:                             ;   in Loop: Header=BB2_2591 Depth=2
	v_bfe_u32 v2, v2, 23, 8
	v_sub_u32_e32 v22, 0x79, v2
	v_cmp_gt_u32_e32 vcc, s71, v2
	v_add_u32_e32 v3, 0xffffff81, v2
	v_cndmask_b32_e32 v22, 0, v22, vcc
	v_cmp_eq_u32_e32 vcc, 0, v2
	v_mov_b32_e32 v2, 0xffffff82
	v_cndmask_b32_e32 v33, v3, v2, vcc
	v_mov_b32_e32 v2, 0x78
	v_or_b32_e32 v23, 0x800000, v36
	v_cndmask_b32_e32 v34, v22, v2, vcc
	v_cndmask_b32_e32 v36, v23, v36, vcc
	v_add_u32_e32 v2, 20, v34
	v_lshlrev_b64 v[2:3], v2, -1
	v_lshrrev_b64 v[50:51], v34, v[36:37]
	v_not_b32_e32 v3, v3
	v_not_b32_e32 v2, v2
	v_add_u32_e32 v22, 19, v34
	v_lshrrev_b32_e32 v35, 23, v50
	v_and_b32_e32 v3, 0, v3
	v_and_b32_e32 v2, v36, v2
	v_lshlrev_b64 v[22:23], v22, 1
	v_add3_u32 v35, v34, v33, v35
	v_bfe_u32 v33, v50, 20, 1
	v_add_u32_e32 v33, -1, v33
	v_cmp_eq_u64_e32 vcc, v[2:3], v[22:23]
	v_cndmask_b32_e32 v2, 0, v33, vcc
	v_add_u32_e32 v2, v2, v50
	v_and_b32_e32 v2, 0xfffff, v2
	v_add_co_u32_e32 v2, vcc, v2, v50
	v_add_u32_e32 v34, 6, v35
	v_addc_co_u32_e32 v3, vcc, 0, v51, vcc
	v_cmp_ne_u32_e32 vcc, 0, v34
                                        ; implicit-def: $vgpr33
	s_and_saveexec_b64 s[18:19], vcc
	s_xor_b64 s[18:19], exec, s[18:19]
; %bb.3791:                             ;   in Loop: Header=BB2_2591 Depth=2
	v_add_u32_e32 v22, 7, v35
	v_cmp_lt_u64_e32 vcc, s[44:45], v[2:3]
	v_cndmask_b32_e32 v33, v34, v22, vcc
	v_cndmask_b32_e64 v22, 0, 1, vcc
	v_lshrrev_b64 v[2:3], v22, v[2:3]
; %bb.3792:                             ;   in Loop: Header=BB2_2591 Depth=2
	s_andn2_saveexec_b64 s[18:19], s[18:19]
; %bb.3793:                             ;   in Loop: Header=BB2_2591 Depth=2
	v_bfe_u32 v33, v2, 23, 1
; %bb.3794:                             ;   in Loop: Header=BB2_2591 Depth=2
	s_or_b64 exec, exec, s[18:19]
	v_lshrrev_b64 v[2:3], 20, v[2:3]
	v_cmp_gt_i32_e32 vcc, 16, v33
	v_cndmask_b32_e32 v3, 0, v3, vcc
	v_cndmask_b32_e32 v2, 7, v2, vcc
	v_cmp_eq_u64_e64 s[18:19], 0, v[2:3]
	v_min_i32_e32 v3, 15, v33
	v_cmp_eq_u32_e32 vcc, 0, v33
	v_lshlrev_b32_e32 v3, 3, v3
	v_and_or_b32 v2, v2, 7, v3
	s_and_b64 s[18:19], vcc, s[18:19]
	v_cndmask_b32_e64 v2, v2, 0, s[18:19]
	v_or_b32_e32 v33, v2, v10
	v_bfrev_b32_e32 v50, 60
.LBB2_3795:                             ;   in Loop: Header=BB2_2591 Depth=2
	s_or_b64 exec, exec, s[56:57]
.LBB2_3796:                             ;   in Loop: Header=BB2_2591 Depth=2
	s_or_b64 exec, exec, s[54:55]
                                        ; implicit-def: $vgpr2
.LBB2_3797:                             ;   in Loop: Header=BB2_2591 Depth=2
	s_andn2_saveexec_b64 s[18:19], s[52:53]
; %bb.3798:                             ;   in Loop: Header=BB2_2591 Depth=2
	v_or_b32_sdwa v2, v2, s68 dst_sel:DWORD dst_unused:UNUSED_PAD src0_sel:BYTE_3 src1_sel:DWORD
	v_cmp_eq_u64_e32 vcc, 0, v[36:37]
	v_cndmask_b32_e32 v33, v2, v33, vcc
; %bb.3799:                             ;   in Loop: Header=BB2_2591 Depth=2
	s_or_b64 exec, exec, s[18:19]
	v_cmp_ne_u16_sdwa vcc, v46, v37 src0_sel:BYTE_0 src1_sel:DWORD
	v_mov_b32_e32 v3, 0
	v_mov_b32_e32 v10, 0
	s_and_saveexec_b64 s[18:19], vcc
	s_cbranch_execz .LBB2_3805
; %bb.3800:                             ;   in Loop: Header=BB2_2591 Depth=2
	v_cmp_ne_u16_sdwa vcc, v46, s69 src0_sel:BYTE_0 src1_sel:DWORD
	v_bfrev_b32_e32 v10, 1
	s_and_saveexec_b64 s[52:53], vcc
	s_cbranch_execz .LBB2_3804
; %bb.3801:                             ;   in Loop: Header=BB2_2591 Depth=2
	v_and_b32_e32 v2, 0x7f, v46
	v_cmp_ne_u32_e32 vcc, s68, v2
	v_mov_b32_e32 v10, 0x7f800001
	s_and_saveexec_b64 s[54:55], vcc
	s_cbranch_execz .LBB2_3803
; %bb.3802:                             ;   in Loop: Header=BB2_2591 Depth=2
	v_and_b32_e32 v10, 7, v46
	v_ffbh_u32_e32 v22, v10
	v_min_u32_e32 v35, 32, v22
	v_subrev_u32_e32 v22, 28, v35
	v_lshlrev_b64 v[22:23], v22, v[46:47]
	v_lshrrev_b32_e32 v34, 3, v2
	v_sub_u32_e32 v23, 29, v35
	v_and_b32_e32 v22, 7, v22
	v_cmp_gt_u32_e32 vcc, 8, v2
	v_cndmask_b32_e32 v2, v34, v23, vcc
	v_cndmask_b32_e32 v10, v10, v22, vcc
	v_lshlrev_b32_e32 v22, 24, v46
	v_lshlrev_b32_e32 v10, 20, v10
	v_and_b32_e32 v22, 0x80000000, v22
	v_lshl_add_u32 v2, v2, 23, v50
	v_or3_b32 v10, v22, v2, v10
.LBB2_3803:                             ;   in Loop: Header=BB2_2591 Depth=2
	s_or_b64 exec, exec, s[54:55]
.LBB2_3804:                             ;   in Loop: Header=BB2_2591 Depth=2
	s_or_b64 exec, exec, s[52:53]
.LBB2_3805:                             ;   in Loop: Header=BB2_2591 Depth=2
	s_or_b64 exec, exec, s[18:19]
	v_lshrrev_b32_e32 v2, 16, v12
	v_cmp_ne_u16_sdwa vcc, v2, v37 src0_sel:BYTE_0 src1_sel:DWORD
	s_and_saveexec_b64 s[18:19], vcc
	s_cbranch_execz .LBB2_3811
; %bb.3806:                             ;   in Loop: Header=BB2_2591 Depth=2
	v_cmp_ne_u16_sdwa vcc, v2, s69 src0_sel:BYTE_0 src1_sel:DWORD
	v_bfrev_b32_e32 v3, 1
	s_and_saveexec_b64 s[52:53], vcc
	s_cbranch_execz .LBB2_3810
; %bb.3807:                             ;   in Loop: Header=BB2_2591 Depth=2
	v_bfe_u32 v34, v12, 16, 7
	v_cmp_ne_u32_e32 vcc, s68, v34
	v_mov_b32_e32 v3, 0x7f800001
	s_and_saveexec_b64 s[54:55], vcc
	s_cbranch_execz .LBB2_3809
; %bb.3808:                             ;   in Loop: Header=BB2_2591 Depth=2
	v_and_b32_e32 v22, 7, v2
	v_ffbh_u32_e32 v3, v22
	v_min_u32_e32 v35, 32, v3
	v_subrev_u32_e32 v3, 28, v35
	v_lshlrev_b64 v[2:3], v3, v[2:3]
	v_lshrrev_b32_e32 v23, 3, v34
	v_sub_u32_e32 v3, 29, v35
	v_and_b32_e32 v2, 7, v2
	v_cmp_gt_u32_e32 vcc, 8, v34
	v_cndmask_b32_e32 v3, v23, v3, vcc
	v_cndmask_b32_e32 v2, v22, v2, vcc
	v_lshlrev_b32_e32 v22, 8, v12
	v_lshlrev_b32_e32 v2, 20, v2
	v_and_b32_e32 v22, 0x80000000, v22
	v_lshl_add_u32 v3, v3, 23, v50
	v_or3_b32 v3, v22, v3, v2
.LBB2_3809:                             ;   in Loop: Header=BB2_2591 Depth=2
	s_or_b64 exec, exec, s[54:55]
.LBB2_3810:                             ;   in Loop: Header=BB2_2591 Depth=2
	s_or_b64 exec, exec, s[52:53]
.LBB2_3811:                             ;   in Loop: Header=BB2_2591 Depth=2
	s_or_b64 exec, exec, s[18:19]
	v_add_f32_e32 v2, v10, v3
	v_and_b32_sdwa v10, v2, s69 dst_sel:DWORD dst_unused:UNUSED_PAD src0_sel:BYTE_3 src1_sel:DWORD
	v_and_b32_e32 v22, 0x7f800000, v2
	v_mov_b32_e32 v23, v37
	v_and_b32_e32 v36, 0x7fffff, v2
	v_or_b32_e32 v34, 0x7e, v10
	v_cmp_ne_u64_e32 vcc, s[38:39], v[22:23]
	s_and_saveexec_b64 s[18:19], vcc
	s_xor_b64 s[52:53], exec, s[18:19]
	s_cbranch_execz .LBB2_3821
; %bb.3812:                             ;   in Loop: Header=BB2_2591 Depth=2
	v_and_b32_e32 v22, 0x7fffffff, v2
	v_mov_b32_e32 v23, v37
	v_cmp_gt_u64_e32 vcc, s[40:41], v[22:23]
	s_and_saveexec_b64 s[54:55], vcc
	s_cbranch_execz .LBB2_3820
; %bb.3813:                             ;   in Loop: Header=BB2_2591 Depth=2
	v_cmp_ne_u32_e32 vcc, 0, v2
	v_mov_b32_e32 v34, 0
	s_and_saveexec_b64 s[56:57], vcc
	s_cbranch_execz .LBB2_3819
; %bb.3814:                             ;   in Loop: Header=BB2_2591 Depth=2
	v_bfe_u32 v2, v2, 23, 8
	v_sub_u32_e32 v22, 0x79, v2
	v_cmp_gt_u32_e32 vcc, s71, v2
	v_add_u32_e32 v3, 0xffffff81, v2
	v_cndmask_b32_e32 v22, 0, v22, vcc
	v_cmp_eq_u32_e32 vcc, 0, v2
	v_mov_b32_e32 v2, 0xffffff82
	v_cndmask_b32_e32 v34, v3, v2, vcc
	v_mov_b32_e32 v2, 0x78
	v_cndmask_b32_e32 v35, v22, v2, vcc
	v_or_b32_e32 v23, 0x800000, v36
	v_add_u32_e32 v2, 20, v35
	v_cndmask_b32_e32 v36, v23, v36, vcc
	v_lshlrev_b64 v[2:3], v2, -1
	v_not_b32_e32 v2, v2
	v_lshrrev_b64 v[50:51], v35, v[36:37]
	v_not_b32_e32 v3, v3
	v_and_b32_e32 v2, v36, v2
	v_add_u32_e32 v22, 19, v35
	v_lshrrev_b32_e32 v36, 23, v50
	v_and_b32_e32 v3, 0, v3
	v_lshlrev_b64 v[22:23], v22, 1
	v_add3_u32 v36, v35, v34, v36
	v_bfe_u32 v34, v50, 20, 1
	v_add_u32_e32 v34, -1, v34
	v_cmp_eq_u64_e32 vcc, v[2:3], v[22:23]
	v_cndmask_b32_e32 v2, 0, v34, vcc
	v_add_u32_e32 v2, v2, v50
	v_and_b32_e32 v2, 0xfffff, v2
	v_add_co_u32_e32 v2, vcc, v2, v50
	v_add_u32_e32 v35, 6, v36
	v_addc_co_u32_e32 v3, vcc, 0, v51, vcc
	v_cmp_ne_u32_e32 vcc, 0, v35
                                        ; implicit-def: $vgpr34
	s_and_saveexec_b64 s[18:19], vcc
	s_xor_b64 s[18:19], exec, s[18:19]
; %bb.3815:                             ;   in Loop: Header=BB2_2591 Depth=2
	v_add_u32_e32 v22, 7, v36
	v_cmp_lt_u64_e32 vcc, s[44:45], v[2:3]
	v_cndmask_b32_e32 v34, v35, v22, vcc
	v_cndmask_b32_e64 v22, 0, 1, vcc
	v_lshrrev_b64 v[2:3], v22, v[2:3]
; %bb.3816:                             ;   in Loop: Header=BB2_2591 Depth=2
	s_andn2_saveexec_b64 s[18:19], s[18:19]
; %bb.3817:                             ;   in Loop: Header=BB2_2591 Depth=2
	v_bfe_u32 v34, v2, 23, 1
; %bb.3818:                             ;   in Loop: Header=BB2_2591 Depth=2
	s_or_b64 exec, exec, s[18:19]
	v_lshrrev_b64 v[2:3], 20, v[2:3]
	v_cmp_gt_i32_e32 vcc, 16, v34
	v_cndmask_b32_e32 v3, 0, v3, vcc
	v_cndmask_b32_e32 v2, 7, v2, vcc
	v_cmp_eq_u64_e64 s[18:19], 0, v[2:3]
	v_min_i32_e32 v3, 15, v34
	v_cmp_eq_u32_e32 vcc, 0, v34
	v_lshlrev_b32_e32 v3, 3, v3
	v_and_or_b32 v2, v2, 7, v3
	s_and_b64 s[18:19], vcc, s[18:19]
	v_cndmask_b32_e64 v2, v2, 0, s[18:19]
	v_or_b32_e32 v34, v2, v10
	v_bfrev_b32_e32 v50, 60
.LBB2_3819:                             ;   in Loop: Header=BB2_2591 Depth=2
	s_or_b64 exec, exec, s[56:57]
.LBB2_3820:                             ;   in Loop: Header=BB2_2591 Depth=2
	s_or_b64 exec, exec, s[54:55]
                                        ; implicit-def: $vgpr2
.LBB2_3821:                             ;   in Loop: Header=BB2_2591 Depth=2
	s_andn2_saveexec_b64 s[18:19], s[52:53]
; %bb.3822:                             ;   in Loop: Header=BB2_2591 Depth=2
	v_or_b32_sdwa v2, v2, s68 dst_sel:DWORD dst_unused:UNUSED_PAD src0_sel:BYTE_3 src1_sel:DWORD
	v_cmp_eq_u64_e32 vcc, 0, v[36:37]
	v_cndmask_b32_e32 v34, v2, v34, vcc
; %bb.3823:                             ;   in Loop: Header=BB2_2591 Depth=2
	s_or_b64 exec, exec, s[18:19]
	v_lshlrev_b32_e32 v0, 8, v0
	v_and_b32_e32 v2, 0xff00, v0
	v_cmp_ne_u32_e32 vcc, 0, v2
	v_mov_b32_e32 v0, 0
	v_mov_b32_e32 v3, 0
	s_and_saveexec_b64 s[18:19], vcc
	s_cbranch_execz .LBB2_3829
; %bb.3824:                             ;   in Loop: Header=BB2_2591 Depth=2
	v_cmp_ne_u32_e32 vcc, s73, v2
	v_bfrev_b32_e32 v3, 1
	s_and_saveexec_b64 s[52:53], vcc
	s_cbranch_execz .LBB2_3828
; %bb.3825:                             ;   in Loop: Header=BB2_2591 Depth=2
	v_bfe_u32 v10, v2, 8, 7
	v_cmp_ne_u32_e32 vcc, s68, v10
	v_mov_b32_e32 v3, 0x7f800001
	s_and_saveexec_b64 s[54:55], vcc
	s_cbranch_execz .LBB2_3827
; %bb.3826:                             ;   in Loop: Header=BB2_2591 Depth=2
	v_lshrrev_b32_e32 v22, 8, v2
	v_and_b32_e32 v3, 7, v22
	v_ffbh_u32_e32 v23, v3
	v_min_u32_e32 v36, 32, v23
	v_subrev_u32_e32 v23, 28, v36
	v_lshlrev_b64 v[22:23], v23, v[22:23]
	v_lshrrev_b32_e32 v35, 3, v10
	v_sub_u32_e32 v23, 29, v36
	v_and_b32_e32 v22, 7, v22
	v_cmp_gt_u32_e32 vcc, 8, v10
	v_cndmask_b32_e32 v10, v35, v23, vcc
	v_cndmask_b32_e32 v3, v3, v22, vcc
	v_lshlrev_b32_e32 v2, 16, v2
	v_lshlrev_b32_e32 v3, 20, v3
	v_and_b32_e32 v2, 0x80000000, v2
	v_lshl_add_u32 v10, v10, 23, v50
	v_or3_b32 v3, v2, v10, v3
.LBB2_3827:                             ;   in Loop: Header=BB2_2591 Depth=2
	s_or_b64 exec, exec, s[54:55]
.LBB2_3828:                             ;   in Loop: Header=BB2_2591 Depth=2
	s_or_b64 exec, exec, s[52:53]
.LBB2_3829:                             ;   in Loop: Header=BB2_2591 Depth=2
	s_or_b64 exec, exec, s[18:19]
	v_cmp_lt_u32_e32 vcc, s43, v12
	s_and_saveexec_b64 s[18:19], vcc
	s_cbranch_execz .LBB2_3835
; %bb.3830:                             ;   in Loop: Header=BB2_2591 Depth=2
	v_lshrrev_b32_e32 v2, 24, v12
	v_cmp_ne_u32_e32 vcc, s69, v2
	v_bfrev_b32_e32 v0, 1
	s_and_saveexec_b64 s[52:53], vcc
	s_cbranch_execz .LBB2_3834
; %bb.3831:                             ;   in Loop: Header=BB2_2591 Depth=2
	v_bfe_u32 v10, v12, 24, 7
	v_cmp_ne_u32_e32 vcc, s68, v10
	v_mov_b32_e32 v0, 0x7f800001
	s_and_saveexec_b64 s[54:55], vcc
	s_cbranch_execz .LBB2_3833
; %bb.3832:                             ;   in Loop: Header=BB2_2591 Depth=2
	v_and_b32_e32 v0, 7, v2
	v_ffbh_u32_e32 v22, v0
	v_min_u32_e32 v36, 32, v22
	v_subrev_u32_e32 v22, 28, v36
	v_lshlrev_b64 v[22:23], v22, v[2:3]
	v_lshrrev_b32_e32 v35, 3, v10
	v_sub_u32_e32 v23, 29, v36
	v_and_b32_e32 v22, 7, v22
	v_cmp_gt_u32_e32 vcc, 8, v10
	v_cndmask_b32_e32 v10, v35, v23, vcc
	v_cndmask_b32_e32 v0, v0, v22, vcc
	v_lshlrev_b32_e32 v2, 24, v2
	v_lshlrev_b32_e32 v0, 20, v0
	v_and_b32_e32 v2, 0x80000000, v2
	v_lshl_add_u32 v10, v10, 23, v50
	v_or3_b32 v0, v2, v10, v0
.LBB2_3833:                             ;   in Loop: Header=BB2_2591 Depth=2
	s_or_b64 exec, exec, s[54:55]
.LBB2_3834:                             ;   in Loop: Header=BB2_2591 Depth=2
	s_or_b64 exec, exec, s[52:53]
.LBB2_3835:                             ;   in Loop: Header=BB2_2591 Depth=2
	s_or_b64 exec, exec, s[18:19]
	v_add_f32_e32 v2, v3, v0
	v_and_b32_sdwa v10, v2, s69 dst_sel:DWORD dst_unused:UNUSED_PAD src0_sel:BYTE_3 src1_sel:DWORD
	v_and_b32_e32 v22, 0x7f800000, v2
	v_mov_b32_e32 v23, v37
	v_and_b32_e32 v36, 0x7fffff, v2
	v_or_b32_e32 v0, 0x7e, v10
	v_cmp_ne_u64_e32 vcc, s[38:39], v[22:23]
	s_and_saveexec_b64 s[18:19], vcc
	s_xor_b64 s[52:53], exec, s[18:19]
	s_cbranch_execz .LBB2_3845
; %bb.3836:                             ;   in Loop: Header=BB2_2591 Depth=2
	v_and_b32_e32 v22, 0x7fffffff, v2
	v_mov_b32_e32 v23, v37
	v_cmp_gt_u64_e32 vcc, s[40:41], v[22:23]
	s_and_saveexec_b64 s[54:55], vcc
	s_cbranch_execz .LBB2_3844
; %bb.3837:                             ;   in Loop: Header=BB2_2591 Depth=2
	v_cmp_ne_u32_e32 vcc, 0, v2
	v_mov_b32_e32 v0, 0
	s_and_saveexec_b64 s[56:57], vcc
	s_cbranch_execz .LBB2_3843
; %bb.3838:                             ;   in Loop: Header=BB2_2591 Depth=2
	v_bfe_u32 v0, v2, 23, 8
	v_sub_u32_e32 v3, 0x79, v0
	v_cmp_gt_u32_e32 vcc, s71, v0
	v_add_u32_e32 v2, 0xffffff81, v0
	v_cndmask_b32_e32 v3, 0, v3, vcc
	v_cmp_eq_u32_e32 vcc, 0, v0
	v_mov_b32_e32 v0, 0xffffff82
	v_cndmask_b32_e32 v0, v2, v0, vcc
	v_mov_b32_e32 v2, 0x78
	v_cndmask_b32_e32 v35, v3, v2, vcc
	v_or_b32_e32 v22, 0x800000, v36
	v_add_u32_e32 v2, 20, v35
	v_cndmask_b32_e32 v36, v22, v36, vcc
	v_lshlrev_b64 v[2:3], v2, -1
	v_not_b32_e32 v2, v2
	v_lshrrev_b64 v[50:51], v35, v[36:37]
	v_not_b32_e32 v3, v3
	v_and_b32_e32 v2, v36, v2
	v_add_u32_e32 v22, 19, v35
	v_lshrrev_b32_e32 v36, 23, v50
	v_and_b32_e32 v3, 0, v3
	v_lshlrev_b64 v[22:23], v22, 1
	v_add3_u32 v36, v35, v0, v36
	v_bfe_u32 v0, v50, 20, 1
	v_add_u32_e32 v0, -1, v0
	v_cmp_eq_u64_e32 vcc, v[2:3], v[22:23]
	v_cndmask_b32_e32 v0, 0, v0, vcc
	v_add_u32_e32 v0, v0, v50
	v_and_b32_e32 v0, 0xfffff, v0
	v_add_co_u32_e32 v2, vcc, v0, v50
	v_add_u32_e32 v35, 6, v36
	v_addc_co_u32_e32 v3, vcc, 0, v51, vcc
	v_cmp_ne_u32_e32 vcc, 0, v35
                                        ; implicit-def: $vgpr0
	s_and_saveexec_b64 s[18:19], vcc
	s_xor_b64 s[18:19], exec, s[18:19]
; %bb.3839:                             ;   in Loop: Header=BB2_2591 Depth=2
	v_cmp_lt_u64_e32 vcc, s[44:45], v[2:3]
	v_add_u32_e32 v0, 7, v36
	v_cndmask_b32_e64 v22, 0, 1, vcc
	v_cndmask_b32_e32 v0, v35, v0, vcc
	v_lshrrev_b64 v[2:3], v22, v[2:3]
; %bb.3840:                             ;   in Loop: Header=BB2_2591 Depth=2
	s_andn2_saveexec_b64 s[18:19], s[18:19]
; %bb.3841:                             ;   in Loop: Header=BB2_2591 Depth=2
	v_bfe_u32 v0, v2, 23, 1
; %bb.3842:                             ;   in Loop: Header=BB2_2591 Depth=2
	s_or_b64 exec, exec, s[18:19]
	v_lshrrev_b64 v[2:3], 20, v[2:3]
	v_cmp_gt_i32_e32 vcc, 16, v0
	v_cndmask_b32_e32 v3, 0, v3, vcc
	v_cndmask_b32_e32 v2, 7, v2, vcc
	v_cmp_eq_u32_e32 vcc, 0, v0
	v_min_i32_e32 v0, 15, v0
	v_cmp_eq_u64_e64 s[18:19], 0, v[2:3]
	v_lshlrev_b32_e32 v0, 3, v0
	v_and_or_b32 v0, v2, 7, v0
	s_and_b64 s[18:19], vcc, s[18:19]
	v_cndmask_b32_e64 v0, v0, 0, s[18:19]
	v_or_b32_e32 v0, v0, v10
	v_bfrev_b32_e32 v50, 60
.LBB2_3843:                             ;   in Loop: Header=BB2_2591 Depth=2
	s_or_b64 exec, exec, s[56:57]
.LBB2_3844:                             ;   in Loop: Header=BB2_2591 Depth=2
	s_or_b64 exec, exec, s[54:55]
                                        ; implicit-def: $vgpr2
.LBB2_3845:                             ;   in Loop: Header=BB2_2591 Depth=2
	s_andn2_saveexec_b64 s[18:19], s[52:53]
; %bb.3846:                             ;   in Loop: Header=BB2_2591 Depth=2
	v_or_b32_sdwa v2, v2, s68 dst_sel:DWORD dst_unused:UNUSED_PAD src0_sel:BYTE_3 src1_sel:DWORD
	v_cmp_eq_u64_e32 vcc, 0, v[36:37]
	v_cndmask_b32_e32 v0, v2, v0, vcc
; %bb.3847:                             ;   in Loop: Header=BB2_2591 Depth=2
	s_or_b64 exec, exec, s[18:19]
	v_lshlrev_b32_e32 v10, 8, v26
	v_lshlrev_b32_e32 v2, 24, v49
	v_perm_b32 v3, v47, v19, s74
	v_or3_b32 v36, v3, v2, v10
	v_cmp_ne_u16_sdwa vcc, v19, v37 src0_sel:BYTE_0 src1_sel:DWORD
	v_mov_b32_e32 v3, 0
	v_mov_b32_e32 v2, 0
	s_and_saveexec_b64 s[18:19], vcc
	s_cbranch_execz .LBB2_3853
; %bb.3848:                             ;   in Loop: Header=BB2_2591 Depth=2
	v_cmp_ne_u16_sdwa vcc, v19, s69 src0_sel:BYTE_0 src1_sel:DWORD
	v_bfrev_b32_e32 v2, 1
	s_and_saveexec_b64 s[52:53], vcc
	s_cbranch_execz .LBB2_3852
; %bb.3849:                             ;   in Loop: Header=BB2_2591 Depth=2
	v_and_b32_e32 v26, 0x7f, v19
	v_cmp_ne_u32_e32 vcc, s68, v26
	v_mov_b32_e32 v2, 0x7f800001
	s_and_saveexec_b64 s[54:55], vcc
	s_cbranch_execz .LBB2_3851
; %bb.3850:                             ;   in Loop: Header=BB2_2591 Depth=2
	v_and_b32_e32 v2, 7, v19
	v_ffbh_u32_e32 v2, v2
	v_min_u32_e32 v2, 32, v2
	v_lshrrev_b32_e32 v19, 3, v26
	v_subrev_u32_e32 v22, 28, v2
	v_sub_u32_e32 v2, 29, v2
	v_cmp_gt_u32_e32 vcc, 8, v26
	v_cndmask_b32_e32 v2, v19, v2, vcc
	v_cndmask_b32_e32 v19, 0, v22, vcc
	v_lshlrev_b64 v[22:23], v19, v[36:37]
	v_lshlrev_b32_e32 v19, 20, v22
	v_lshlrev_b32_e32 v22, 24, v36
	v_and_b32_e32 v19, 0x700000, v19
	v_and_b32_e32 v22, 0x80000000, v22
	v_lshl_add_u32 v2, v2, 23, v50
	v_or3_b32 v2, v22, v2, v19
.LBB2_3851:                             ;   in Loop: Header=BB2_2591 Depth=2
	s_or_b64 exec, exec, s[54:55]
.LBB2_3852:                             ;   in Loop: Header=BB2_2591 Depth=2
	s_or_b64 exec, exec, s[52:53]
.LBB2_3853:                             ;   in Loop: Header=BB2_2591 Depth=2
	s_or_b64 exec, exec, s[18:19]
	v_cmp_ne_u16_sdwa vcc, v13, v37 src0_sel:BYTE_0 src1_sel:DWORD
	s_and_saveexec_b64 s[18:19], vcc
	s_cbranch_execz .LBB2_3859
; %bb.3854:                             ;   in Loop: Header=BB2_2591 Depth=2
	v_cmp_ne_u16_sdwa vcc, v13, s69 src0_sel:BYTE_0 src1_sel:DWORD
	v_bfrev_b32_e32 v3, 1
	s_and_saveexec_b64 s[52:53], vcc
	s_cbranch_execz .LBB2_3858
; %bb.3855:                             ;   in Loop: Header=BB2_2591 Depth=2
	v_and_b32_e32 v19, 0x7f, v13
	v_cmp_ne_u32_e32 vcc, s68, v19
	v_mov_b32_e32 v3, 0x7f800001
	s_and_saveexec_b64 s[54:55], vcc
	s_cbranch_execz .LBB2_3857
; %bb.3856:                             ;   in Loop: Header=BB2_2591 Depth=2
	v_and_b32_e32 v3, 7, v13
	v_ffbh_u32_e32 v3, v3
	v_min_u32_e32 v3, 32, v3
	v_subrev_u32_e32 v35, 28, v3
	v_cmp_gt_u32_e32 vcc, 8, v19
	v_mov_b32_e32 v22, v13
	v_mov_b32_e32 v23, v37
	v_lshrrev_b32_e32 v26, 3, v19
	v_cndmask_b32_e32 v19, 0, v35, vcc
	v_sub_u32_e32 v3, 29, v3
	v_lshlrev_b64 v[48:49], v19, v[22:23]
	v_cndmask_b32_e32 v3, v26, v3, vcc
	v_lshlrev_b32_e32 v19, 20, v48
	v_lshlrev_b32_e32 v22, 24, v22
	v_and_b32_e32 v19, 0x700000, v19
	v_and_b32_e32 v22, 0x80000000, v22
	v_lshl_add_u32 v3, v3, 23, v50
	v_or3_b32 v3, v22, v3, v19
.LBB2_3857:                             ;   in Loop: Header=BB2_2591 Depth=2
	s_or_b64 exec, exec, s[54:55]
.LBB2_3858:                             ;   in Loop: Header=BB2_2591 Depth=2
	s_or_b64 exec, exec, s[52:53]
.LBB2_3859:                             ;   in Loop: Header=BB2_2591 Depth=2
	s_or_b64 exec, exec, s[18:19]
	v_add_f32_e32 v35, v2, v3
	v_and_b32_sdwa v26, v35, s69 dst_sel:DWORD dst_unused:UNUSED_PAD src0_sel:BYTE_3 src1_sel:DWORD
	v_and_b32_e32 v22, 0x7f800000, v35
	v_mov_b32_e32 v23, v37
	v_and_b32_e32 v2, 0x7fffff, v35
	v_mov_b32_e32 v3, v37
	v_or_b32_e32 v19, 0x7e, v26
	v_cmp_ne_u64_e32 vcc, s[38:39], v[22:23]
	s_and_saveexec_b64 s[18:19], vcc
	s_xor_b64 s[52:53], exec, s[18:19]
	s_cbranch_execz .LBB2_3869
; %bb.3860:                             ;   in Loop: Header=BB2_2591 Depth=2
	v_and_b32_e32 v22, 0x7fffffff, v35
	v_mov_b32_e32 v23, v37
	v_cmp_gt_u64_e32 vcc, s[40:41], v[22:23]
	s_and_saveexec_b64 s[54:55], vcc
	s_cbranch_execz .LBB2_3868
; %bb.3861:                             ;   in Loop: Header=BB2_2591 Depth=2
	v_cmp_ne_u32_e32 vcc, 0, v35
	v_mov_b32_e32 v19, 0
	s_and_saveexec_b64 s[56:57], vcc
	s_cbranch_execz .LBB2_3867
; %bb.3862:                             ;   in Loop: Header=BB2_2591 Depth=2
	v_bfe_u32 v19, v35, 23, 8
	v_sub_u32_e32 v23, 0x79, v19
	v_cmp_gt_u32_e32 vcc, s71, v19
	v_add_u32_e32 v22, 0xffffff81, v19
	v_cndmask_b32_e32 v23, 0, v23, vcc
	v_cmp_eq_u32_e32 vcc, 0, v19
	v_mov_b32_e32 v19, 0xffffff82
	v_cndmask_b32_e32 v19, v22, v19, vcc
	v_mov_b32_e32 v22, 0x78
	v_cndmask_b32_e32 v39, v23, v22, vcc
	v_add_u32_e32 v22, 20, v39
	v_or_b32_e32 v35, 0x800000, v2
	v_lshlrev_b64 v[22:23], v22, -1
	v_cndmask_b32_e32 v2, v35, v2, vcc
	v_not_b32_e32 v22, v22
	v_and_b32_e32 v22, v2, v22
	v_add_u32_e32 v35, 19, v39
	v_lshrrev_b64 v[2:3], v39, v[2:3]
	v_not_b32_e32 v23, v23
	v_lshlrev_b64 v[48:49], v35, 1
	v_lshrrev_b32_e32 v35, 23, v2
	v_and_b32_e32 v23, 0, v23
	v_add3_u32 v39, v39, v19, v35
	v_bfe_u32 v19, v2, 20, 1
	v_add_u32_e32 v19, -1, v19
	v_cmp_eq_u64_e32 vcc, v[22:23], v[48:49]
	v_cndmask_b32_e32 v19, 0, v19, vcc
	v_add_u32_e32 v19, v19, v2
	v_and_b32_e32 v19, 0xfffff, v19
	v_add_co_u32_e32 v2, vcc, v19, v2
	v_add_u32_e32 v35, 6, v39
	v_addc_co_u32_e32 v3, vcc, 0, v3, vcc
	v_cmp_ne_u32_e32 vcc, 0, v35
                                        ; implicit-def: $vgpr19
	s_and_saveexec_b64 s[18:19], vcc
	s_xor_b64 s[18:19], exec, s[18:19]
; %bb.3863:                             ;   in Loop: Header=BB2_2591 Depth=2
	v_cmp_lt_u64_e32 vcc, s[44:45], v[2:3]
	v_add_u32_e32 v19, 7, v39
	v_cndmask_b32_e64 v22, 0, 1, vcc
	v_cndmask_b32_e32 v19, v35, v19, vcc
	v_lshrrev_b64 v[2:3], v22, v[2:3]
; %bb.3864:                             ;   in Loop: Header=BB2_2591 Depth=2
	s_andn2_saveexec_b64 s[18:19], s[18:19]
; %bb.3865:                             ;   in Loop: Header=BB2_2591 Depth=2
	v_bfe_u32 v19, v2, 23, 1
; %bb.3866:                             ;   in Loop: Header=BB2_2591 Depth=2
	s_or_b64 exec, exec, s[18:19]
	v_lshrrev_b64 v[2:3], 20, v[2:3]
	v_cmp_gt_i32_e32 vcc, 16, v19
	v_cndmask_b32_e32 v3, 0, v3, vcc
	v_cndmask_b32_e32 v2, 7, v2, vcc
	v_cmp_eq_u64_e64 s[18:19], 0, v[2:3]
	v_min_i32_e32 v3, 15, v19
	v_cmp_eq_u32_e32 vcc, 0, v19
	v_lshlrev_b32_e32 v3, 3, v3
	v_and_or_b32 v2, v2, 7, v3
	s_and_b64 s[18:19], vcc, s[18:19]
	v_cndmask_b32_e64 v2, v2, 0, s[18:19]
	v_or_b32_e32 v19, v2, v26
.LBB2_3867:                             ;   in Loop: Header=BB2_2591 Depth=2
	s_or_b64 exec, exec, s[56:57]
.LBB2_3868:                             ;   in Loop: Header=BB2_2591 Depth=2
	s_or_b64 exec, exec, s[54:55]
                                        ; implicit-def: $vgpr35
                                        ; implicit-def: $vgpr2_vgpr3
.LBB2_3869:                             ;   in Loop: Header=BB2_2591 Depth=2
	s_andn2_saveexec_b64 s[18:19], s[52:53]
; %bb.3870:                             ;   in Loop: Header=BB2_2591 Depth=2
	v_or_b32_sdwa v22, v35, s68 dst_sel:DWORD dst_unused:UNUSED_PAD src0_sel:BYTE_3 src1_sel:DWORD
	v_cmp_eq_u64_e32 vcc, 0, v[2:3]
	v_cndmask_b32_e32 v19, v22, v19, vcc
; %bb.3871:                             ;   in Loop: Header=BB2_2591 Depth=2
	s_or_b64 exec, exec, s[18:19]
	v_lshrrev_b16_e32 v2, 8, v10
	v_cmp_ne_u16_e32 vcc, 0, v2
	v_mov_b32_e32 v3, 0
	v_mov_b32_e32 v26, 0
	s_and_saveexec_b64 s[18:19], vcc
	s_cbranch_execz .LBB2_3877
; %bb.3872:                             ;   in Loop: Header=BB2_2591 Depth=2
	v_cmp_ne_u16_e32 vcc, s69, v2
	v_bfrev_b32_e32 v26, 1
	s_and_saveexec_b64 s[52:53], vcc
	s_cbranch_execz .LBB2_3876
; %bb.3873:                             ;   in Loop: Header=BB2_2591 Depth=2
	v_and_b32_e32 v35, 0x7f, v2
	v_cmp_ne_u32_e32 vcc, s68, v35
	v_mov_b32_e32 v26, 0x7f800001
	s_and_saveexec_b64 s[54:55], vcc
	s_cbranch_execz .LBB2_3875
; %bb.3874:                             ;   in Loop: Header=BB2_2591 Depth=2
	v_and_b32_e32 v26, 7, v2
	v_ffbh_u32_e32 v22, v26
	v_min_u32_e32 v48, 32, v22
	v_subrev_u32_e32 v22, 28, v48
	v_lshlrev_b64 v[22:23], v22, v[2:3]
	v_lshrrev_b32_e32 v39, 3, v35
	v_sub_u32_e32 v2, 29, v48
	v_and_b32_e32 v22, 7, v22
	v_cmp_gt_u32_e32 vcc, 8, v35
	v_cndmask_b32_e32 v2, v39, v2, vcc
	v_cndmask_b32_e32 v22, v26, v22, vcc
	v_lshlrev_b32_e32 v10, 16, v10
	v_lshlrev_b32_e32 v22, 20, v22
	v_and_b32_e32 v10, 0x80000000, v10
	v_lshl_add_u32 v2, v2, 23, v50
	v_or3_b32 v26, v10, v2, v22
.LBB2_3875:                             ;   in Loop: Header=BB2_2591 Depth=2
	s_or_b64 exec, exec, s[54:55]
.LBB2_3876:                             ;   in Loop: Header=BB2_2591 Depth=2
	s_or_b64 exec, exec, s[52:53]
.LBB2_3877:                             ;   in Loop: Header=BB2_2591 Depth=2
	s_or_b64 exec, exec, s[18:19]
	v_mov_b32_e32 v2, v13
	v_lshrrev_b16_e32 v10, 8, v2
	v_cmp_ne_u16_e32 vcc, 0, v10
	s_and_saveexec_b64 s[18:19], vcc
	s_cbranch_execz .LBB2_3883
; %bb.3878:                             ;   in Loop: Header=BB2_2591 Depth=2
	v_cmp_ne_u16_e32 vcc, s69, v10
	v_bfrev_b32_e32 v3, 1
	s_and_saveexec_b64 s[52:53], vcc
	s_cbranch_execz .LBB2_3882
; %bb.3879:                             ;   in Loop: Header=BB2_2591 Depth=2
	v_and_b32_e32 v35, 0x7f, v10
	v_cmp_ne_u32_e32 vcc, s68, v35
	v_mov_b32_e32 v3, 0x7f800001
	s_and_saveexec_b64 s[54:55], vcc
	s_cbranch_execz .LBB2_3881
; %bb.3880:                             ;   in Loop: Header=BB2_2591 Depth=2
	v_and_b32_e32 v3, 7, v10
	v_ffbh_u32_e32 v22, v3
	v_min_u32_e32 v48, 32, v22
	v_subrev_u32_e32 v22, 28, v48
	v_lshlrev_b64 v[22:23], v22, v[10:11]
	v_lshrrev_b32_e32 v39, 3, v35
	v_sub_u32_e32 v10, 29, v48
	v_and_b32_e32 v22, 7, v22
	v_cmp_gt_u32_e32 vcc, 8, v35
	v_cndmask_b32_e32 v10, v39, v10, vcc
	v_cndmask_b32_e32 v3, v3, v22, vcc
	v_lshlrev_b32_e32 v2, 16, v2
	v_lshlrev_b32_e32 v3, 20, v3
	v_and_b32_e32 v2, 0x80000000, v2
	v_lshl_add_u32 v10, v10, 23, v50
	v_or3_b32 v3, v2, v10, v3
.LBB2_3881:                             ;   in Loop: Header=BB2_2591 Depth=2
	s_or_b64 exec, exec, s[54:55]
.LBB2_3882:                             ;   in Loop: Header=BB2_2591 Depth=2
	s_or_b64 exec, exec, s[52:53]
.LBB2_3883:                             ;   in Loop: Header=BB2_2591 Depth=2
	s_or_b64 exec, exec, s[18:19]
	v_add_f32_e32 v35, v26, v3
	v_and_b32_sdwa v26, v35, s69 dst_sel:DWORD dst_unused:UNUSED_PAD src0_sel:BYTE_3 src1_sel:DWORD
	v_and_b32_e32 v22, 0x7f800000, v35
	v_mov_b32_e32 v23, v37
	v_and_b32_e32 v2, 0x7fffff, v35
	v_mov_b32_e32 v3, v37
	v_or_b32_e32 v10, 0x7e, v26
	v_cmp_ne_u64_e32 vcc, s[38:39], v[22:23]
	s_and_saveexec_b64 s[18:19], vcc
	s_xor_b64 s[52:53], exec, s[18:19]
	s_cbranch_execz .LBB2_3893
; %bb.3884:                             ;   in Loop: Header=BB2_2591 Depth=2
	v_and_b32_e32 v22, 0x7fffffff, v35
	v_mov_b32_e32 v23, v37
	v_cmp_gt_u64_e32 vcc, s[40:41], v[22:23]
	s_and_saveexec_b64 s[54:55], vcc
	s_cbranch_execz .LBB2_3892
; %bb.3885:                             ;   in Loop: Header=BB2_2591 Depth=2
	v_cmp_ne_u32_e32 vcc, 0, v35
	v_mov_b32_e32 v10, 0
	s_and_saveexec_b64 s[56:57], vcc
	s_cbranch_execz .LBB2_3891
; %bb.3886:                             ;   in Loop: Header=BB2_2591 Depth=2
	v_bfe_u32 v10, v35, 23, 8
	v_sub_u32_e32 v23, 0x79, v10
	v_cmp_gt_u32_e32 vcc, s71, v10
	v_add_u32_e32 v22, 0xffffff81, v10
	v_cndmask_b32_e32 v23, 0, v23, vcc
	v_cmp_eq_u32_e32 vcc, 0, v10
	v_mov_b32_e32 v10, 0xffffff82
	v_cndmask_b32_e32 v10, v22, v10, vcc
	v_mov_b32_e32 v22, 0x78
	v_cndmask_b32_e32 v39, v23, v22, vcc
	v_add_u32_e32 v22, 20, v39
	v_or_b32_e32 v35, 0x800000, v2
	v_lshlrev_b64 v[22:23], v22, -1
	v_cndmask_b32_e32 v2, v35, v2, vcc
	v_not_b32_e32 v22, v22
	v_and_b32_e32 v22, v2, v22
	v_add_u32_e32 v35, 19, v39
	v_lshrrev_b64 v[2:3], v39, v[2:3]
	v_not_b32_e32 v23, v23
	v_lshlrev_b64 v[48:49], v35, 1
	v_lshrrev_b32_e32 v35, 23, v2
	v_and_b32_e32 v23, 0, v23
	v_add3_u32 v39, v39, v10, v35
	v_bfe_u32 v10, v2, 20, 1
	v_add_u32_e32 v10, -1, v10
	v_cmp_eq_u64_e32 vcc, v[22:23], v[48:49]
	v_cndmask_b32_e32 v10, 0, v10, vcc
	v_add_u32_e32 v10, v10, v2
	v_and_b32_e32 v10, 0xfffff, v10
	v_add_co_u32_e32 v2, vcc, v10, v2
	v_add_u32_e32 v35, 6, v39
	v_addc_co_u32_e32 v3, vcc, 0, v3, vcc
	v_cmp_ne_u32_e32 vcc, 0, v35
                                        ; implicit-def: $vgpr10
	s_and_saveexec_b64 s[18:19], vcc
	s_xor_b64 s[18:19], exec, s[18:19]
; %bb.3887:                             ;   in Loop: Header=BB2_2591 Depth=2
	v_cmp_lt_u64_e32 vcc, s[44:45], v[2:3]
	v_add_u32_e32 v10, 7, v39
	v_cndmask_b32_e64 v22, 0, 1, vcc
	v_cndmask_b32_e32 v10, v35, v10, vcc
	v_lshrrev_b64 v[2:3], v22, v[2:3]
; %bb.3888:                             ;   in Loop: Header=BB2_2591 Depth=2
	s_andn2_saveexec_b64 s[18:19], s[18:19]
; %bb.3889:                             ;   in Loop: Header=BB2_2591 Depth=2
	v_bfe_u32 v10, v2, 23, 1
; %bb.3890:                             ;   in Loop: Header=BB2_2591 Depth=2
	s_or_b64 exec, exec, s[18:19]
	v_lshrrev_b64 v[2:3], 20, v[2:3]
	v_cmp_gt_i32_e32 vcc, 16, v10
	v_cndmask_b32_e32 v3, 0, v3, vcc
	v_cndmask_b32_e32 v2, 7, v2, vcc
	v_cmp_eq_u64_e64 s[18:19], 0, v[2:3]
	v_min_i32_e32 v3, 15, v10
	v_cmp_eq_u32_e32 vcc, 0, v10
	v_lshlrev_b32_e32 v3, 3, v3
	v_and_or_b32 v2, v2, 7, v3
	s_and_b64 s[18:19], vcc, s[18:19]
	v_cndmask_b32_e64 v2, v2, 0, s[18:19]
	v_or_b32_e32 v10, v2, v26
.LBB2_3891:                             ;   in Loop: Header=BB2_2591 Depth=2
	s_or_b64 exec, exec, s[56:57]
.LBB2_3892:                             ;   in Loop: Header=BB2_2591 Depth=2
	s_or_b64 exec, exec, s[54:55]
                                        ; implicit-def: $vgpr35
                                        ; implicit-def: $vgpr2_vgpr3
.LBB2_3893:                             ;   in Loop: Header=BB2_2591 Depth=2
	s_andn2_saveexec_b64 s[18:19], s[52:53]
; %bb.3894:                             ;   in Loop: Header=BB2_2591 Depth=2
	v_or_b32_sdwa v22, v35, s68 dst_sel:DWORD dst_unused:UNUSED_PAD src0_sel:BYTE_3 src1_sel:DWORD
	v_cmp_eq_u64_e32 vcc, 0, v[2:3]
	v_cndmask_b32_e32 v10, v22, v10, vcc
; %bb.3895:                             ;   in Loop: Header=BB2_2591 Depth=2
	s_or_b64 exec, exec, s[18:19]
	v_lshrrev_b32_e32 v2, 16, v36
	v_cmp_ne_u16_sdwa vcc, v2, v37 src0_sel:BYTE_0 src1_sel:DWORD
	v_mov_b32_e32 v3, 0
	v_mov_b32_e32 v26, 0
	s_and_saveexec_b64 s[18:19], vcc
	s_cbranch_execz .LBB2_3901
; %bb.3896:                             ;   in Loop: Header=BB2_2591 Depth=2
	v_cmp_ne_u16_sdwa vcc, v2, s69 src0_sel:BYTE_0 src1_sel:DWORD
	v_bfrev_b32_e32 v26, 1
	s_and_saveexec_b64 s[52:53], vcc
	s_cbranch_execz .LBB2_3900
; %bb.3897:                             ;   in Loop: Header=BB2_2591 Depth=2
	v_bfe_u32 v35, v36, 16, 7
	v_cmp_ne_u32_e32 vcc, s68, v35
	v_mov_b32_e32 v26, 0x7f800001
	s_and_saveexec_b64 s[54:55], vcc
	s_cbranch_execz .LBB2_3899
; %bb.3898:                             ;   in Loop: Header=BB2_2591 Depth=2
	v_and_b32_e32 v26, 7, v2
	v_ffbh_u32_e32 v22, v26
	v_min_u32_e32 v48, 32, v22
	v_subrev_u32_e32 v22, 28, v48
	v_lshlrev_b64 v[22:23], v22, v[2:3]
	v_lshrrev_b32_e32 v39, 3, v35
	v_sub_u32_e32 v23, 29, v48
	v_and_b32_e32 v22, 7, v22
	v_cmp_gt_u32_e32 vcc, 8, v35
	v_cndmask_b32_e32 v23, v39, v23, vcc
	v_cndmask_b32_e32 v22, v26, v22, vcc
	v_lshlrev_b32_e32 v2, 24, v2
	v_lshlrev_b32_e32 v22, 20, v22
	v_and_b32_e32 v2, 0x80000000, v2
	v_lshl_add_u32 v23, v23, 23, v50
	v_or3_b32 v26, v2, v23, v22
.LBB2_3899:                             ;   in Loop: Header=BB2_2591 Depth=2
	s_or_b64 exec, exec, s[54:55]
.LBB2_3900:                             ;   in Loop: Header=BB2_2591 Depth=2
	s_or_b64 exec, exec, s[52:53]
.LBB2_3901:                             ;   in Loop: Header=BB2_2591 Depth=2
	s_or_b64 exec, exec, s[18:19]
	v_lshrrev_b32_e32 v2, 16, v13
	v_cmp_ne_u16_sdwa vcc, v2, v37 src0_sel:BYTE_0 src1_sel:DWORD
	s_and_saveexec_b64 s[18:19], vcc
	s_cbranch_execz .LBB2_3907
; %bb.3902:                             ;   in Loop: Header=BB2_2591 Depth=2
	v_cmp_ne_u16_sdwa vcc, v2, s69 src0_sel:BYTE_0 src1_sel:DWORD
	v_bfrev_b32_e32 v3, 1
	s_and_saveexec_b64 s[52:53], vcc
	s_cbranch_execz .LBB2_3906
; %bb.3903:                             ;   in Loop: Header=BB2_2591 Depth=2
	v_bfe_u32 v35, v13, 16, 7
	v_cmp_ne_u32_e32 vcc, s68, v35
	v_mov_b32_e32 v3, 0x7f800001
	s_and_saveexec_b64 s[54:55], vcc
	s_cbranch_execz .LBB2_3905
; %bb.3904:                             ;   in Loop: Header=BB2_2591 Depth=2
	v_and_b32_e32 v22, 7, v2
	v_ffbh_u32_e32 v3, v22
	v_min_u32_e32 v39, 32, v3
	v_subrev_u32_e32 v3, 28, v39
	v_lshlrev_b64 v[2:3], v3, v[2:3]
	v_lshrrev_b32_e32 v23, 3, v35
	v_sub_u32_e32 v3, 29, v39
	v_and_b32_e32 v2, 7, v2
	v_cmp_gt_u32_e32 vcc, 8, v35
	v_cndmask_b32_e32 v3, v23, v3, vcc
	v_cndmask_b32_e32 v2, v22, v2, vcc
	v_lshlrev_b32_e32 v22, 8, v13
	v_lshlrev_b32_e32 v2, 20, v2
	v_and_b32_e32 v22, 0x80000000, v22
	v_lshl_add_u32 v3, v3, 23, v50
	v_or3_b32 v3, v22, v3, v2
.LBB2_3905:                             ;   in Loop: Header=BB2_2591 Depth=2
	s_or_b64 exec, exec, s[54:55]
.LBB2_3906:                             ;   in Loop: Header=BB2_2591 Depth=2
	s_or_b64 exec, exec, s[52:53]
.LBB2_3907:                             ;   in Loop: Header=BB2_2591 Depth=2
	s_or_b64 exec, exec, s[18:19]
	v_add_f32_e32 v39, v26, v3
	v_and_b32_sdwa v35, v39, s69 dst_sel:DWORD dst_unused:UNUSED_PAD src0_sel:BYTE_3 src1_sel:DWORD
	v_and_b32_e32 v22, 0x7f800000, v39
	v_mov_b32_e32 v23, v37
	v_and_b32_e32 v2, 0x7fffff, v39
	v_mov_b32_e32 v3, v37
	v_or_b32_e32 v26, 0x7e, v35
	v_cmp_ne_u64_e32 vcc, s[38:39], v[22:23]
	s_and_saveexec_b64 s[18:19], vcc
	s_xor_b64 s[52:53], exec, s[18:19]
	s_cbranch_execz .LBB2_3917
; %bb.3908:                             ;   in Loop: Header=BB2_2591 Depth=2
	v_and_b32_e32 v22, 0x7fffffff, v39
	v_mov_b32_e32 v23, v37
	v_cmp_gt_u64_e32 vcc, s[40:41], v[22:23]
	s_and_saveexec_b64 s[54:55], vcc
	s_cbranch_execz .LBB2_3916
; %bb.3909:                             ;   in Loop: Header=BB2_2591 Depth=2
	v_cmp_ne_u32_e32 vcc, 0, v39
	v_mov_b32_e32 v26, 0
	s_and_saveexec_b64 s[56:57], vcc
	s_cbranch_execz .LBB2_3915
; %bb.3910:                             ;   in Loop: Header=BB2_2591 Depth=2
	v_bfe_u32 v22, v39, 23, 8
	v_sub_u32_e32 v26, 0x79, v22
	v_cmp_gt_u32_e32 vcc, s71, v22
	v_add_u32_e32 v23, 0xffffff81, v22
	v_cndmask_b32_e32 v26, 0, v26, vcc
	v_cmp_eq_u32_e32 vcc, 0, v22
	v_mov_b32_e32 v22, 0xffffff82
	v_cndmask_b32_e32 v48, v23, v22, vcc
	v_mov_b32_e32 v22, 0x78
	v_cndmask_b32_e32 v26, v26, v22, vcc
	v_add_u32_e32 v22, 20, v26
	v_or_b32_e32 v39, 0x800000, v2
	v_lshlrev_b64 v[22:23], v22, -1
	v_cndmask_b32_e32 v2, v39, v2, vcc
	v_not_b32_e32 v22, v22
	v_and_b32_e32 v22, v2, v22
	v_add_u32_e32 v39, 19, v26
	v_lshrrev_b64 v[2:3], v26, v[2:3]
	v_not_b32_e32 v23, v23
	v_lshlrev_b64 v[50:51], v39, 1
	v_lshrrev_b32_e32 v39, 23, v2
	v_and_b32_e32 v23, 0, v23
	v_add3_u32 v48, v26, v48, v39
	v_bfe_u32 v26, v2, 20, 1
	v_add_u32_e32 v26, -1, v26
	v_cmp_eq_u64_e32 vcc, v[22:23], v[50:51]
	v_cndmask_b32_e32 v22, 0, v26, vcc
	v_add_u32_e32 v22, v22, v2
	v_and_b32_e32 v22, 0xfffff, v22
	v_add_co_u32_e32 v2, vcc, v22, v2
	v_add_u32_e32 v39, 6, v48
	v_addc_co_u32_e32 v3, vcc, 0, v3, vcc
	v_cmp_ne_u32_e32 vcc, 0, v39
                                        ; implicit-def: $vgpr26
	s_and_saveexec_b64 s[18:19], vcc
	s_xor_b64 s[18:19], exec, s[18:19]
; %bb.3911:                             ;   in Loop: Header=BB2_2591 Depth=2
	v_add_u32_e32 v22, 7, v48
	v_cmp_lt_u64_e32 vcc, s[44:45], v[2:3]
	v_cndmask_b32_e32 v26, v39, v22, vcc
	v_cndmask_b32_e64 v22, 0, 1, vcc
	v_lshrrev_b64 v[2:3], v22, v[2:3]
; %bb.3912:                             ;   in Loop: Header=BB2_2591 Depth=2
	s_andn2_saveexec_b64 s[18:19], s[18:19]
; %bb.3913:                             ;   in Loop: Header=BB2_2591 Depth=2
	v_bfe_u32 v26, v2, 23, 1
; %bb.3914:                             ;   in Loop: Header=BB2_2591 Depth=2
	s_or_b64 exec, exec, s[18:19]
	v_lshrrev_b64 v[2:3], 20, v[2:3]
	v_cmp_gt_i32_e32 vcc, 16, v26
	v_cndmask_b32_e32 v3, 0, v3, vcc
	v_cndmask_b32_e32 v2, 7, v2, vcc
	v_cmp_eq_u64_e64 s[18:19], 0, v[2:3]
	v_min_i32_e32 v3, 15, v26
	v_lshlrev_b32_e32 v3, 3, v3
	v_cmp_eq_u32_e32 vcc, 0, v26
	v_and_b32_e32 v3, 0xf8, v3
	v_and_or_b32 v2, v2, 7, v3
	s_and_b64 s[18:19], vcc, s[18:19]
	v_cndmask_b32_e64 v2, v2, 0, s[18:19]
	v_or_b32_e32 v26, v2, v35
	v_bfrev_b32_e32 v50, 60
.LBB2_3915:                             ;   in Loop: Header=BB2_2591 Depth=2
	s_or_b64 exec, exec, s[56:57]
.LBB2_3916:                             ;   in Loop: Header=BB2_2591 Depth=2
	s_or_b64 exec, exec, s[54:55]
                                        ; implicit-def: $vgpr39
                                        ; implicit-def: $vgpr2_vgpr3
.LBB2_3917:                             ;   in Loop: Header=BB2_2591 Depth=2
	s_andn2_saveexec_b64 s[18:19], s[52:53]
; %bb.3918:                             ;   in Loop: Header=BB2_2591 Depth=2
	v_or_b32_sdwa v22, v39, s68 dst_sel:DWORD dst_unused:UNUSED_PAD src0_sel:BYTE_3 src1_sel:DWORD
	v_cmp_eq_u64_e32 vcc, 0, v[2:3]
	v_cndmask_b32_e32 v26, v22, v26, vcc
; %bb.3919:                             ;   in Loop: Header=BB2_2591 Depth=2
	s_or_b64 exec, exec, s[18:19]
	v_cmp_lt_u32_e32 vcc, s43, v36
	v_mov_b32_e32 v3, 0
	v_mov_b32_e32 v35, 0
	s_and_saveexec_b64 s[18:19], vcc
	s_cbranch_execz .LBB2_3925
; %bb.3920:                             ;   in Loop: Header=BB2_2591 Depth=2
	v_lshrrev_b32_e32 v2, 24, v36
	v_cmp_ne_u32_sdwa vcc, v36, s69 src0_sel:BYTE_3 src1_sel:DWORD
	v_bfrev_b32_e32 v35, 1
	s_and_saveexec_b64 s[52:53], vcc
	s_cbranch_execz .LBB2_3924
; %bb.3921:                             ;   in Loop: Header=BB2_2591 Depth=2
	v_bfe_u32 v39, v36, 24, 7
	v_cmp_ne_u32_e32 vcc, s68, v39
	v_mov_b32_e32 v35, 0x7f800001
	s_and_saveexec_b64 s[54:55], vcc
	s_cbranch_execz .LBB2_3923
; %bb.3922:                             ;   in Loop: Header=BB2_2591 Depth=2
	v_and_b32_e32 v35, 7, v2
	v_ffbh_u32_e32 v22, v35
	v_min_u32_e32 v49, 32, v22
	v_subrev_u32_e32 v22, 28, v49
	v_lshlrev_b64 v[22:23], v22, v[2:3]
	v_lshrrev_b32_e32 v48, 3, v39
	v_sub_u32_e32 v2, 29, v49
	v_and_b32_e32 v22, 7, v22
	v_cmp_gt_u32_e32 vcc, 8, v39
	v_mov_b32_e32 v23, 24
	v_cndmask_b32_e32 v2, v48, v2, vcc
	v_cndmask_b32_e32 v22, v35, v22, vcc
	v_lshlrev_b32_sdwa v23, v23, v36 dst_sel:DWORD dst_unused:UNUSED_PAD src0_sel:DWORD src1_sel:BYTE_3
	v_lshlrev_b32_e32 v22, 20, v22
	v_and_b32_e32 v23, 0x80000000, v23
	v_lshl_add_u32 v2, v2, 23, v50
	v_or3_b32 v35, v23, v2, v22
.LBB2_3923:                             ;   in Loop: Header=BB2_2591 Depth=2
	s_or_b64 exec, exec, s[54:55]
.LBB2_3924:                             ;   in Loop: Header=BB2_2591 Depth=2
	s_or_b64 exec, exec, s[52:53]
.LBB2_3925:                             ;   in Loop: Header=BB2_2591 Depth=2
	s_or_b64 exec, exec, s[18:19]
	v_cmp_lt_u64_e32 vcc, s[42:43], v[12:13]
	s_and_saveexec_b64 s[18:19], vcc
	s_cbranch_execz .LBB2_3931
; %bb.3926:                             ;   in Loop: Header=BB2_2591 Depth=2
	v_lshrrev_b32_e32 v2, 24, v13
	v_cmp_ne_u32_e32 vcc, s69, v2
	v_bfrev_b32_e32 v3, 1
	s_and_saveexec_b64 s[52:53], vcc
	s_cbranch_execz .LBB2_3930
; %bb.3927:                             ;   in Loop: Header=BB2_2591 Depth=2
	v_bfe_u32 v12, v13, 24, 7
	v_cmp_ne_u32_e32 vcc, s68, v12
	v_mov_b32_e32 v3, 0x7f800001
	s_and_saveexec_b64 s[54:55], vcc
	s_cbranch_execz .LBB2_3929
; %bb.3928:                             ;   in Loop: Header=BB2_2591 Depth=2
	v_and_b32_e32 v3, 7, v2
	v_ffbh_u32_e32 v22, v3
	v_min_u32_e32 v36, 32, v22
	v_subrev_u32_e32 v22, 28, v36
	v_lshlrev_b64 v[22:23], v22, v[2:3]
	v_lshrrev_b32_e32 v13, 3, v12
	v_sub_u32_e32 v23, 29, v36
	v_and_b32_e32 v22, 7, v22
	v_cmp_gt_u32_e32 vcc, 8, v12
	v_cndmask_b32_e32 v12, v13, v23, vcc
	v_cndmask_b32_e32 v3, v3, v22, vcc
	v_lshlrev_b32_e32 v2, 24, v2
	v_lshlrev_b32_e32 v3, 20, v3
	v_and_b32_e32 v2, 0x80000000, v2
	v_lshl_add_u32 v12, v12, 23, v50
	v_or3_b32 v3, v2, v12, v3
.LBB2_3929:                             ;   in Loop: Header=BB2_2591 Depth=2
	s_or_b64 exec, exec, s[54:55]
.LBB2_3930:                             ;   in Loop: Header=BB2_2591 Depth=2
	s_or_b64 exec, exec, s[52:53]
.LBB2_3931:                             ;   in Loop: Header=BB2_2591 Depth=2
	s_or_b64 exec, exec, s[18:19]
	v_add_f32_e32 v3, v35, v3
	v_and_b32_sdwa v12, v3, s69 dst_sel:DWORD dst_unused:UNUSED_PAD src0_sel:BYTE_3 src1_sel:DWORD
	v_and_b32_e32 v22, 0x7f800000, v3
	v_mov_b32_e32 v23, v37
	v_and_b32_e32 v36, 0x7fffff, v3
	v_or_b32_e32 v2, 0x7e, v12
	v_cmp_ne_u64_e32 vcc, s[38:39], v[22:23]
	s_and_saveexec_b64 s[18:19], vcc
	s_xor_b64 s[52:53], exec, s[18:19]
	s_cbranch_execz .LBB2_3941
; %bb.3932:                             ;   in Loop: Header=BB2_2591 Depth=2
	v_and_b32_e32 v22, 0x7fffffff, v3
	v_mov_b32_e32 v23, v37
	v_cmp_gt_u64_e32 vcc, s[40:41], v[22:23]
	s_and_saveexec_b64 s[54:55], vcc
	s_cbranch_execz .LBB2_3940
; %bb.3933:                             ;   in Loop: Header=BB2_2591 Depth=2
	v_cmp_ne_u32_e32 vcc, 0, v3
	v_mov_b32_e32 v2, 0
	s_and_saveexec_b64 s[56:57], vcc
	s_cbranch_execz .LBB2_3939
; %bb.3934:                             ;   in Loop: Header=BB2_2591 Depth=2
	v_bfe_u32 v2, v3, 23, 8
	v_sub_u32_e32 v13, 0x79, v2
	v_cmp_gt_u32_e32 vcc, s71, v2
	v_add_u32_e32 v3, 0xffffff81, v2
	v_cndmask_b32_e32 v13, 0, v13, vcc
	v_cmp_eq_u32_e32 vcc, 0, v2
	v_mov_b32_e32 v2, 0xffffff82
	v_cndmask_b32_e32 v35, v3, v2, vcc
	v_mov_b32_e32 v2, 0x78
	v_cndmask_b32_e32 v13, v13, v2, vcc
	v_or_b32_e32 v22, 0x800000, v36
	v_add_u32_e32 v2, 20, v13
	v_cndmask_b32_e32 v36, v22, v36, vcc
	v_lshlrev_b64 v[2:3], v2, -1
	v_not_b32_e32 v2, v2
	v_lshrrev_b64 v[48:49], v13, v[36:37]
	v_not_b32_e32 v3, v3
	v_and_b32_e32 v2, v36, v2
	v_add_u32_e32 v22, 19, v13
	v_lshrrev_b32_e32 v36, 23, v48
	v_and_b32_e32 v3, 0, v3
	v_lshlrev_b64 v[22:23], v22, 1
	v_add3_u32 v36, v13, v35, v36
	v_bfe_u32 v13, v48, 20, 1
	v_add_u32_e32 v13, -1, v13
	v_cmp_eq_u64_e32 vcc, v[2:3], v[22:23]
	v_cndmask_b32_e32 v2, 0, v13, vcc
	v_add_u32_e32 v2, v2, v48
	v_and_b32_e32 v2, 0xfffff, v2
	v_add_co_u32_e32 v2, vcc, v2, v48
	v_add_u32_e32 v35, 6, v36
	v_addc_co_u32_e32 v3, vcc, 0, v49, vcc
	v_cmp_ne_u32_e32 vcc, 0, v35
                                        ; implicit-def: $vgpr13
	s_and_saveexec_b64 s[18:19], vcc
	s_xor_b64 s[18:19], exec, s[18:19]
; %bb.3935:                             ;   in Loop: Header=BB2_2591 Depth=2
	v_cmp_lt_u64_e32 vcc, s[44:45], v[2:3]
	v_add_u32_e32 v13, 7, v36
	v_cndmask_b32_e64 v22, 0, 1, vcc
	v_cndmask_b32_e32 v13, v35, v13, vcc
	v_lshrrev_b64 v[2:3], v22, v[2:3]
; %bb.3936:                             ;   in Loop: Header=BB2_2591 Depth=2
	s_andn2_saveexec_b64 s[18:19], s[18:19]
; %bb.3937:                             ;   in Loop: Header=BB2_2591 Depth=2
	v_bfe_u32 v13, v2, 23, 1
; %bb.3938:                             ;   in Loop: Header=BB2_2591 Depth=2
	s_or_b64 exec, exec, s[18:19]
	v_lshrrev_b64 v[2:3], 20, v[2:3]
	v_cmp_gt_i32_e32 vcc, 16, v13
	v_cndmask_b32_e32 v3, 0, v3, vcc
	v_cndmask_b32_e32 v2, 7, v2, vcc
	v_cmp_eq_u64_e64 s[18:19], 0, v[2:3]
	v_min_i32_e32 v3, 15, v13
	v_lshlrev_b32_e32 v3, 3, v3
	v_cmp_eq_u32_e32 vcc, 0, v13
	v_and_b32_e32 v3, 0xf8, v3
	v_and_or_b32 v2, v2, 7, v3
	s_and_b64 s[18:19], vcc, s[18:19]
	v_cndmask_b32_e64 v2, v2, 0, s[18:19]
	v_or_b32_e32 v2, v2, v12
.LBB2_3939:                             ;   in Loop: Header=BB2_2591 Depth=2
	s_or_b64 exec, exec, s[56:57]
.LBB2_3940:                             ;   in Loop: Header=BB2_2591 Depth=2
	s_or_b64 exec, exec, s[54:55]
                                        ; implicit-def: $vgpr3
.LBB2_3941:                             ;   in Loop: Header=BB2_2591 Depth=2
	s_andn2_saveexec_b64 s[18:19], s[52:53]
	s_cbranch_execz .LBB2_2590
; %bb.3942:                             ;   in Loop: Header=BB2_2591 Depth=2
	v_or_b32_sdwa v3, v3, s68 dst_sel:DWORD dst_unused:UNUSED_PAD src0_sel:BYTE_3 src1_sel:DWORD
	v_cmp_eq_u64_e32 vcc, 0, v[36:37]
	v_cndmask_b32_e32 v2, v3, v2, vcc
	s_branch .LBB2_2590
.LBB2_3943:                             ;   in Loop: Header=BB2_2518 Depth=1
	s_or_b64 exec, exec, s[50:51]
	v_accvgpr_read_b32 v61, a41
	v_accvgpr_read_b32 v31, a19
	;; [unrolled: 1-line block ×10, first 2 shown]
.LBB2_3944:                             ;   in Loop: Header=BB2_2518 Depth=1
	s_or_b64 exec, exec, s[20:21]
	v_and_b32_e32 v3, 0x3ffff800, v39
	v_cmp_ne_u32_e32 vcc, v3, v39
	s_mov_b64 s[18:19], 0
	v_mov_b32_e32 v4, 0
                                        ; implicit-def: $vgpr5
                                        ; implicit-def: $vgpr6
                                        ; implicit-def: $vgpr2
	s_and_saveexec_b64 s[50:51], vcc
	s_cbranch_execz .LBB2_4632
; %bb.3945:                             ;   in Loop: Header=BB2_2518 Depth=1
	v_lshlrev_b32_e32 v0, 6, v53
	v_accvgpr_read_b32 v2, a27
	v_sub_u32_e32 v0, v2, v0
	v_ashrrev_i32_e32 v2, 31, v0
	v_lshrrev_b32_e32 v2, 26, v2
	v_add_u32_e32 v2, v0, v2
	v_ashrrev_i32_e32 v4, 6, v2
	v_and_b32_e32 v2, 0xffffffc0, v2
	v_and_b32_e32 v1, 0x7ff, v39
	v_sub_u32_e32 v0, v0, v2
	v_and_b32_e32 v6, 0x400, v39
	v_lshlrev_b32_e32 v2, 4, v0
	v_sub_u32_e32 v19, v1, v6
	v_lshl_add_u32 v2, v4, 10, v2
	v_bfe_u32 v5, v39, 10, 1
	v_cmp_lt_i32_e64 s[18:19], 15, v19
	v_sub_u32_e32 v26, v1, v2
	v_addc_co_u32_e64 v1, vcc, 0, v5, s[18:19]
	v_sub_u32_e32 v1, v1, v4
	v_cmp_lt_i32_e32 vcc, 15, v26
	s_mov_b64 s[52:53], exec
	s_and_b64 s[20:21], s[52:53], vcc
	v_accvgpr_read_b32 v50, a26
	v_accvgpr_read_b32 v52, a32
	;; [unrolled: 1-line block ×3, first 2 shown]
	s_mov_b64 exec, s[20:21]
	s_cbranch_execz .LBB2_4629
; %bb.3946:                             ;   in Loop: Header=BB2_2518 Depth=1
	s_trap 2
	ds_read_b128 v[4:7], v0
	ds_read_b64 v[14:15], v0
	v_add_u32_e32 v2, v2, v3
	v_ashrrev_i32_e32 v3, 31, v2
	v_mov_b32_e32 v62, v39
	s_waitcnt lgkmcnt(0)
	v_add_co_u32_e32 v16, vcc, v4, v2
	v_addc_co_u32_e32 v17, vcc, v5, v3, vcc
	v_add_co_u32_e32 v54, vcc, v6, v2
	s_waitcnt lgkmcnt(0)
	v_readfirstlane_b32 s20, v14
	v_addc_co_u32_e32 v55, vcc, v7, v3, vcc
	s_and_b32 s21, s20, 7
	v_add_co_u32_e32 v40, vcc, v14, v2
	s_flbit_i32_b32 s21, s21
	v_addc_co_u32_e32 v41, vcc, v15, v3, vcc
	s_min_u32 s21, s21, 32
	s_and_b32 vcc_lo, s20, 0x7f
	s_bfe_u32 vcc_hi, s20, 0x40003
	s_sub_i32 s54, s21, 28
	s_sub_i32 s21, 29, s21
	s_cmp_lt_u32 vcc_lo, 8
	s_cselect_b32 s21, s21, vcc_hi
	s_cselect_b32 vcc_hi, s54, 0
	s_lshl_b32 s20, s20, 24
	s_lshl_b32 s21, s21, 23
	v_lshlrev_b64 v[2:3], vcc_hi, v[14:15]
	s_and_b32 s20, s20, 0x80000000
	s_add_i32 s21, s21, 0x3c000000
	v_lshlrev_b32_e32 v2, 20, v2
	s_or_b32 s20, s20, s21
	v_and_b32_e32 v2, 0x700000, v2
	s_cmpk_lg_i32 vcc_lo, 0x7f
	v_or_b32_e32 v2, s20, v2
	s_cselect_b64 vcc, -1, 0
	v_mov_b32_e32 v3, 0x7f800001
	v_mov_b32_e32 v57, v35
	;; [unrolled: 1-line block ×3, first 2 shown]
	v_accvgpr_write_b32 a19, v34
	v_mov_b32_e32 v51, v31
	v_cndmask_b32_e32 v15, v3, v2, vcc
	s_mov_b64 s[54:55], 0
	s_branch .LBB2_3948
.LBB2_3947:                             ;   in Loop: Header=BB2_3948 Depth=2
	s_or_b64 exec, exec, s[20:21]
	v_lshlrev_b32_e32 v3, 8, v31
	v_perm_b32 v3, v3, v20, s72
	v_lshl_or_b32 v3, v32, 16, v3
	v_lshl_or_b32 v31, v24, 24, v3
	v_and_b32_e32 v3, 0xff, v18
	v_lshlrev_b32_e32 v7, 8, v7
	v_lshlrev_b32_e32 v12, 24, v27
	;; [unrolled: 1-line block ×3, first 2 shown]
	v_perm_b32 v4, v7, v4, s72
	v_or3_b32 v30, v12, v3, v4
	v_and_b32_e32 v3, 0xff, v25
	v_lshlrev_b32_e32 v4, 24, v6
	v_lshlrev_b32_e32 v6, 8, v11
	;; [unrolled: 1-line block ×3, first 2 shown]
	v_perm_b32 v6, v6, v8, s72
	v_or3_b32 v32, v4, v3, v6
	v_lshlrev_b32_e32 v3, 8, v9
	v_perm_b32 v3, v3, v5, s72
	v_lshl_or_b32 v3, v10, 16, v3
	v_lshl_or_b32 v33, v2, 24, v3
	v_add_co_u32_e32 v16, vcc, v16, v53
	v_accvgpr_read_b32 v2, a34
	v_addc_co_u32_e32 v17, vcc, v17, v2, vcc
	v_add_co_u32_e32 v54, vcc, v54, v53
	v_addc_co_u32_e32 v55, vcc, v55, v2, vcc
	global_store_dwordx4 v[40:41], v[30:33], off glc slc
	v_add_co_u32_e32 v40, vcc, v40, v53
	v_addc_co_u32_e32 v41, vcc, v41, v2, vcc
	v_sub_u32_e32 v26, v26, v52
	v_cmp_gt_i32_e32 vcc, 16, v26
	s_or_b64 s[54:55], vcc, s[54:55]
	v_sub_u32_e32 v1, v1, v50
	s_andn2_b64 exec, exec, s[54:55]
	s_cbranch_execz .LBB2_4628
.LBB2_3948:                             ;   Parent Loop BB2_2518 Depth=1
                                        ; =>  This Inner Loop Header: Depth=2
	v_cmp_lt_i16_sdwa s[20:21], v14, s69 src0_sel:BYTE_0 src1_sel:DWORD
	s_and_b64 vcc, exec, s[20:21]
	s_cbranch_vccnz .LBB2_3952
; %bb.3949:                             ;   in Loop: Header=BB2_3948 Depth=2
	v_cmp_eq_u16_sdwa vcc, v14, s69 src0_sel:BYTE_0 src1_sel:DWORD
	s_mov_b64 s[20:21], -1
	s_and_b64 vcc, exec, vcc
                                        ; implicit-def: $sgpr56
	s_cbranch_vccz .LBB2_3951
; %bb.3950:                             ;   in Loop: Header=BB2_3948 Depth=2
	s_mov_b64 s[20:21], 0
	s_brev_b32 s56, 1
.LBB2_3951:                             ;   in Loop: Header=BB2_3948 Depth=2
	s_branch .LBB2_3954
.LBB2_3952:                             ;   in Loop: Header=BB2_3948 Depth=2
	s_mov_b64 s[20:21], 0
                                        ; implicit-def: $sgpr56
	s_cbranch_execz .LBB2_3954
; %bb.3953:                             ;   in Loop: Header=BB2_3948 Depth=2
	v_cmp_ne_u16_sdwa s[20:21], v14, v37 src0_sel:BYTE_0 src1_sel:DWORD
	s_mov_b32 s56, 0
.LBB2_3954:                             ;   in Loop: Header=BB2_3948 Depth=2
	s_andn2_b64 vcc, exec, s[20:21]
	v_mov_b32_e32 v7, s56
	s_cbranch_vccnz .LBB2_3956
; %bb.3955:                             ;   in Loop: Header=BB2_3948 Depth=2
	v_mov_b32_e32 v7, v15
.LBB2_3956:                             ;   in Loop: Header=BB2_3948 Depth=2
	global_load_dwordx4 v[10:13], v[16:17], off glc slc
	v_mov_b32_e32 v2, 0
	s_waitcnt vmcnt(0)
	v_cmp_ne_u16_sdwa vcc, v10, v37 src0_sel:BYTE_0 src1_sel:DWORD
	s_and_saveexec_b64 s[20:21], vcc
	s_cbranch_execz .LBB2_3962
; %bb.3957:                             ;   in Loop: Header=BB2_3948 Depth=2
	v_cmp_ne_u16_sdwa vcc, v10, s69 src0_sel:BYTE_0 src1_sel:DWORD
	v_bfrev_b32_e32 v2, 1
	s_and_saveexec_b64 s[56:57], vcc
	s_cbranch_execz .LBB2_3961
; %bb.3958:                             ;   in Loop: Header=BB2_3948 Depth=2
	v_and_b32_e32 v3, 0x7f, v10
	v_cmp_ne_u32_e32 vcc, s68, v3
	v_mov_b32_e32 v2, 0x7f800001
	s_and_saveexec_b64 s[58:59], vcc
	s_cbranch_execz .LBB2_3960
; %bb.3959:                             ;   in Loop: Header=BB2_3948 Depth=2
	v_and_b32_e32 v2, 7, v10
	v_ffbh_u32_e32 v2, v2
	v_min_u32_e32 v2, 32, v2
	v_lshrrev_b32_e32 v4, 3, v3
	v_subrev_u32_e32 v5, 28, v2
	v_sub_u32_e32 v2, 29, v2
	v_cmp_gt_u32_e32 vcc, 8, v3
	v_cndmask_b32_e32 v4, v4, v2, vcc
	v_cndmask_b32_e32 v2, 0, v5, vcc
	v_lshlrev_b64 v[2:3], v2, v[10:11]
	v_lshlrev_b32_e32 v2, 20, v2
	v_lshlrev_b32_e32 v3, 24, v10
	v_bfrev_b32_e32 v5, 60
	v_and_b32_e32 v2, 0x700000, v2
	v_and_b32_e32 v3, 0x80000000, v3
	v_lshl_add_u32 v4, v4, 23, v5
	v_or3_b32 v2, v3, v4, v2
.LBB2_3960:                             ;   in Loop: Header=BB2_3948 Depth=2
	s_or_b64 exec, exec, s[58:59]
.LBB2_3961:                             ;   in Loop: Header=BB2_3948 Depth=2
	s_or_b64 exec, exec, s[56:57]
.LBB2_3962:                             ;   in Loop: Header=BB2_3948 Depth=2
	s_or_b64 exec, exec, s[20:21]
	v_mul_f32_e32 v2, v7, v2
	v_and_b32_sdwa v5, v2, s69 dst_sel:DWORD dst_unused:UNUSED_PAD src0_sel:BYTE_3 src1_sel:DWORD
	v_and_b32_e32 v8, 0x7f800000, v2
	v_mov_b32_e32 v9, v37
	v_and_b32_e32 v36, 0x7fffff, v2
	v_or_b32_e32 v4, 0x7e, v5
	v_cmp_ne_u64_e32 vcc, s[38:39], v[8:9]
	s_and_saveexec_b64 s[20:21], vcc
	s_xor_b64 s[56:57], exec, s[20:21]
	s_cbranch_execz .LBB2_3972
; %bb.3963:                             ;   in Loop: Header=BB2_3948 Depth=2
	v_and_b32_e32 v8, 0x7fffffff, v2
	v_mov_b32_e32 v9, v37
	v_cmp_gt_u64_e32 vcc, s[40:41], v[8:9]
	s_and_saveexec_b64 s[58:59], vcc
	s_cbranch_execz .LBB2_3971
; %bb.3964:                             ;   in Loop: Header=BB2_3948 Depth=2
	v_cmp_ne_u32_e32 vcc, 0, v2
	v_mov_b32_e32 v4, 0
	s_and_saveexec_b64 s[60:61], vcc
	s_cbranch_execz .LBB2_3970
; %bb.3965:                             ;   in Loop: Header=BB2_3948 Depth=2
	v_bfe_u32 v2, v2, 23, 8
	v_sub_u32_e32 v4, 0x79, v2
	v_cmp_gt_u32_e32 vcc, s71, v2
	v_add_u32_e32 v3, 0xffffff81, v2
	v_cndmask_b32_e32 v4, 0, v4, vcc
	v_cmp_eq_u32_e32 vcc, 0, v2
	v_mov_b32_e32 v2, 0xffffff82
	v_cndmask_b32_e32 v8, v3, v2, vcc
	v_mov_b32_e32 v2, 0x78
	v_or_b32_e32 v6, 0x800000, v36
	v_cndmask_b32_e32 v4, v4, v2, vcc
	v_cndmask_b32_e32 v36, v6, v36, vcc
	v_add_u32_e32 v2, 20, v4
	v_lshlrev_b64 v[2:3], v2, -1
	v_add_u32_e32 v6, 19, v4
	v_lshrrev_b64 v[22:23], v4, v[36:37]
	v_not_b32_e32 v3, v3
	v_not_b32_e32 v2, v2
	v_lshlrev_b64 v[20:21], v6, 1
	v_lshrrev_b32_e32 v6, 23, v22
	v_and_b32_e32 v3, 0, v3
	v_and_b32_e32 v2, v36, v2
	v_add3_u32 v8, v4, v8, v6
	v_bfe_u32 v4, v22, 20, 1
	v_add_u32_e32 v4, -1, v4
	v_cmp_eq_u64_e32 vcc, v[2:3], v[20:21]
	v_cndmask_b32_e32 v2, 0, v4, vcc
	v_add_u32_e32 v2, v2, v22
	v_and_b32_e32 v2, 0xfffff, v2
	v_add_co_u32_e32 v2, vcc, v2, v22
	v_add_u32_e32 v6, 6, v8
	v_addc_co_u32_e32 v3, vcc, 0, v23, vcc
	v_cmp_ne_u32_e32 vcc, 0, v6
                                        ; implicit-def: $vgpr4
	s_and_saveexec_b64 s[20:21], vcc
	s_xor_b64 s[20:21], exec, s[20:21]
; %bb.3966:                             ;   in Loop: Header=BB2_3948 Depth=2
	v_add_u32_e32 v4, 7, v8
	v_cmp_lt_u64_e32 vcc, s[44:45], v[2:3]
	v_cndmask_b32_e32 v4, v6, v4, vcc
	v_cndmask_b32_e64 v6, 0, 1, vcc
	v_lshrrev_b64 v[2:3], v6, v[2:3]
; %bb.3967:                             ;   in Loop: Header=BB2_3948 Depth=2
	s_andn2_saveexec_b64 s[20:21], s[20:21]
; %bb.3968:                             ;   in Loop: Header=BB2_3948 Depth=2
	v_bfe_u32 v4, v2, 23, 1
; %bb.3969:                             ;   in Loop: Header=BB2_3948 Depth=2
	s_or_b64 exec, exec, s[20:21]
	v_lshrrev_b64 v[2:3], 20, v[2:3]
	v_cmp_gt_i32_e32 vcc, 16, v4
	v_cndmask_b32_e32 v3, 0, v3, vcc
	v_cndmask_b32_e32 v2, 7, v2, vcc
	v_cmp_eq_u64_e64 s[20:21], 0, v[2:3]
	v_min_i32_e32 v3, 15, v4
	v_cmp_eq_u32_e32 vcc, 0, v4
	v_lshlrev_b32_e32 v3, 3, v3
	v_and_or_b32 v2, v2, 7, v3
	s_and_b64 s[20:21], vcc, s[20:21]
	v_cndmask_b32_e64 v2, v2, 0, s[20:21]
	v_or_b32_e32 v4, v2, v5
.LBB2_3970:                             ;   in Loop: Header=BB2_3948 Depth=2
	s_or_b64 exec, exec, s[60:61]
.LBB2_3971:                             ;   in Loop: Header=BB2_3948 Depth=2
	s_or_b64 exec, exec, s[58:59]
                                        ; implicit-def: $vgpr2
.LBB2_3972:                             ;   in Loop: Header=BB2_3948 Depth=2
	s_andn2_saveexec_b64 s[20:21], s[56:57]
; %bb.3973:                             ;   in Loop: Header=BB2_3948 Depth=2
	v_or_b32_sdwa v2, v2, s68 dst_sel:DWORD dst_unused:UNUSED_PAD src0_sel:BYTE_3 src1_sel:DWORD
	v_cmp_eq_u64_e32 vcc, 0, v[36:37]
	v_cndmask_b32_e32 v4, v2, v4, vcc
; %bb.3974:                             ;   in Loop: Header=BB2_3948 Depth=2
	s_or_b64 exec, exec, s[20:21]
	v_lshrrev_b16_e32 v2, 8, v10
	v_cmp_ne_u16_e32 vcc, 0, v2
	v_mov_b32_e32 v3, 0
	s_and_saveexec_b64 s[20:21], vcc
	s_cbranch_execz .LBB2_3980
; %bb.3975:                             ;   in Loop: Header=BB2_3948 Depth=2
	v_cmp_ne_u16_e32 vcc, s69, v2
	v_bfrev_b32_e32 v3, 1
	s_and_saveexec_b64 s[56:57], vcc
	s_cbranch_execz .LBB2_3979
; %bb.3976:                             ;   in Loop: Header=BB2_3948 Depth=2
	v_and_b32_e32 v5, 0x7f, v2
	v_cmp_ne_u32_e32 vcc, s68, v5
	v_mov_b32_e32 v3, 0x7f800001
	s_and_saveexec_b64 s[58:59], vcc
	s_cbranch_execz .LBB2_3978
; %bb.3977:                             ;   in Loop: Header=BB2_3948 Depth=2
	v_and_b32_e32 v6, 7, v2
	v_ffbh_u32_e32 v3, v6
	v_min_u32_e32 v9, 32, v3
	v_subrev_u32_e32 v3, 28, v9
	v_lshlrev_b64 v[2:3], v3, v[2:3]
	v_lshrrev_b32_e32 v8, 3, v5
	v_sub_u32_e32 v3, 29, v9
	v_and_b32_e32 v2, 7, v2
	v_cmp_gt_u32_e32 vcc, 8, v5
	v_cndmask_b32_e32 v3, v8, v3, vcc
	v_cndmask_b32_e32 v2, v6, v2, vcc
	v_lshlrev_b32_e32 v5, 16, v10
	v_bfrev_b32_e32 v6, 60
	v_lshlrev_b32_e32 v2, 20, v2
	v_and_b32_e32 v5, 0x80000000, v5
	v_lshl_add_u32 v3, v3, 23, v6
	v_or3_b32 v3, v5, v3, v2
.LBB2_3978:                             ;   in Loop: Header=BB2_3948 Depth=2
	s_or_b64 exec, exec, s[58:59]
.LBB2_3979:                             ;   in Loop: Header=BB2_3948 Depth=2
	s_or_b64 exec, exec, s[56:57]
.LBB2_3980:                             ;   in Loop: Header=BB2_3948 Depth=2
	s_or_b64 exec, exec, s[20:21]
	v_mul_f32_e32 v2, v7, v3
	v_and_b32_sdwa v5, v2, s69 dst_sel:DWORD dst_unused:UNUSED_PAD src0_sel:BYTE_3 src1_sel:DWORD
	v_and_b32_e32 v8, 0x7f800000, v2
	v_mov_b32_e32 v9, v37
	v_and_b32_e32 v36, 0x7fffff, v2
	v_or_b32_e32 v18, 0x7e, v5
	v_cmp_ne_u64_e32 vcc, s[38:39], v[8:9]
	s_and_saveexec_b64 s[20:21], vcc
	s_xor_b64 s[56:57], exec, s[20:21]
	s_cbranch_execz .LBB2_3990
; %bb.3981:                             ;   in Loop: Header=BB2_3948 Depth=2
	v_and_b32_e32 v8, 0x7fffffff, v2
	v_mov_b32_e32 v9, v37
	v_cmp_gt_u64_e32 vcc, s[40:41], v[8:9]
	s_and_saveexec_b64 s[58:59], vcc
	s_cbranch_execz .LBB2_3989
; %bb.3982:                             ;   in Loop: Header=BB2_3948 Depth=2
	v_cmp_ne_u32_e32 vcc, 0, v2
	v_mov_b32_e32 v18, 0
	s_and_saveexec_b64 s[60:61], vcc
	s_cbranch_execz .LBB2_3988
; %bb.3983:                             ;   in Loop: Header=BB2_3948 Depth=2
	v_bfe_u32 v2, v2, 23, 8
	v_sub_u32_e32 v6, 0x79, v2
	v_cmp_gt_u32_e32 vcc, s71, v2
	v_add_u32_e32 v3, 0xffffff81, v2
	v_cndmask_b32_e32 v6, 0, v6, vcc
	v_cmp_eq_u32_e32 vcc, 0, v2
	v_mov_b32_e32 v2, 0xffffff82
	v_cndmask_b32_e32 v9, v3, v2, vcc
	v_mov_b32_e32 v2, 0x78
	v_or_b32_e32 v8, 0x800000, v36
	v_cndmask_b32_e32 v6, v6, v2, vcc
	v_cndmask_b32_e32 v36, v8, v36, vcc
	v_add_u32_e32 v2, 20, v6
	v_lshlrev_b64 v[2:3], v2, -1
	v_add_u32_e32 v8, 19, v6
	v_lshrrev_b64 v[22:23], v6, v[36:37]
	v_not_b32_e32 v3, v3
	v_not_b32_e32 v2, v2
	v_lshlrev_b64 v[20:21], v8, 1
	v_lshrrev_b32_e32 v8, 23, v22
	v_and_b32_e32 v3, 0, v3
	v_and_b32_e32 v2, v36, v2
	v_add3_u32 v9, v6, v9, v8
	v_bfe_u32 v6, v22, 20, 1
	v_add_u32_e32 v6, -1, v6
	v_cmp_eq_u64_e32 vcc, v[2:3], v[20:21]
	v_cndmask_b32_e32 v2, 0, v6, vcc
	v_add_u32_e32 v2, v2, v22
	v_and_b32_e32 v2, 0xfffff, v2
	v_add_co_u32_e32 v2, vcc, v2, v22
	v_add_u32_e32 v8, 6, v9
	v_addc_co_u32_e32 v3, vcc, 0, v23, vcc
	v_cmp_ne_u32_e32 vcc, 0, v8
                                        ; implicit-def: $vgpr6
	s_and_saveexec_b64 s[20:21], vcc
	s_xor_b64 s[20:21], exec, s[20:21]
; %bb.3984:                             ;   in Loop: Header=BB2_3948 Depth=2
	v_add_u32_e32 v6, 7, v9
	v_cmp_lt_u64_e32 vcc, s[44:45], v[2:3]
	v_cndmask_b32_e32 v6, v8, v6, vcc
	v_cndmask_b32_e64 v8, 0, 1, vcc
	v_lshrrev_b64 v[2:3], v8, v[2:3]
; %bb.3985:                             ;   in Loop: Header=BB2_3948 Depth=2
	s_andn2_saveexec_b64 s[20:21], s[20:21]
; %bb.3986:                             ;   in Loop: Header=BB2_3948 Depth=2
	v_bfe_u32 v6, v2, 23, 1
; %bb.3987:                             ;   in Loop: Header=BB2_3948 Depth=2
	s_or_b64 exec, exec, s[20:21]
	v_lshrrev_b64 v[2:3], 20, v[2:3]
	v_cmp_gt_i32_e32 vcc, 16, v6
	v_cndmask_b32_e32 v3, 0, v3, vcc
	v_cndmask_b32_e32 v2, 7, v2, vcc
	v_cmp_eq_u64_e64 s[20:21], 0, v[2:3]
	v_min_i32_e32 v3, 15, v6
	v_cmp_eq_u32_e32 vcc, 0, v6
	v_lshlrev_b32_e32 v3, 3, v3
	v_and_or_b32 v2, v2, 7, v3
	s_and_b64 s[20:21], vcc, s[20:21]
	v_cndmask_b32_e64 v2, v2, 0, s[20:21]
	v_or_b32_e32 v18, v2, v5
.LBB2_3988:                             ;   in Loop: Header=BB2_3948 Depth=2
	s_or_b64 exec, exec, s[60:61]
.LBB2_3989:                             ;   in Loop: Header=BB2_3948 Depth=2
	s_or_b64 exec, exec, s[58:59]
                                        ; implicit-def: $vgpr2
.LBB2_3990:                             ;   in Loop: Header=BB2_3948 Depth=2
	s_andn2_saveexec_b64 s[20:21], s[56:57]
; %bb.3991:                             ;   in Loop: Header=BB2_3948 Depth=2
	v_or_b32_sdwa v2, v2, s68 dst_sel:DWORD dst_unused:UNUSED_PAD src0_sel:BYTE_3 src1_sel:DWORD
	v_cmp_eq_u64_e32 vcc, 0, v[36:37]
	v_cndmask_b32_e32 v18, v2, v18, vcc
; %bb.3992:                             ;   in Loop: Header=BB2_3948 Depth=2
	s_or_b64 exec, exec, s[20:21]
	v_lshrrev_b32_e32 v2, 16, v10
	v_cmp_ne_u16_sdwa vcc, v2, v37 src0_sel:BYTE_0 src1_sel:DWORD
	v_mov_b32_e32 v3, 0
	s_and_saveexec_b64 s[20:21], vcc
	s_cbranch_execz .LBB2_3998
; %bb.3993:                             ;   in Loop: Header=BB2_3948 Depth=2
	v_cmp_ne_u16_sdwa vcc, v2, s69 src0_sel:BYTE_0 src1_sel:DWORD
	v_bfrev_b32_e32 v3, 1
	s_and_saveexec_b64 s[56:57], vcc
	s_cbranch_execz .LBB2_3997
; %bb.3994:                             ;   in Loop: Header=BB2_3948 Depth=2
	v_bfe_u32 v5, v10, 16, 7
	v_cmp_ne_u32_e32 vcc, s68, v5
	v_mov_b32_e32 v3, 0x7f800001
	s_and_saveexec_b64 s[58:59], vcc
	s_cbranch_execz .LBB2_3996
; %bb.3995:                             ;   in Loop: Header=BB2_3948 Depth=2
	v_and_b32_e32 v3, 7, v2
	v_ffbh_u32_e32 v8, v3
	v_min_u32_e32 v20, 32, v8
	v_subrev_u32_e32 v8, 28, v20
	v_lshlrev_b64 v[8:9], v8, v[2:3]
	v_lshrrev_b32_e32 v6, 3, v5
	v_sub_u32_e32 v9, 29, v20
	v_and_b32_e32 v8, 7, v8
	v_cmp_gt_u32_e32 vcc, 8, v5
	v_cndmask_b32_e32 v5, v6, v9, vcc
	v_cndmask_b32_e32 v3, v3, v8, vcc
	v_lshlrev_b32_e32 v2, 24, v2
	v_bfrev_b32_e32 v6, 60
	v_lshlrev_b32_e32 v3, 20, v3
	v_and_b32_e32 v2, 0x80000000, v2
	v_lshl_add_u32 v5, v5, 23, v6
	v_or3_b32 v3, v2, v5, v3
.LBB2_3996:                             ;   in Loop: Header=BB2_3948 Depth=2
	s_or_b64 exec, exec, s[58:59]
.LBB2_3997:                             ;   in Loop: Header=BB2_3948 Depth=2
	s_or_b64 exec, exec, s[56:57]
.LBB2_3998:                             ;   in Loop: Header=BB2_3948 Depth=2
	s_or_b64 exec, exec, s[20:21]
	v_mul_f32_e32 v2, v7, v3
	v_and_b32_sdwa v5, v2, s69 dst_sel:DWORD dst_unused:UNUSED_PAD src0_sel:BYTE_3 src1_sel:DWORD
	v_and_b32_e32 v8, 0x7f800000, v2
	v_mov_b32_e32 v9, v37
	v_and_b32_e32 v36, 0x7fffff, v2
	v_or_b32_e32 v42, 0x7e, v5
	v_cmp_ne_u64_e32 vcc, s[38:39], v[8:9]
	s_and_saveexec_b64 s[20:21], vcc
	s_xor_b64 s[56:57], exec, s[20:21]
	s_cbranch_execz .LBB2_4008
; %bb.3999:                             ;   in Loop: Header=BB2_3948 Depth=2
	v_and_b32_e32 v8, 0x7fffffff, v2
	v_mov_b32_e32 v9, v37
	v_cmp_gt_u64_e32 vcc, s[40:41], v[8:9]
	s_and_saveexec_b64 s[58:59], vcc
	s_cbranch_execz .LBB2_4007
; %bb.4000:                             ;   in Loop: Header=BB2_3948 Depth=2
	v_cmp_ne_u32_e32 vcc, 0, v2
	v_mov_b32_e32 v42, 0
	s_and_saveexec_b64 s[60:61], vcc
	s_cbranch_execz .LBB2_4006
; %bb.4001:                             ;   in Loop: Header=BB2_3948 Depth=2
	v_bfe_u32 v2, v2, 23, 8
	v_sub_u32_e32 v6, 0x79, v2
	v_cmp_gt_u32_e32 vcc, s71, v2
	v_add_u32_e32 v3, 0xffffff81, v2
	v_cndmask_b32_e32 v6, 0, v6, vcc
	v_cmp_eq_u32_e32 vcc, 0, v2
	v_mov_b32_e32 v2, 0xffffff82
	v_cndmask_b32_e32 v9, v3, v2, vcc
	v_mov_b32_e32 v2, 0x78
	v_or_b32_e32 v8, 0x800000, v36
	v_cndmask_b32_e32 v6, v6, v2, vcc
	v_cndmask_b32_e32 v36, v8, v36, vcc
	v_add_u32_e32 v2, 20, v6
	v_lshlrev_b64 v[2:3], v2, -1
	v_add_u32_e32 v8, 19, v6
	v_lshrrev_b64 v[22:23], v6, v[36:37]
	v_not_b32_e32 v3, v3
	v_not_b32_e32 v2, v2
	v_lshlrev_b64 v[20:21], v8, 1
	v_lshrrev_b32_e32 v8, 23, v22
	v_and_b32_e32 v3, 0, v3
	v_and_b32_e32 v2, v36, v2
	v_add3_u32 v9, v6, v9, v8
	v_bfe_u32 v6, v22, 20, 1
	v_add_u32_e32 v6, -1, v6
	v_cmp_eq_u64_e32 vcc, v[2:3], v[20:21]
	v_cndmask_b32_e32 v2, 0, v6, vcc
	v_add_u32_e32 v2, v2, v22
	v_and_b32_e32 v2, 0xfffff, v2
	v_add_co_u32_e32 v2, vcc, v2, v22
	v_add_u32_e32 v8, 6, v9
	v_addc_co_u32_e32 v3, vcc, 0, v23, vcc
	v_cmp_ne_u32_e32 vcc, 0, v8
                                        ; implicit-def: $vgpr6
	s_and_saveexec_b64 s[20:21], vcc
	s_xor_b64 s[20:21], exec, s[20:21]
; %bb.4002:                             ;   in Loop: Header=BB2_3948 Depth=2
	v_add_u32_e32 v6, 7, v9
	v_cmp_lt_u64_e32 vcc, s[44:45], v[2:3]
	v_cndmask_b32_e32 v6, v8, v6, vcc
	v_cndmask_b32_e64 v8, 0, 1, vcc
	v_lshrrev_b64 v[2:3], v8, v[2:3]
; %bb.4003:                             ;   in Loop: Header=BB2_3948 Depth=2
	s_andn2_saveexec_b64 s[20:21], s[20:21]
; %bb.4004:                             ;   in Loop: Header=BB2_3948 Depth=2
	v_bfe_u32 v6, v2, 23, 1
; %bb.4005:                             ;   in Loop: Header=BB2_3948 Depth=2
	s_or_b64 exec, exec, s[20:21]
	v_lshrrev_b64 v[2:3], 20, v[2:3]
	v_cmp_gt_i32_e32 vcc, 16, v6
	v_cndmask_b32_e32 v3, 0, v3, vcc
	v_cndmask_b32_e32 v2, 7, v2, vcc
	v_cmp_eq_u64_e64 s[20:21], 0, v[2:3]
	v_min_i32_e32 v3, 15, v6
	v_cmp_eq_u32_e32 vcc, 0, v6
	v_lshlrev_b32_e32 v3, 3, v3
	v_and_or_b32 v2, v2, 7, v3
	s_and_b64 s[20:21], vcc, s[20:21]
	v_cndmask_b32_e64 v2, v2, 0, s[20:21]
	v_or_b32_e32 v42, v2, v5
.LBB2_4006:                             ;   in Loop: Header=BB2_3948 Depth=2
	s_or_b64 exec, exec, s[60:61]
.LBB2_4007:                             ;   in Loop: Header=BB2_3948 Depth=2
	s_or_b64 exec, exec, s[58:59]
                                        ; implicit-def: $vgpr2
.LBB2_4008:                             ;   in Loop: Header=BB2_3948 Depth=2
	s_andn2_saveexec_b64 s[20:21], s[56:57]
; %bb.4009:                             ;   in Loop: Header=BB2_3948 Depth=2
	v_or_b32_sdwa v2, v2, s68 dst_sel:DWORD dst_unused:UNUSED_PAD src0_sel:BYTE_3 src1_sel:DWORD
	v_cmp_eq_u64_e32 vcc, 0, v[36:37]
	v_cndmask_b32_e32 v42, v2, v42, vcc
; %bb.4010:                             ;   in Loop: Header=BB2_3948 Depth=2
	s_or_b64 exec, exec, s[20:21]
	v_cmp_lt_u32_e32 vcc, s43, v10
	v_mov_b32_e32 v3, 0
	s_and_saveexec_b64 s[20:21], vcc
	s_cbranch_execz .LBB2_4016
; %bb.4011:                             ;   in Loop: Header=BB2_3948 Depth=2
	v_lshrrev_b32_e32 v2, 24, v10
	v_cmp_ne_u32_e32 vcc, s69, v2
	v_bfrev_b32_e32 v3, 1
	s_and_saveexec_b64 s[56:57], vcc
	s_cbranch_execz .LBB2_4015
; %bb.4012:                             ;   in Loop: Header=BB2_3948 Depth=2
	v_bfe_u32 v5, v10, 24, 7
	v_cmp_ne_u32_e32 vcc, s68, v5
	v_mov_b32_e32 v3, 0x7f800001
	s_and_saveexec_b64 s[58:59], vcc
	s_cbranch_execz .LBB2_4014
; %bb.4013:                             ;   in Loop: Header=BB2_3948 Depth=2
	v_and_b32_e32 v3, 7, v2
	v_ffbh_u32_e32 v8, v3
	v_min_u32_e32 v20, 32, v8
	v_subrev_u32_e32 v8, 28, v20
	v_lshlrev_b64 v[8:9], v8, v[2:3]
	v_lshrrev_b32_e32 v6, 3, v5
	v_sub_u32_e32 v9, 29, v20
	v_and_b32_e32 v8, 7, v8
	v_cmp_gt_u32_e32 vcc, 8, v5
	v_cndmask_b32_e32 v5, v6, v9, vcc
	v_cndmask_b32_e32 v3, v3, v8, vcc
	v_lshlrev_b32_e32 v2, 24, v2
	v_bfrev_b32_e32 v6, 60
	v_lshlrev_b32_e32 v3, 20, v3
	v_and_b32_e32 v2, 0x80000000, v2
	v_lshl_add_u32 v5, v5, 23, v6
	v_or3_b32 v3, v2, v5, v3
.LBB2_4014:                             ;   in Loop: Header=BB2_3948 Depth=2
	s_or_b64 exec, exec, s[58:59]
.LBB2_4015:                             ;   in Loop: Header=BB2_3948 Depth=2
	s_or_b64 exec, exec, s[56:57]
.LBB2_4016:                             ;   in Loop: Header=BB2_3948 Depth=2
	s_or_b64 exec, exec, s[20:21]
	v_mul_f32_e32 v2, v7, v3
	v_and_b32_sdwa v5, v2, s69 dst_sel:DWORD dst_unused:UNUSED_PAD src0_sel:BYTE_3 src1_sel:DWORD
	v_and_b32_e32 v8, 0x7f800000, v2
	v_mov_b32_e32 v9, v37
	v_and_b32_e32 v36, 0x7fffff, v2
	v_or_b32_e32 v27, 0x7e, v5
	v_cmp_ne_u64_e32 vcc, s[38:39], v[8:9]
	s_and_saveexec_b64 s[20:21], vcc
	s_xor_b64 s[56:57], exec, s[20:21]
	s_cbranch_execz .LBB2_4026
; %bb.4017:                             ;   in Loop: Header=BB2_3948 Depth=2
	v_and_b32_e32 v8, 0x7fffffff, v2
	v_mov_b32_e32 v9, v37
	v_cmp_gt_u64_e32 vcc, s[40:41], v[8:9]
	s_and_saveexec_b64 s[58:59], vcc
	s_cbranch_execz .LBB2_4025
; %bb.4018:                             ;   in Loop: Header=BB2_3948 Depth=2
	v_cmp_ne_u32_e32 vcc, 0, v2
	v_mov_b32_e32 v27, 0
	s_and_saveexec_b64 s[60:61], vcc
	s_cbranch_execz .LBB2_4024
; %bb.4019:                             ;   in Loop: Header=BB2_3948 Depth=2
	v_bfe_u32 v2, v2, 23, 8
	v_sub_u32_e32 v6, 0x79, v2
	v_cmp_gt_u32_e32 vcc, s71, v2
	v_add_u32_e32 v3, 0xffffff81, v2
	v_cndmask_b32_e32 v6, 0, v6, vcc
	v_cmp_eq_u32_e32 vcc, 0, v2
	v_mov_b32_e32 v2, 0xffffff82
	v_cndmask_b32_e32 v9, v3, v2, vcc
	v_mov_b32_e32 v2, 0x78
	v_or_b32_e32 v8, 0x800000, v36
	v_cndmask_b32_e32 v6, v6, v2, vcc
	v_cndmask_b32_e32 v36, v8, v36, vcc
	v_add_u32_e32 v2, 20, v6
	v_lshlrev_b64 v[2:3], v2, -1
	v_add_u32_e32 v8, 19, v6
	v_lshrrev_b64 v[22:23], v6, v[36:37]
	v_not_b32_e32 v3, v3
	v_not_b32_e32 v2, v2
	v_lshlrev_b64 v[20:21], v8, 1
	v_lshrrev_b32_e32 v8, 23, v22
	v_and_b32_e32 v3, 0, v3
	v_and_b32_e32 v2, v36, v2
	v_add3_u32 v9, v6, v9, v8
	v_bfe_u32 v6, v22, 20, 1
	v_add_u32_e32 v6, -1, v6
	v_cmp_eq_u64_e32 vcc, v[2:3], v[20:21]
	v_cndmask_b32_e32 v2, 0, v6, vcc
	v_add_u32_e32 v2, v2, v22
	v_and_b32_e32 v2, 0xfffff, v2
	v_add_co_u32_e32 v2, vcc, v2, v22
	v_add_u32_e32 v8, 6, v9
	v_addc_co_u32_e32 v3, vcc, 0, v23, vcc
	v_cmp_ne_u32_e32 vcc, 0, v8
                                        ; implicit-def: $vgpr6
	s_and_saveexec_b64 s[20:21], vcc
	s_xor_b64 s[20:21], exec, s[20:21]
; %bb.4020:                             ;   in Loop: Header=BB2_3948 Depth=2
	v_add_u32_e32 v6, 7, v9
	v_cmp_lt_u64_e32 vcc, s[44:45], v[2:3]
	v_cndmask_b32_e32 v6, v8, v6, vcc
	v_cndmask_b32_e64 v8, 0, 1, vcc
	v_lshrrev_b64 v[2:3], v8, v[2:3]
; %bb.4021:                             ;   in Loop: Header=BB2_3948 Depth=2
	s_andn2_saveexec_b64 s[20:21], s[20:21]
; %bb.4022:                             ;   in Loop: Header=BB2_3948 Depth=2
	v_bfe_u32 v6, v2, 23, 1
; %bb.4023:                             ;   in Loop: Header=BB2_3948 Depth=2
	s_or_b64 exec, exec, s[20:21]
	v_lshrrev_b64 v[2:3], 20, v[2:3]
	v_cmp_gt_i32_e32 vcc, 16, v6
	v_cndmask_b32_e32 v3, 0, v3, vcc
	v_cndmask_b32_e32 v2, 7, v2, vcc
	v_cmp_eq_u64_e64 s[20:21], 0, v[2:3]
	v_min_i32_e32 v3, 15, v6
	v_cmp_eq_u32_e32 vcc, 0, v6
	v_lshlrev_b32_e32 v3, 3, v3
	v_and_or_b32 v2, v2, 7, v3
	s_and_b64 s[20:21], vcc, s[20:21]
	v_cndmask_b32_e64 v2, v2, 0, s[20:21]
	v_or_b32_e32 v27, v2, v5
.LBB2_4024:                             ;   in Loop: Header=BB2_3948 Depth=2
	s_or_b64 exec, exec, s[60:61]
.LBB2_4025:                             ;   in Loop: Header=BB2_3948 Depth=2
	s_or_b64 exec, exec, s[58:59]
                                        ; implicit-def: $vgpr2
.LBB2_4026:                             ;   in Loop: Header=BB2_3948 Depth=2
	s_andn2_saveexec_b64 s[20:21], s[56:57]
; %bb.4027:                             ;   in Loop: Header=BB2_3948 Depth=2
	v_or_b32_sdwa v2, v2, s68 dst_sel:DWORD dst_unused:UNUSED_PAD src0_sel:BYTE_3 src1_sel:DWORD
	v_cmp_eq_u64_e32 vcc, 0, v[36:37]
	v_cndmask_b32_e32 v27, v2, v27, vcc
; %bb.4028:                             ;   in Loop: Header=BB2_3948 Depth=2
	s_or_b64 exec, exec, s[20:21]
	v_mov_b32_e32 v36, v11
	v_cmp_ne_u16_sdwa vcc, v11, v37 src0_sel:BYTE_0 src1_sel:DWORD
	v_mov_b32_e32 v2, 0
	s_and_saveexec_b64 s[20:21], vcc
	s_cbranch_execz .LBB2_4034
; %bb.4029:                             ;   in Loop: Header=BB2_3948 Depth=2
	v_cmp_ne_u16_sdwa vcc, v11, s69 src0_sel:BYTE_0 src1_sel:DWORD
	v_bfrev_b32_e32 v2, 1
	s_and_saveexec_b64 s[56:57], vcc
	s_cbranch_execz .LBB2_4033
; %bb.4030:                             ;   in Loop: Header=BB2_3948 Depth=2
	v_and_b32_e32 v3, 0x7f, v11
	v_cmp_ne_u32_e32 vcc, s68, v3
	v_mov_b32_e32 v2, 0x7f800001
	s_and_saveexec_b64 s[58:59], vcc
	s_cbranch_execz .LBB2_4032
; %bb.4031:                             ;   in Loop: Header=BB2_3948 Depth=2
	v_and_b32_e32 v2, 7, v11
	v_ffbh_u32_e32 v2, v2
	v_min_u32_e32 v2, 32, v2
	v_lshrrev_b32_e32 v5, 3, v3
	v_subrev_u32_e32 v6, 28, v2
	v_sub_u32_e32 v2, 29, v2
	v_cmp_gt_u32_e32 vcc, 8, v3
	v_cndmask_b32_e32 v5, v5, v2, vcc
	v_cndmask_b32_e32 v2, 0, v6, vcc
	v_lshlrev_b64 v[2:3], v2, v[36:37]
	v_lshlrev_b32_e32 v2, 20, v2
	v_lshlrev_b32_e32 v3, 24, v36
	v_bfrev_b32_e32 v6, 60
	v_and_b32_e32 v2, 0x700000, v2
	v_and_b32_e32 v3, 0x80000000, v3
	v_lshl_add_u32 v5, v5, 23, v6
	v_or3_b32 v2, v3, v5, v2
.LBB2_4032:                             ;   in Loop: Header=BB2_3948 Depth=2
	s_or_b64 exec, exec, s[58:59]
.LBB2_4033:                             ;   in Loop: Header=BB2_3948 Depth=2
	s_or_b64 exec, exec, s[56:57]
.LBB2_4034:                             ;   in Loop: Header=BB2_3948 Depth=2
	s_or_b64 exec, exec, s[20:21]
	v_mul_f32_e32 v6, v7, v2
	v_and_b32_sdwa v5, v6, s69 dst_sel:DWORD dst_unused:UNUSED_PAD src0_sel:BYTE_3 src1_sel:DWORD
	v_and_b32_e32 v8, 0x7f800000, v6
	v_mov_b32_e32 v9, v37
	v_and_b32_e32 v2, 0x7fffff, v6
	v_mov_b32_e32 v3, v37
	v_or_b32_e32 v20, 0x7e, v5
	v_cmp_ne_u64_e32 vcc, s[38:39], v[8:9]
	s_and_saveexec_b64 s[20:21], vcc
	s_xor_b64 s[56:57], exec, s[20:21]
	s_cbranch_execz .LBB2_4044
; %bb.4035:                             ;   in Loop: Header=BB2_3948 Depth=2
	v_and_b32_e32 v8, 0x7fffffff, v6
	v_mov_b32_e32 v9, v37
	v_cmp_gt_u64_e32 vcc, s[40:41], v[8:9]
	s_and_saveexec_b64 s[58:59], vcc
	s_cbranch_execz .LBB2_4043
; %bb.4036:                             ;   in Loop: Header=BB2_3948 Depth=2
	v_cmp_ne_u32_e32 vcc, 0, v6
	v_mov_b32_e32 v20, 0
	s_and_saveexec_b64 s[60:61], vcc
	s_cbranch_execz .LBB2_4042
; %bb.4037:                             ;   in Loop: Header=BB2_3948 Depth=2
	v_bfe_u32 v6, v6, 23, 8
	v_sub_u32_e32 v9, 0x79, v6
	v_cmp_gt_u32_e32 vcc, s71, v6
	v_add_u32_e32 v8, 0xffffff81, v6
	v_cndmask_b32_e32 v9, 0, v9, vcc
	v_cmp_eq_u32_e32 vcc, 0, v6
	v_mov_b32_e32 v6, 0xffffff82
	v_cndmask_b32_e32 v6, v8, v6, vcc
	v_mov_b32_e32 v8, 0x78
	v_cndmask_b32_e32 v24, v9, v8, vcc
	v_add_u32_e32 v8, 20, v24
	v_or_b32_e32 v20, 0x800000, v2
	v_lshlrev_b64 v[8:9], v8, -1
	v_cndmask_b32_e32 v2, v20, v2, vcc
	v_not_b32_e32 v8, v8
	v_and_b32_e32 v20, v2, v8
	v_add_u32_e32 v8, 19, v24
	v_lshrrev_b64 v[2:3], v24, v[2:3]
	v_not_b32_e32 v9, v9
	v_lshlrev_b64 v[22:23], v8, 1
	v_lshrrev_b32_e32 v8, 23, v2
	v_and_b32_e32 v21, 0, v9
	v_add3_u32 v9, v24, v6, v8
	v_bfe_u32 v6, v2, 20, 1
	v_add_u32_e32 v6, -1, v6
	v_cmp_eq_u64_e32 vcc, v[20:21], v[22:23]
	v_cndmask_b32_e32 v6, 0, v6, vcc
	v_add_u32_e32 v6, v6, v2
	v_and_b32_e32 v6, 0xfffff, v6
	v_add_co_u32_e32 v2, vcc, v6, v2
	v_add_u32_e32 v8, 6, v9
	v_addc_co_u32_e32 v3, vcc, 0, v3, vcc
	v_cmp_ne_u32_e32 vcc, 0, v8
                                        ; implicit-def: $vgpr6
	s_and_saveexec_b64 s[20:21], vcc
	s_xor_b64 s[20:21], exec, s[20:21]
; %bb.4038:                             ;   in Loop: Header=BB2_3948 Depth=2
	v_add_u32_e32 v6, 7, v9
	v_cmp_lt_u64_e32 vcc, s[44:45], v[2:3]
	v_cndmask_b32_e32 v6, v8, v6, vcc
	v_cndmask_b32_e64 v8, 0, 1, vcc
	v_lshrrev_b64 v[2:3], v8, v[2:3]
; %bb.4039:                             ;   in Loop: Header=BB2_3948 Depth=2
	s_andn2_saveexec_b64 s[20:21], s[20:21]
; %bb.4040:                             ;   in Loop: Header=BB2_3948 Depth=2
	v_bfe_u32 v6, v2, 23, 1
; %bb.4041:                             ;   in Loop: Header=BB2_3948 Depth=2
	s_or_b64 exec, exec, s[20:21]
	v_lshrrev_b64 v[2:3], 20, v[2:3]
	v_cmp_gt_i32_e32 vcc, 16, v6
	v_cndmask_b32_e32 v3, 0, v3, vcc
	v_cndmask_b32_e32 v2, 7, v2, vcc
	v_cmp_eq_u64_e64 s[20:21], 0, v[2:3]
	v_min_i32_e32 v3, 15, v6
	v_cmp_eq_u32_e32 vcc, 0, v6
	v_lshlrev_b32_e32 v3, 3, v3
	v_and_or_b32 v2, v2, 7, v3
	s_and_b64 s[20:21], vcc, s[20:21]
	v_cndmask_b32_e64 v2, v2, 0, s[20:21]
	v_or_b32_e32 v20, v2, v5
.LBB2_4042:                             ;   in Loop: Header=BB2_3948 Depth=2
	s_or_b64 exec, exec, s[60:61]
.LBB2_4043:                             ;   in Loop: Header=BB2_3948 Depth=2
	s_or_b64 exec, exec, s[58:59]
                                        ; implicit-def: $vgpr6
                                        ; implicit-def: $vgpr2_vgpr3
.LBB2_4044:                             ;   in Loop: Header=BB2_3948 Depth=2
	s_andn2_saveexec_b64 s[20:21], s[56:57]
; %bb.4045:                             ;   in Loop: Header=BB2_3948 Depth=2
	v_or_b32_sdwa v5, v6, s68 dst_sel:DWORD dst_unused:UNUSED_PAD src0_sel:BYTE_3 src1_sel:DWORD
	v_cmp_eq_u64_e32 vcc, 0, v[2:3]
	v_cndmask_b32_e32 v20, v5, v20, vcc
; %bb.4046:                             ;   in Loop: Header=BB2_3948 Depth=2
	s_or_b64 exec, exec, s[20:21]
	v_lshrrev_b16_e32 v2, 8, v36
	v_cmp_ne_u16_e32 vcc, 0, v2
	v_mov_b32_e32 v3, 0
	s_and_saveexec_b64 s[20:21], vcc
	s_cbranch_execz .LBB2_4052
; %bb.4047:                             ;   in Loop: Header=BB2_3948 Depth=2
	v_cmp_ne_u16_e32 vcc, s69, v2
	v_bfrev_b32_e32 v3, 1
	s_and_saveexec_b64 s[56:57], vcc
	s_cbranch_execz .LBB2_4051
; %bb.4048:                             ;   in Loop: Header=BB2_3948 Depth=2
	v_and_b32_e32 v5, 0x7f, v2
	v_cmp_ne_u32_e32 vcc, s68, v5
	v_mov_b32_e32 v3, 0x7f800001
	s_and_saveexec_b64 s[58:59], vcc
	s_cbranch_execz .LBB2_4050
; %bb.4049:                             ;   in Loop: Header=BB2_3948 Depth=2
	v_and_b32_e32 v6, 7, v2
	v_ffbh_u32_e32 v3, v6
	v_min_u32_e32 v9, 32, v3
	v_subrev_u32_e32 v3, 28, v9
	v_lshlrev_b64 v[2:3], v3, v[2:3]
	v_lshrrev_b32_e32 v8, 3, v5
	v_sub_u32_e32 v3, 29, v9
	v_and_b32_e32 v2, 7, v2
	v_cmp_gt_u32_e32 vcc, 8, v5
	v_cndmask_b32_e32 v3, v8, v3, vcc
	v_cndmask_b32_e32 v2, v6, v2, vcc
	v_lshlrev_b32_e32 v5, 16, v36
	v_bfrev_b32_e32 v6, 60
	v_lshlrev_b32_e32 v2, 20, v2
	v_and_b32_e32 v5, 0x80000000, v5
	v_lshl_add_u32 v3, v3, 23, v6
	v_or3_b32 v3, v5, v3, v2
.LBB2_4050:                             ;   in Loop: Header=BB2_3948 Depth=2
	s_or_b64 exec, exec, s[58:59]
.LBB2_4051:                             ;   in Loop: Header=BB2_3948 Depth=2
	s_or_b64 exec, exec, s[56:57]
.LBB2_4052:                             ;   in Loop: Header=BB2_3948 Depth=2
	s_or_b64 exec, exec, s[20:21]
	v_mul_f32_e32 v2, v7, v3
	v_and_b32_sdwa v5, v2, s69 dst_sel:DWORD dst_unused:UNUSED_PAD src0_sel:BYTE_3 src1_sel:DWORD
	v_and_b32_e32 v8, 0x7f800000, v2
	v_mov_b32_e32 v9, v37
	v_and_b32_e32 v36, 0x7fffff, v2
	v_or_b32_e32 v31, 0x7e, v5
	v_cmp_ne_u64_e32 vcc, s[38:39], v[8:9]
	s_and_saveexec_b64 s[20:21], vcc
	s_xor_b64 s[56:57], exec, s[20:21]
	s_cbranch_execz .LBB2_4062
; %bb.4053:                             ;   in Loop: Header=BB2_3948 Depth=2
	v_and_b32_e32 v8, 0x7fffffff, v2
	v_mov_b32_e32 v9, v37
	v_cmp_gt_u64_e32 vcc, s[40:41], v[8:9]
	s_and_saveexec_b64 s[58:59], vcc
	s_cbranch_execz .LBB2_4061
; %bb.4054:                             ;   in Loop: Header=BB2_3948 Depth=2
	v_cmp_ne_u32_e32 vcc, 0, v2
	v_mov_b32_e32 v31, 0
	s_and_saveexec_b64 s[60:61], vcc
	s_cbranch_execz .LBB2_4060
; %bb.4055:                             ;   in Loop: Header=BB2_3948 Depth=2
	v_bfe_u32 v2, v2, 23, 8
	v_sub_u32_e32 v6, 0x79, v2
	v_cmp_gt_u32_e32 vcc, s71, v2
	v_add_u32_e32 v3, 0xffffff81, v2
	v_cndmask_b32_e32 v6, 0, v6, vcc
	v_cmp_eq_u32_e32 vcc, 0, v2
	v_mov_b32_e32 v2, 0xffffff82
	v_cndmask_b32_e32 v9, v3, v2, vcc
	v_mov_b32_e32 v2, 0x78
	v_or_b32_e32 v8, 0x800000, v36
	v_cndmask_b32_e32 v6, v6, v2, vcc
	v_cndmask_b32_e32 v36, v8, v36, vcc
	v_add_u32_e32 v2, 20, v6
	v_lshlrev_b64 v[2:3], v2, -1
	v_add_u32_e32 v8, 19, v6
	v_lshrrev_b64 v[24:25], v6, v[36:37]
	v_not_b32_e32 v3, v3
	v_not_b32_e32 v2, v2
	v_lshlrev_b64 v[22:23], v8, 1
	v_lshrrev_b32_e32 v8, 23, v24
	v_and_b32_e32 v3, 0, v3
	v_and_b32_e32 v2, v36, v2
	v_add3_u32 v9, v6, v9, v8
	v_bfe_u32 v6, v24, 20, 1
	v_add_u32_e32 v6, -1, v6
	v_cmp_eq_u64_e32 vcc, v[2:3], v[22:23]
	v_cndmask_b32_e32 v2, 0, v6, vcc
	v_add_u32_e32 v2, v2, v24
	v_and_b32_e32 v2, 0xfffff, v2
	v_add_co_u32_e32 v2, vcc, v2, v24
	v_add_u32_e32 v8, 6, v9
	v_addc_co_u32_e32 v3, vcc, 0, v25, vcc
	v_cmp_ne_u32_e32 vcc, 0, v8
                                        ; implicit-def: $vgpr6
	s_and_saveexec_b64 s[20:21], vcc
	s_xor_b64 s[20:21], exec, s[20:21]
; %bb.4056:                             ;   in Loop: Header=BB2_3948 Depth=2
	v_add_u32_e32 v6, 7, v9
	v_cmp_lt_u64_e32 vcc, s[44:45], v[2:3]
	v_cndmask_b32_e32 v6, v8, v6, vcc
	v_cndmask_b32_e64 v8, 0, 1, vcc
	v_lshrrev_b64 v[2:3], v8, v[2:3]
; %bb.4057:                             ;   in Loop: Header=BB2_3948 Depth=2
	s_andn2_saveexec_b64 s[20:21], s[20:21]
; %bb.4058:                             ;   in Loop: Header=BB2_3948 Depth=2
	v_bfe_u32 v6, v2, 23, 1
; %bb.4059:                             ;   in Loop: Header=BB2_3948 Depth=2
	s_or_b64 exec, exec, s[20:21]
	v_lshrrev_b64 v[2:3], 20, v[2:3]
	v_cmp_gt_i32_e32 vcc, 16, v6
	v_cndmask_b32_e32 v3, 0, v3, vcc
	v_cndmask_b32_e32 v2, 7, v2, vcc
	v_cmp_eq_u64_e64 s[20:21], 0, v[2:3]
	v_min_i32_e32 v3, 15, v6
	v_lshlrev_b32_e32 v3, 3, v3
	v_cmp_eq_u32_e32 vcc, 0, v6
	v_and_b32_e32 v3, 0xf8, v3
	v_and_or_b32 v2, v2, 7, v3
	s_and_b64 s[20:21], vcc, s[20:21]
	v_cndmask_b32_e64 v2, v2, 0, s[20:21]
	v_or_b32_e32 v31, v2, v5
.LBB2_4060:                             ;   in Loop: Header=BB2_3948 Depth=2
	s_or_b64 exec, exec, s[60:61]
.LBB2_4061:                             ;   in Loop: Header=BB2_3948 Depth=2
	s_or_b64 exec, exec, s[58:59]
                                        ; implicit-def: $vgpr2
.LBB2_4062:                             ;   in Loop: Header=BB2_3948 Depth=2
	s_andn2_saveexec_b64 s[20:21], s[56:57]
; %bb.4063:                             ;   in Loop: Header=BB2_3948 Depth=2
	v_or_b32_sdwa v2, v2, s68 dst_sel:DWORD dst_unused:UNUSED_PAD src0_sel:BYTE_3 src1_sel:DWORD
	v_cmp_eq_u64_e32 vcc, 0, v[36:37]
	v_cndmask_b32_e32 v31, v2, v31, vcc
; %bb.4064:                             ;   in Loop: Header=BB2_3948 Depth=2
	s_or_b64 exec, exec, s[20:21]
	v_lshrrev_b32_e32 v2, 16, v11
	v_cmp_ne_u16_sdwa vcc, v2, v37 src0_sel:BYTE_0 src1_sel:DWORD
	v_mov_b32_e32 v3, 0
	s_and_saveexec_b64 s[20:21], vcc
	s_cbranch_execz .LBB2_4070
; %bb.4065:                             ;   in Loop: Header=BB2_3948 Depth=2
	v_cmp_ne_u16_sdwa vcc, v2, s69 src0_sel:BYTE_0 src1_sel:DWORD
	v_bfrev_b32_e32 v3, 1
	s_and_saveexec_b64 s[56:57], vcc
	s_cbranch_execz .LBB2_4069
; %bb.4066:                             ;   in Loop: Header=BB2_3948 Depth=2
	v_bfe_u32 v5, v11, 16, 7
	v_cmp_ne_u32_e32 vcc, s68, v5
	v_mov_b32_e32 v3, 0x7f800001
	s_and_saveexec_b64 s[58:59], vcc
	s_cbranch_execz .LBB2_4068
; %bb.4067:                             ;   in Loop: Header=BB2_3948 Depth=2
	v_and_b32_e32 v3, 7, v2
	v_ffbh_u32_e32 v8, v3
	v_min_u32_e32 v21, 32, v8
	v_subrev_u32_e32 v8, 28, v21
	v_lshlrev_b64 v[8:9], v8, v[2:3]
	v_lshrrev_b32_e32 v6, 3, v5
	v_sub_u32_e32 v9, 29, v21
	v_and_b32_e32 v8, 7, v8
	v_cmp_gt_u32_e32 vcc, 8, v5
	v_cndmask_b32_e32 v5, v6, v9, vcc
	v_cndmask_b32_e32 v3, v3, v8, vcc
	v_lshlrev_b32_e32 v2, 24, v2
	v_bfrev_b32_e32 v6, 60
	v_lshlrev_b32_e32 v3, 20, v3
	v_and_b32_e32 v2, 0x80000000, v2
	v_lshl_add_u32 v5, v5, 23, v6
	v_or3_b32 v3, v2, v5, v3
.LBB2_4068:                             ;   in Loop: Header=BB2_3948 Depth=2
	s_or_b64 exec, exec, s[58:59]
.LBB2_4069:                             ;   in Loop: Header=BB2_3948 Depth=2
	s_or_b64 exec, exec, s[56:57]
.LBB2_4070:                             ;   in Loop: Header=BB2_3948 Depth=2
	s_or_b64 exec, exec, s[20:21]
	v_mul_f32_e32 v2, v7, v3
	v_and_b32_sdwa v5, v2, s69 dst_sel:DWORD dst_unused:UNUSED_PAD src0_sel:BYTE_3 src1_sel:DWORD
	v_and_b32_e32 v8, 0x7f800000, v2
	v_mov_b32_e32 v9, v37
	v_and_b32_e32 v36, 0x7fffff, v2
	v_or_b32_e32 v32, 0x7e, v5
	v_cmp_ne_u64_e32 vcc, s[38:39], v[8:9]
	s_and_saveexec_b64 s[20:21], vcc
	s_xor_b64 s[56:57], exec, s[20:21]
	s_cbranch_execz .LBB2_4080
; %bb.4071:                             ;   in Loop: Header=BB2_3948 Depth=2
	v_and_b32_e32 v8, 0x7fffffff, v2
	v_mov_b32_e32 v9, v37
	v_cmp_gt_u64_e32 vcc, s[40:41], v[8:9]
	s_and_saveexec_b64 s[58:59], vcc
	s_cbranch_execz .LBB2_4079
; %bb.4072:                             ;   in Loop: Header=BB2_3948 Depth=2
	v_cmp_ne_u32_e32 vcc, 0, v2
	v_mov_b32_e32 v32, 0
	s_and_saveexec_b64 s[60:61], vcc
	s_cbranch_execz .LBB2_4078
; %bb.4073:                             ;   in Loop: Header=BB2_3948 Depth=2
	v_bfe_u32 v2, v2, 23, 8
	v_sub_u32_e32 v6, 0x79, v2
	v_cmp_gt_u32_e32 vcc, s71, v2
	v_add_u32_e32 v3, 0xffffff81, v2
	v_cndmask_b32_e32 v6, 0, v6, vcc
	v_cmp_eq_u32_e32 vcc, 0, v2
	v_mov_b32_e32 v2, 0xffffff82
	v_cndmask_b32_e32 v9, v3, v2, vcc
	v_mov_b32_e32 v2, 0x78
	v_or_b32_e32 v8, 0x800000, v36
	v_cndmask_b32_e32 v6, v6, v2, vcc
	v_cndmask_b32_e32 v36, v8, v36, vcc
	v_add_u32_e32 v2, 20, v6
	v_lshlrev_b64 v[2:3], v2, -1
	v_add_u32_e32 v8, 19, v6
	v_lshrrev_b64 v[24:25], v6, v[36:37]
	v_not_b32_e32 v3, v3
	v_not_b32_e32 v2, v2
	v_lshlrev_b64 v[22:23], v8, 1
	v_lshrrev_b32_e32 v8, 23, v24
	v_and_b32_e32 v3, 0, v3
	v_and_b32_e32 v2, v36, v2
	v_add3_u32 v9, v6, v9, v8
	v_bfe_u32 v6, v24, 20, 1
	v_add_u32_e32 v6, -1, v6
	v_cmp_eq_u64_e32 vcc, v[2:3], v[22:23]
	v_cndmask_b32_e32 v2, 0, v6, vcc
	v_add_u32_e32 v2, v2, v24
	v_and_b32_e32 v2, 0xfffff, v2
	v_add_co_u32_e32 v2, vcc, v2, v24
	v_add_u32_e32 v8, 6, v9
	v_addc_co_u32_e32 v3, vcc, 0, v25, vcc
	v_cmp_ne_u32_e32 vcc, 0, v8
                                        ; implicit-def: $vgpr6
	s_and_saveexec_b64 s[20:21], vcc
	s_xor_b64 s[20:21], exec, s[20:21]
; %bb.4074:                             ;   in Loop: Header=BB2_3948 Depth=2
	v_add_u32_e32 v6, 7, v9
	v_cmp_lt_u64_e32 vcc, s[44:45], v[2:3]
	v_cndmask_b32_e32 v6, v8, v6, vcc
	v_cndmask_b32_e64 v8, 0, 1, vcc
	v_lshrrev_b64 v[2:3], v8, v[2:3]
; %bb.4075:                             ;   in Loop: Header=BB2_3948 Depth=2
	s_andn2_saveexec_b64 s[20:21], s[20:21]
; %bb.4076:                             ;   in Loop: Header=BB2_3948 Depth=2
	v_bfe_u32 v6, v2, 23, 1
; %bb.4077:                             ;   in Loop: Header=BB2_3948 Depth=2
	s_or_b64 exec, exec, s[20:21]
	v_lshrrev_b64 v[2:3], 20, v[2:3]
	v_cmp_gt_i32_e32 vcc, 16, v6
	v_cndmask_b32_e32 v3, 0, v3, vcc
	v_cndmask_b32_e32 v2, 7, v2, vcc
	v_cmp_eq_u64_e64 s[20:21], 0, v[2:3]
	v_min_i32_e32 v3, 15, v6
	v_lshlrev_b32_e32 v3, 3, v3
	v_cmp_eq_u32_e32 vcc, 0, v6
	v_and_b32_e32 v3, 0xf8, v3
	v_and_or_b32 v2, v2, 7, v3
	s_and_b64 s[20:21], vcc, s[20:21]
	v_cndmask_b32_e64 v2, v2, 0, s[20:21]
	v_or_b32_e32 v32, v2, v5
.LBB2_4078:                             ;   in Loop: Header=BB2_3948 Depth=2
	s_or_b64 exec, exec, s[60:61]
.LBB2_4079:                             ;   in Loop: Header=BB2_3948 Depth=2
	s_or_b64 exec, exec, s[58:59]
                                        ; implicit-def: $vgpr2
.LBB2_4080:                             ;   in Loop: Header=BB2_3948 Depth=2
	s_andn2_saveexec_b64 s[20:21], s[56:57]
; %bb.4081:                             ;   in Loop: Header=BB2_3948 Depth=2
	v_or_b32_sdwa v2, v2, s68 dst_sel:DWORD dst_unused:UNUSED_PAD src0_sel:BYTE_3 src1_sel:DWORD
	v_cmp_eq_u64_e32 vcc, 0, v[36:37]
	v_cndmask_b32_e32 v32, v2, v32, vcc
; %bb.4082:                             ;   in Loop: Header=BB2_3948 Depth=2
	s_or_b64 exec, exec, s[20:21]
	v_cmp_lt_u64_e32 vcc, s[42:43], v[10:11]
	v_mov_b32_e32 v3, 0
	s_and_saveexec_b64 s[20:21], vcc
	s_cbranch_execz .LBB2_4088
; %bb.4083:                             ;   in Loop: Header=BB2_3948 Depth=2
	v_lshrrev_b32_e32 v2, 24, v11
	v_cmp_ne_u32_e32 vcc, s69, v2
	v_bfrev_b32_e32 v3, 1
	s_and_saveexec_b64 s[56:57], vcc
	s_cbranch_execz .LBB2_4087
; %bb.4084:                             ;   in Loop: Header=BB2_3948 Depth=2
	v_bfe_u32 v5, v11, 24, 7
	v_cmp_ne_u32_e32 vcc, s68, v5
	v_mov_b32_e32 v3, 0x7f800001
	s_and_saveexec_b64 s[58:59], vcc
	s_cbranch_execz .LBB2_4086
; %bb.4085:                             ;   in Loop: Header=BB2_3948 Depth=2
	v_and_b32_e32 v3, 7, v2
	v_ffbh_u32_e32 v8, v3
	v_min_u32_e32 v10, 32, v8
	v_subrev_u32_e32 v8, 28, v10
	v_lshlrev_b64 v[8:9], v8, v[2:3]
	v_lshrrev_b32_e32 v6, 3, v5
	v_sub_u32_e32 v9, 29, v10
	v_and_b32_e32 v8, 7, v8
	v_cmp_gt_u32_e32 vcc, 8, v5
	v_cndmask_b32_e32 v5, v6, v9, vcc
	v_cndmask_b32_e32 v3, v3, v8, vcc
	v_lshlrev_b32_e32 v2, 24, v2
	v_bfrev_b32_e32 v6, 60
	v_lshlrev_b32_e32 v3, 20, v3
	v_and_b32_e32 v2, 0x80000000, v2
	v_lshl_add_u32 v5, v5, 23, v6
	v_or3_b32 v3, v2, v5, v3
.LBB2_4086:                             ;   in Loop: Header=BB2_3948 Depth=2
	s_or_b64 exec, exec, s[58:59]
.LBB2_4087:                             ;   in Loop: Header=BB2_3948 Depth=2
	s_or_b64 exec, exec, s[56:57]
.LBB2_4088:                             ;   in Loop: Header=BB2_3948 Depth=2
	s_or_b64 exec, exec, s[20:21]
	v_mul_f32_e32 v2, v7, v3
	v_and_b32_sdwa v5, v2, s69 dst_sel:DWORD dst_unused:UNUSED_PAD src0_sel:BYTE_3 src1_sel:DWORD
	v_and_b32_e32 v8, 0x7f800000, v2
	v_mov_b32_e32 v9, v37
	v_and_b32_e32 v36, 0x7fffff, v2
	v_or_b32_e32 v33, 0x7e, v5
	v_cmp_ne_u64_e32 vcc, s[38:39], v[8:9]
	s_and_saveexec_b64 s[20:21], vcc
	s_xor_b64 s[56:57], exec, s[20:21]
	s_cbranch_execz .LBB2_4098
; %bb.4089:                             ;   in Loop: Header=BB2_3948 Depth=2
	v_and_b32_e32 v8, 0x7fffffff, v2
	v_mov_b32_e32 v9, v37
	v_cmp_gt_u64_e32 vcc, s[40:41], v[8:9]
	s_and_saveexec_b64 s[58:59], vcc
	s_cbranch_execz .LBB2_4097
; %bb.4090:                             ;   in Loop: Header=BB2_3948 Depth=2
	v_cmp_ne_u32_e32 vcc, 0, v2
	v_mov_b32_e32 v33, 0
	s_and_saveexec_b64 s[60:61], vcc
	s_cbranch_execz .LBB2_4096
; %bb.4091:                             ;   in Loop: Header=BB2_3948 Depth=2
	v_bfe_u32 v2, v2, 23, 8
	v_sub_u32_e32 v6, 0x79, v2
	v_cmp_gt_u32_e32 vcc, s71, v2
	v_add_u32_e32 v3, 0xffffff81, v2
	v_cndmask_b32_e32 v6, 0, v6, vcc
	v_cmp_eq_u32_e32 vcc, 0, v2
	v_mov_b32_e32 v2, 0xffffff82
	v_cndmask_b32_e32 v9, v3, v2, vcc
	v_mov_b32_e32 v2, 0x78
	v_or_b32_e32 v8, 0x800000, v36
	v_cndmask_b32_e32 v6, v6, v2, vcc
	v_cndmask_b32_e32 v36, v8, v36, vcc
	v_add_u32_e32 v2, 20, v6
	v_lshlrev_b64 v[2:3], v2, -1
	v_add_u32_e32 v8, 19, v6
	v_lshrrev_b64 v[22:23], v6, v[36:37]
	v_not_b32_e32 v3, v3
	v_not_b32_e32 v2, v2
	v_lshlrev_b64 v[10:11], v8, 1
	v_lshrrev_b32_e32 v8, 23, v22
	v_and_b32_e32 v3, 0, v3
	v_and_b32_e32 v2, v36, v2
	v_add3_u32 v9, v6, v9, v8
	v_bfe_u32 v6, v22, 20, 1
	v_add_u32_e32 v6, -1, v6
	v_cmp_eq_u64_e32 vcc, v[2:3], v[10:11]
	v_cndmask_b32_e32 v2, 0, v6, vcc
	v_add_u32_e32 v2, v2, v22
	v_and_b32_e32 v2, 0xfffff, v2
	v_add_co_u32_e32 v2, vcc, v2, v22
	v_add_u32_e32 v8, 6, v9
	v_addc_co_u32_e32 v3, vcc, 0, v23, vcc
	v_cmp_ne_u32_e32 vcc, 0, v8
                                        ; implicit-def: $vgpr6
	s_and_saveexec_b64 s[20:21], vcc
	s_xor_b64 s[20:21], exec, s[20:21]
; %bb.4092:                             ;   in Loop: Header=BB2_3948 Depth=2
	v_add_u32_e32 v6, 7, v9
	v_cmp_lt_u64_e32 vcc, s[44:45], v[2:3]
	v_cndmask_b32_e32 v6, v8, v6, vcc
	v_cndmask_b32_e64 v8, 0, 1, vcc
	v_lshrrev_b64 v[2:3], v8, v[2:3]
; %bb.4093:                             ;   in Loop: Header=BB2_3948 Depth=2
	s_andn2_saveexec_b64 s[20:21], s[20:21]
; %bb.4094:                             ;   in Loop: Header=BB2_3948 Depth=2
	v_bfe_u32 v6, v2, 23, 1
; %bb.4095:                             ;   in Loop: Header=BB2_3948 Depth=2
	s_or_b64 exec, exec, s[20:21]
	v_lshrrev_b64 v[2:3], 20, v[2:3]
	v_cmp_gt_i32_e32 vcc, 16, v6
	v_cndmask_b32_e32 v3, 0, v3, vcc
	v_cndmask_b32_e32 v2, 7, v2, vcc
	v_cmp_eq_u64_e64 s[20:21], 0, v[2:3]
	v_min_i32_e32 v3, 15, v6
	v_lshlrev_b32_e32 v3, 3, v3
	v_cmp_eq_u32_e32 vcc, 0, v6
	v_and_b32_e32 v3, 0xf8, v3
	v_and_or_b32 v2, v2, 7, v3
	s_and_b64 s[20:21], vcc, s[20:21]
	v_cndmask_b32_e64 v2, v2, 0, s[20:21]
	v_or_b32_e32 v33, v2, v5
.LBB2_4096:                             ;   in Loop: Header=BB2_3948 Depth=2
	s_or_b64 exec, exec, s[60:61]
.LBB2_4097:                             ;   in Loop: Header=BB2_3948 Depth=2
	s_or_b64 exec, exec, s[58:59]
                                        ; implicit-def: $vgpr2
.LBB2_4098:                             ;   in Loop: Header=BB2_3948 Depth=2
	s_andn2_saveexec_b64 s[20:21], s[56:57]
; %bb.4099:                             ;   in Loop: Header=BB2_3948 Depth=2
	v_or_b32_sdwa v2, v2, s68 dst_sel:DWORD dst_unused:UNUSED_PAD src0_sel:BYTE_3 src1_sel:DWORD
	v_cmp_eq_u64_e32 vcc, 0, v[36:37]
	v_cndmask_b32_e32 v33, v2, v33, vcc
; %bb.4100:                             ;   in Loop: Header=BB2_3948 Depth=2
	s_or_b64 exec, exec, s[20:21]
	v_cmp_ne_u16_sdwa vcc, v12, v37 src0_sel:BYTE_0 src1_sel:DWORD
	v_mov_b32_e32 v2, 0
	s_and_saveexec_b64 s[20:21], vcc
	s_cbranch_execz .LBB2_4106
; %bb.4101:                             ;   in Loop: Header=BB2_3948 Depth=2
	v_cmp_ne_u16_sdwa vcc, v12, s69 src0_sel:BYTE_0 src1_sel:DWORD
	v_bfrev_b32_e32 v2, 1
	s_and_saveexec_b64 s[56:57], vcc
	s_cbranch_execz .LBB2_4105
; %bb.4102:                             ;   in Loop: Header=BB2_3948 Depth=2
	v_and_b32_e32 v3, 0x7f, v12
	v_cmp_ne_u32_e32 vcc, s68, v3
	v_mov_b32_e32 v2, 0x7f800001
	s_and_saveexec_b64 s[58:59], vcc
	s_cbranch_execz .LBB2_4104
; %bb.4103:                             ;   in Loop: Header=BB2_3948 Depth=2
	v_and_b32_e32 v2, 7, v12
	v_ffbh_u32_e32 v2, v2
	v_min_u32_e32 v2, 32, v2
	v_lshrrev_b32_e32 v5, 3, v3
	v_subrev_u32_e32 v6, 28, v2
	v_sub_u32_e32 v2, 29, v2
	v_cmp_gt_u32_e32 vcc, 8, v3
	v_cndmask_b32_e32 v5, v5, v2, vcc
	v_cndmask_b32_e32 v2, 0, v6, vcc
	v_lshlrev_b64 v[2:3], v2, v[12:13]
	v_lshlrev_b32_e32 v2, 20, v2
	v_lshlrev_b32_e32 v3, 24, v12
	v_bfrev_b32_e32 v6, 60
	v_and_b32_e32 v2, 0x700000, v2
	v_and_b32_e32 v3, 0x80000000, v3
	v_lshl_add_u32 v5, v5, 23, v6
	v_or3_b32 v2, v3, v5, v2
.LBB2_4104:                             ;   in Loop: Header=BB2_3948 Depth=2
	s_or_b64 exec, exec, s[58:59]
.LBB2_4105:                             ;   in Loop: Header=BB2_3948 Depth=2
	s_or_b64 exec, exec, s[56:57]
.LBB2_4106:                             ;   in Loop: Header=BB2_3948 Depth=2
	s_or_b64 exec, exec, s[20:21]
	v_mul_f32_e32 v2, v7, v2
	v_and_b32_sdwa v5, v2, s69 dst_sel:DWORD dst_unused:UNUSED_PAD src0_sel:BYTE_3 src1_sel:DWORD
	v_and_b32_e32 v10, 0x7f800000, v2
	v_mov_b32_e32 v11, v37
	v_and_b32_e32 v36, 0x7fffff, v2
	v_or_b32_e32 v8, 0x7e, v5
	v_cmp_ne_u64_e32 vcc, s[38:39], v[10:11]
	s_and_saveexec_b64 s[20:21], vcc
	s_xor_b64 s[56:57], exec, s[20:21]
	s_cbranch_execz .LBB2_4116
; %bb.4107:                             ;   in Loop: Header=BB2_3948 Depth=2
	v_and_b32_e32 v10, 0x7fffffff, v2
	v_mov_b32_e32 v11, v37
	v_cmp_gt_u64_e32 vcc, s[40:41], v[10:11]
	s_and_saveexec_b64 s[58:59], vcc
	s_cbranch_execz .LBB2_4115
; %bb.4108:                             ;   in Loop: Header=BB2_3948 Depth=2
	v_cmp_ne_u32_e32 vcc, 0, v2
	v_mov_b32_e32 v8, 0
	s_and_saveexec_b64 s[60:61], vcc
	s_cbranch_execz .LBB2_4114
; %bb.4109:                             ;   in Loop: Header=BB2_3948 Depth=2
	v_bfe_u32 v2, v2, 23, 8
	v_sub_u32_e32 v6, 0x79, v2
	v_cmp_gt_u32_e32 vcc, s71, v2
	v_add_u32_e32 v3, 0xffffff81, v2
	v_cndmask_b32_e32 v6, 0, v6, vcc
	v_cmp_eq_u32_e32 vcc, 0, v2
	v_mov_b32_e32 v2, 0xffffff82
	v_cndmask_b32_e32 v9, v3, v2, vcc
	v_mov_b32_e32 v2, 0x78
	v_or_b32_e32 v8, 0x800000, v36
	v_cndmask_b32_e32 v6, v6, v2, vcc
	v_cndmask_b32_e32 v36, v8, v36, vcc
	v_add_u32_e32 v2, 20, v6
	v_lshlrev_b64 v[2:3], v2, -1
	v_add_u32_e32 v8, 19, v6
	v_lshrrev_b64 v[22:23], v6, v[36:37]
	v_not_b32_e32 v3, v3
	v_not_b32_e32 v2, v2
	v_lshlrev_b64 v[10:11], v8, 1
	v_lshrrev_b32_e32 v8, 23, v22
	v_and_b32_e32 v3, 0, v3
	v_and_b32_e32 v2, v36, v2
	v_add3_u32 v9, v6, v9, v8
	v_bfe_u32 v6, v22, 20, 1
	v_add_u32_e32 v6, -1, v6
	v_cmp_eq_u64_e32 vcc, v[2:3], v[10:11]
	v_cndmask_b32_e32 v2, 0, v6, vcc
	v_add_u32_e32 v2, v2, v22
	v_and_b32_e32 v2, 0xfffff, v2
	v_add_co_u32_e32 v2, vcc, v2, v22
	v_add_u32_e32 v8, 6, v9
	v_addc_co_u32_e32 v3, vcc, 0, v23, vcc
	v_cmp_ne_u32_e32 vcc, 0, v8
                                        ; implicit-def: $vgpr6
	s_and_saveexec_b64 s[20:21], vcc
	s_xor_b64 s[20:21], exec, s[20:21]
; %bb.4110:                             ;   in Loop: Header=BB2_3948 Depth=2
	v_add_u32_e32 v6, 7, v9
	v_cmp_lt_u64_e32 vcc, s[44:45], v[2:3]
	v_cndmask_b32_e32 v6, v8, v6, vcc
	v_cndmask_b32_e64 v8, 0, 1, vcc
	v_lshrrev_b64 v[2:3], v8, v[2:3]
; %bb.4111:                             ;   in Loop: Header=BB2_3948 Depth=2
	s_andn2_saveexec_b64 s[20:21], s[20:21]
; %bb.4112:                             ;   in Loop: Header=BB2_3948 Depth=2
	v_bfe_u32 v6, v2, 23, 1
; %bb.4113:                             ;   in Loop: Header=BB2_3948 Depth=2
	s_or_b64 exec, exec, s[20:21]
	v_lshrrev_b64 v[2:3], 20, v[2:3]
	v_cmp_gt_i32_e32 vcc, 16, v6
	v_cndmask_b32_e32 v3, 0, v3, vcc
	v_cndmask_b32_e32 v2, 7, v2, vcc
	v_cmp_eq_u64_e64 s[20:21], 0, v[2:3]
	v_min_i32_e32 v3, 15, v6
	v_cmp_eq_u32_e32 vcc, 0, v6
	v_lshlrev_b32_e32 v3, 3, v3
	v_and_or_b32 v2, v2, 7, v3
	s_and_b64 s[20:21], vcc, s[20:21]
	v_cndmask_b32_e64 v2, v2, 0, s[20:21]
	v_or_b32_e32 v8, v2, v5
.LBB2_4114:                             ;   in Loop: Header=BB2_3948 Depth=2
	s_or_b64 exec, exec, s[60:61]
.LBB2_4115:                             ;   in Loop: Header=BB2_3948 Depth=2
	s_or_b64 exec, exec, s[58:59]
                                        ; implicit-def: $vgpr2
.LBB2_4116:                             ;   in Loop: Header=BB2_3948 Depth=2
	s_andn2_saveexec_b64 s[20:21], s[56:57]
; %bb.4117:                             ;   in Loop: Header=BB2_3948 Depth=2
	v_or_b32_sdwa v2, v2, s68 dst_sel:DWORD dst_unused:UNUSED_PAD src0_sel:BYTE_3 src1_sel:DWORD
	v_cmp_eq_u64_e32 vcc, 0, v[36:37]
	v_cndmask_b32_e32 v8, v2, v8, vcc
; %bb.4118:                             ;   in Loop: Header=BB2_3948 Depth=2
	s_or_b64 exec, exec, s[20:21]
	v_lshrrev_b16_e32 v2, 8, v12
	v_cmp_ne_u16_e32 vcc, 0, v2
	v_mov_b32_e32 v3, 0
	s_and_saveexec_b64 s[20:21], vcc
	s_cbranch_execz .LBB2_4124
; %bb.4119:                             ;   in Loop: Header=BB2_3948 Depth=2
	v_cmp_ne_u16_e32 vcc, s69, v2
	v_bfrev_b32_e32 v3, 1
	s_and_saveexec_b64 s[56:57], vcc
	s_cbranch_execz .LBB2_4123
; %bb.4120:                             ;   in Loop: Header=BB2_3948 Depth=2
	v_and_b32_e32 v5, 0x7f, v2
	v_cmp_ne_u32_e32 vcc, s68, v5
	v_mov_b32_e32 v3, 0x7f800001
	s_and_saveexec_b64 s[58:59], vcc
	s_cbranch_execz .LBB2_4122
; %bb.4121:                             ;   in Loop: Header=BB2_3948 Depth=2
	v_and_b32_e32 v6, 7, v2
	v_ffbh_u32_e32 v3, v6
	v_min_u32_e32 v10, 32, v3
	v_subrev_u32_e32 v3, 28, v10
	v_lshlrev_b64 v[2:3], v3, v[2:3]
	v_lshrrev_b32_e32 v9, 3, v5
	v_sub_u32_e32 v3, 29, v10
	v_and_b32_e32 v2, 7, v2
	v_cmp_gt_u32_e32 vcc, 8, v5
	v_cndmask_b32_e32 v3, v9, v3, vcc
	v_cndmask_b32_e32 v2, v6, v2, vcc
	v_lshlrev_b32_e32 v5, 16, v12
	v_bfrev_b32_e32 v6, 60
	v_lshlrev_b32_e32 v2, 20, v2
	v_and_b32_e32 v5, 0x80000000, v5
	v_lshl_add_u32 v3, v3, 23, v6
	v_or3_b32 v3, v5, v3, v2
.LBB2_4122:                             ;   in Loop: Header=BB2_3948 Depth=2
	s_or_b64 exec, exec, s[58:59]
.LBB2_4123:                             ;   in Loop: Header=BB2_3948 Depth=2
	s_or_b64 exec, exec, s[56:57]
.LBB2_4124:                             ;   in Loop: Header=BB2_3948 Depth=2
	s_or_b64 exec, exec, s[20:21]
	v_mul_f32_e32 v2, v7, v3
	v_and_b32_sdwa v5, v2, s69 dst_sel:DWORD dst_unused:UNUSED_PAD src0_sel:BYTE_3 src1_sel:DWORD
	v_and_b32_e32 v10, 0x7f800000, v2
	v_mov_b32_e32 v11, v37
	v_and_b32_e32 v36, 0x7fffff, v2
	v_or_b32_e32 v25, 0x7e, v5
	v_cmp_ne_u64_e32 vcc, s[38:39], v[10:11]
	s_and_saveexec_b64 s[20:21], vcc
	s_xor_b64 s[56:57], exec, s[20:21]
	s_cbranch_execz .LBB2_4134
; %bb.4125:                             ;   in Loop: Header=BB2_3948 Depth=2
	v_and_b32_e32 v10, 0x7fffffff, v2
	v_mov_b32_e32 v11, v37
	v_cmp_gt_u64_e32 vcc, s[40:41], v[10:11]
	s_and_saveexec_b64 s[58:59], vcc
	s_cbranch_execz .LBB2_4133
; %bb.4126:                             ;   in Loop: Header=BB2_3948 Depth=2
	v_cmp_ne_u32_e32 vcc, 0, v2
	v_mov_b32_e32 v25, 0
	s_and_saveexec_b64 s[60:61], vcc
	s_cbranch_execz .LBB2_4132
; %bb.4127:                             ;   in Loop: Header=BB2_3948 Depth=2
	v_bfe_u32 v2, v2, 23, 8
	v_sub_u32_e32 v6, 0x79, v2
	v_cmp_gt_u32_e32 vcc, s71, v2
	v_add_u32_e32 v3, 0xffffff81, v2
	v_cndmask_b32_e32 v6, 0, v6, vcc
	v_cmp_eq_u32_e32 vcc, 0, v2
	v_mov_b32_e32 v2, 0xffffff82
	v_cndmask_b32_e32 v10, v3, v2, vcc
	v_mov_b32_e32 v2, 0x78
	v_or_b32_e32 v9, 0x800000, v36
	v_cndmask_b32_e32 v6, v6, v2, vcc
	v_cndmask_b32_e32 v36, v9, v36, vcc
	v_add_u32_e32 v2, 20, v6
	v_lshlrev_b64 v[2:3], v2, -1
	v_add_u32_e32 v9, 19, v6
	v_lshrrev_b64 v[24:25], v6, v[36:37]
	v_not_b32_e32 v3, v3
	v_not_b32_e32 v2, v2
	v_lshlrev_b64 v[22:23], v9, 1
	v_lshrrev_b32_e32 v9, 23, v24
	v_and_b32_e32 v3, 0, v3
	v_and_b32_e32 v2, v36, v2
	v_add3_u32 v10, v6, v10, v9
	v_bfe_u32 v6, v24, 20, 1
	v_add_u32_e32 v6, -1, v6
	v_cmp_eq_u64_e32 vcc, v[2:3], v[22:23]
	v_cndmask_b32_e32 v2, 0, v6, vcc
	v_add_u32_e32 v2, v2, v24
	v_and_b32_e32 v2, 0xfffff, v2
	v_add_co_u32_e32 v2, vcc, v2, v24
	v_add_u32_e32 v9, 6, v10
	v_addc_co_u32_e32 v3, vcc, 0, v25, vcc
	v_cmp_ne_u32_e32 vcc, 0, v9
                                        ; implicit-def: $vgpr6
	s_and_saveexec_b64 s[20:21], vcc
	s_xor_b64 s[20:21], exec, s[20:21]
; %bb.4128:                             ;   in Loop: Header=BB2_3948 Depth=2
	v_add_u32_e32 v6, 7, v10
	v_cmp_lt_u64_e32 vcc, s[44:45], v[2:3]
	v_cndmask_b32_e32 v6, v9, v6, vcc
	v_cndmask_b32_e64 v9, 0, 1, vcc
	v_lshrrev_b64 v[2:3], v9, v[2:3]
; %bb.4129:                             ;   in Loop: Header=BB2_3948 Depth=2
	s_andn2_saveexec_b64 s[20:21], s[20:21]
; %bb.4130:                             ;   in Loop: Header=BB2_3948 Depth=2
	v_bfe_u32 v6, v2, 23, 1
; %bb.4131:                             ;   in Loop: Header=BB2_3948 Depth=2
	s_or_b64 exec, exec, s[20:21]
	v_lshrrev_b64 v[2:3], 20, v[2:3]
	v_cmp_gt_i32_e32 vcc, 16, v6
	v_cndmask_b32_e32 v3, 0, v3, vcc
	v_cndmask_b32_e32 v2, 7, v2, vcc
	v_cmp_eq_u64_e64 s[20:21], 0, v[2:3]
	v_min_i32_e32 v3, 15, v6
	v_cmp_eq_u32_e32 vcc, 0, v6
	v_lshlrev_b32_e32 v3, 3, v3
	v_and_or_b32 v2, v2, 7, v3
	s_and_b64 s[20:21], vcc, s[20:21]
	v_cndmask_b32_e64 v2, v2, 0, s[20:21]
	v_or_b32_e32 v25, v2, v5
.LBB2_4132:                             ;   in Loop: Header=BB2_3948 Depth=2
	s_or_b64 exec, exec, s[60:61]
.LBB2_4133:                             ;   in Loop: Header=BB2_3948 Depth=2
	s_or_b64 exec, exec, s[58:59]
                                        ; implicit-def: $vgpr2
.LBB2_4134:                             ;   in Loop: Header=BB2_3948 Depth=2
	s_andn2_saveexec_b64 s[20:21], s[56:57]
; %bb.4135:                             ;   in Loop: Header=BB2_3948 Depth=2
	v_or_b32_sdwa v2, v2, s68 dst_sel:DWORD dst_unused:UNUSED_PAD src0_sel:BYTE_3 src1_sel:DWORD
	v_cmp_eq_u64_e32 vcc, 0, v[36:37]
	v_cndmask_b32_e32 v25, v2, v25, vcc
; %bb.4136:                             ;   in Loop: Header=BB2_3948 Depth=2
	s_or_b64 exec, exec, s[20:21]
	v_lshrrev_b32_e32 v2, 16, v12
	v_cmp_ne_u16_sdwa vcc, v2, v37 src0_sel:BYTE_0 src1_sel:DWORD
	v_mov_b32_e32 v3, 0
	s_and_saveexec_b64 s[20:21], vcc
	s_cbranch_execz .LBB2_4142
; %bb.4137:                             ;   in Loop: Header=BB2_3948 Depth=2
	v_cmp_ne_u16_sdwa vcc, v2, s69 src0_sel:BYTE_0 src1_sel:DWORD
	v_bfrev_b32_e32 v3, 1
	s_and_saveexec_b64 s[56:57], vcc
	s_cbranch_execz .LBB2_4141
; %bb.4138:                             ;   in Loop: Header=BB2_3948 Depth=2
	v_bfe_u32 v5, v12, 16, 7
	v_cmp_ne_u32_e32 vcc, s68, v5
	v_mov_b32_e32 v3, 0x7f800001
	s_and_saveexec_b64 s[58:59], vcc
	s_cbranch_execz .LBB2_4140
; %bb.4139:                             ;   in Loop: Header=BB2_3948 Depth=2
	v_and_b32_e32 v3, 7, v2
	v_ffbh_u32_e32 v9, v3
	v_min_u32_e32 v9, 32, v9
	v_subrev_u32_e32 v10, 28, v9
	v_lshlrev_b64 v[10:11], v10, v[2:3]
	v_lshrrev_b32_e32 v6, 3, v5
	v_sub_u32_e32 v9, 29, v9
	v_and_b32_e32 v10, 7, v10
	v_cmp_gt_u32_e32 vcc, 8, v5
	v_cndmask_b32_e32 v5, v6, v9, vcc
	v_cndmask_b32_e32 v3, v3, v10, vcc
	v_lshlrev_b32_e32 v2, 24, v2
	v_bfrev_b32_e32 v6, 60
	v_lshlrev_b32_e32 v3, 20, v3
	v_and_b32_e32 v2, 0x80000000, v2
	v_lshl_add_u32 v5, v5, 23, v6
	v_or3_b32 v3, v2, v5, v3
.LBB2_4140:                             ;   in Loop: Header=BB2_3948 Depth=2
	s_or_b64 exec, exec, s[58:59]
.LBB2_4141:                             ;   in Loop: Header=BB2_3948 Depth=2
	s_or_b64 exec, exec, s[56:57]
.LBB2_4142:                             ;   in Loop: Header=BB2_3948 Depth=2
	s_or_b64 exec, exec, s[20:21]
	v_mul_f32_e32 v3, v7, v3
	v_and_b32_sdwa v5, v3, s69 dst_sel:DWORD dst_unused:UNUSED_PAD src0_sel:BYTE_3 src1_sel:DWORD
	v_and_b32_e32 v10, 0x7f800000, v3
	v_mov_b32_e32 v11, v37
	v_and_b32_e32 v36, 0x7fffff, v3
	v_or_b32_e32 v2, 0x7e, v5
	v_cmp_ne_u64_e32 vcc, s[38:39], v[10:11]
	s_and_saveexec_b64 s[20:21], vcc
	s_xor_b64 s[56:57], exec, s[20:21]
	s_cbranch_execz .LBB2_4152
; %bb.4143:                             ;   in Loop: Header=BB2_3948 Depth=2
	v_and_b32_e32 v10, 0x7fffffff, v3
	v_mov_b32_e32 v11, v37
	v_cmp_gt_u64_e32 vcc, s[40:41], v[10:11]
	s_and_saveexec_b64 s[58:59], vcc
	s_cbranch_execz .LBB2_4151
; %bb.4144:                             ;   in Loop: Header=BB2_3948 Depth=2
	v_cmp_ne_u32_e32 vcc, 0, v3
	v_mov_b32_e32 v2, 0
	s_and_saveexec_b64 s[60:61], vcc
	s_cbranch_execz .LBB2_4150
; %bb.4145:                             ;   in Loop: Header=BB2_3948 Depth=2
	v_bfe_u32 v2, v3, 23, 8
	v_sub_u32_e32 v6, 0x79, v2
	v_cmp_gt_u32_e32 vcc, s71, v2
	v_add_u32_e32 v3, 0xffffff81, v2
	v_cndmask_b32_e32 v6, 0, v6, vcc
	v_cmp_eq_u32_e32 vcc, 0, v2
	v_mov_b32_e32 v2, 0xffffff82
	v_cndmask_b32_e32 v10, v3, v2, vcc
	v_mov_b32_e32 v2, 0x78
	v_or_b32_e32 v9, 0x800000, v36
	v_cndmask_b32_e32 v6, v6, v2, vcc
	v_cndmask_b32_e32 v36, v9, v36, vcc
	v_add_u32_e32 v2, 20, v6
	v_lshlrev_b64 v[2:3], v2, -1
	v_add_u32_e32 v9, 19, v6
	v_lshrrev_b64 v[34:35], v6, v[36:37]
	v_not_b32_e32 v3, v3
	v_not_b32_e32 v2, v2
	v_lshlrev_b64 v[22:23], v9, 1
	v_lshrrev_b32_e32 v9, 23, v34
	v_and_b32_e32 v3, 0, v3
	v_and_b32_e32 v2, v36, v2
	v_add3_u32 v10, v6, v10, v9
	v_bfe_u32 v6, v34, 20, 1
	v_add_u32_e32 v6, -1, v6
	v_cmp_eq_u64_e32 vcc, v[2:3], v[22:23]
	v_cndmask_b32_e32 v2, 0, v6, vcc
	v_add_u32_e32 v2, v2, v34
	v_and_b32_e32 v2, 0xfffff, v2
	v_add_co_u32_e32 v2, vcc, v2, v34
	v_add_u32_e32 v9, 6, v10
	v_addc_co_u32_e32 v3, vcc, 0, v35, vcc
	v_cmp_ne_u32_e32 vcc, 0, v9
                                        ; implicit-def: $vgpr6
	s_and_saveexec_b64 s[20:21], vcc
	s_xor_b64 s[20:21], exec, s[20:21]
; %bb.4146:                             ;   in Loop: Header=BB2_3948 Depth=2
	v_add_u32_e32 v6, 7, v10
	v_cmp_lt_u64_e32 vcc, s[44:45], v[2:3]
	v_cndmask_b32_e32 v6, v9, v6, vcc
	v_cndmask_b32_e64 v9, 0, 1, vcc
	v_lshrrev_b64 v[2:3], v9, v[2:3]
; %bb.4147:                             ;   in Loop: Header=BB2_3948 Depth=2
	s_andn2_saveexec_b64 s[20:21], s[20:21]
; %bb.4148:                             ;   in Loop: Header=BB2_3948 Depth=2
	v_bfe_u32 v6, v2, 23, 1
; %bb.4149:                             ;   in Loop: Header=BB2_3948 Depth=2
	s_or_b64 exec, exec, s[20:21]
	v_lshrrev_b64 v[2:3], 20, v[2:3]
	v_cmp_gt_i32_e32 vcc, 16, v6
	v_cndmask_b32_e32 v3, 0, v3, vcc
	v_cndmask_b32_e32 v2, 7, v2, vcc
	v_cmp_eq_u64_e64 s[20:21], 0, v[2:3]
	v_min_i32_e32 v3, 15, v6
	v_cmp_eq_u32_e32 vcc, 0, v6
	v_lshlrev_b32_e32 v3, 3, v3
	v_and_or_b32 v2, v2, 7, v3
	s_and_b64 s[20:21], vcc, s[20:21]
	v_cndmask_b32_e64 v2, v2, 0, s[20:21]
	v_or_b32_e32 v2, v2, v5
.LBB2_4150:                             ;   in Loop: Header=BB2_3948 Depth=2
	s_or_b64 exec, exec, s[60:61]
.LBB2_4151:                             ;   in Loop: Header=BB2_3948 Depth=2
	s_or_b64 exec, exec, s[58:59]
                                        ; implicit-def: $vgpr3
.LBB2_4152:                             ;   in Loop: Header=BB2_3948 Depth=2
	s_andn2_saveexec_b64 s[20:21], s[56:57]
; %bb.4153:                             ;   in Loop: Header=BB2_3948 Depth=2
	v_or_b32_sdwa v3, v3, s68 dst_sel:DWORD dst_unused:UNUSED_PAD src0_sel:BYTE_3 src1_sel:DWORD
	v_cmp_eq_u64_e32 vcc, 0, v[36:37]
	v_cndmask_b32_e32 v2, v3, v2, vcc
; %bb.4154:                             ;   in Loop: Header=BB2_3948 Depth=2
	s_or_b64 exec, exec, s[20:21]
	v_cmp_lt_u32_e32 vcc, s43, v12
	v_mov_b32_e32 v3, 0
	s_and_saveexec_b64 s[20:21], vcc
	s_cbranch_execz .LBB2_4160
; %bb.4155:                             ;   in Loop: Header=BB2_3948 Depth=2
	v_lshrrev_b32_e32 v10, 24, v12
	v_cmp_ne_u32_e32 vcc, s69, v10
	v_bfrev_b32_e32 v3, 1
	s_and_saveexec_b64 s[56:57], vcc
	s_cbranch_execz .LBB2_4159
; %bb.4156:                             ;   in Loop: Header=BB2_3948 Depth=2
	v_bfe_u32 v5, v12, 24, 7
	v_cmp_ne_u32_e32 vcc, s68, v5
	v_mov_b32_e32 v3, 0x7f800001
	s_and_saveexec_b64 s[58:59], vcc
	s_cbranch_execz .LBB2_4158
; %bb.4157:                             ;   in Loop: Header=BB2_3948 Depth=2
	v_and_b32_e32 v3, 7, v10
	v_ffbh_u32_e32 v9, v3
	v_min_u32_e32 v9, 32, v9
	v_subrev_u32_e32 v11, 28, v9
	v_lshlrev_b64 v[22:23], v11, v[10:11]
	v_lshrrev_b32_e32 v6, 3, v5
	v_sub_u32_e32 v9, 29, v9
	v_and_b32_e32 v11, 7, v22
	v_cmp_gt_u32_e32 vcc, 8, v5
	v_cndmask_b32_e32 v5, v6, v9, vcc
	v_cndmask_b32_e32 v3, v3, v11, vcc
	v_lshlrev_b32_e32 v6, 24, v10
	v_bfrev_b32_e32 v9, 60
	v_lshlrev_b32_e32 v3, 20, v3
	v_and_b32_e32 v6, 0x80000000, v6
	v_lshl_add_u32 v5, v5, 23, v9
	v_or3_b32 v3, v6, v5, v3
.LBB2_4158:                             ;   in Loop: Header=BB2_3948 Depth=2
	s_or_b64 exec, exec, s[58:59]
.LBB2_4159:                             ;   in Loop: Header=BB2_3948 Depth=2
	s_or_b64 exec, exec, s[56:57]
.LBB2_4160:                             ;   in Loop: Header=BB2_3948 Depth=2
	s_or_b64 exec, exec, s[20:21]
	v_mul_f32_e32 v5, v7, v3
	v_and_b32_sdwa v3, v5, s69 dst_sel:DWORD dst_unused:UNUSED_PAD src0_sel:BYTE_3 src1_sel:DWORD
	v_and_b32_e32 v10, 0x7f800000, v5
	v_mov_b32_e32 v11, v37
	v_and_b32_e32 v36, 0x7fffff, v5
	v_or_b32_e32 v6, 0x7e, v3
	v_cmp_ne_u64_e32 vcc, s[38:39], v[10:11]
	s_and_saveexec_b64 s[20:21], vcc
	s_xor_b64 s[56:57], exec, s[20:21]
	s_cbranch_execz .LBB2_4170
; %bb.4161:                             ;   in Loop: Header=BB2_3948 Depth=2
	v_and_b32_e32 v10, 0x7fffffff, v5
	v_mov_b32_e32 v11, v37
	v_cmp_gt_u64_e32 vcc, s[40:41], v[10:11]
	s_and_saveexec_b64 s[58:59], vcc
	s_cbranch_execz .LBB2_4169
; %bb.4162:                             ;   in Loop: Header=BB2_3948 Depth=2
	v_cmp_ne_u32_e32 vcc, 0, v5
	v_mov_b32_e32 v6, 0
	s_and_saveexec_b64 s[60:61], vcc
	s_cbranch_execz .LBB2_4168
; %bb.4163:                             ;   in Loop: Header=BB2_3948 Depth=2
	v_bfe_u32 v5, v5, 23, 8
	v_sub_u32_e32 v9, 0x79, v5
	v_cmp_gt_u32_e32 vcc, s71, v5
	v_add_u32_e32 v6, 0xffffff81, v5
	v_cndmask_b32_e32 v9, 0, v9, vcc
	v_cmp_eq_u32_e32 vcc, 0, v5
	v_mov_b32_e32 v5, 0xffffff82
	v_cndmask_b32_e32 v5, v6, v5, vcc
	v_mov_b32_e32 v6, 0x78
	v_cndmask_b32_e32 v6, v9, v6, vcc
	v_or_b32_e32 v10, 0x800000, v36
	v_add_u32_e32 v9, 20, v6
	v_cndmask_b32_e32 v36, v10, v36, vcc
	v_lshlrev_b64 v[10:11], v9, -1
	v_not_b32_e32 v9, v11
	v_and_b32_e32 v11, 0, v9
	v_add_u32_e32 v9, 19, v6
	v_lshrrev_b64 v[34:35], v6, v[36:37]
	v_not_b32_e32 v10, v10
	v_lshlrev_b64 v[22:23], v9, 1
	v_lshrrev_b32_e32 v9, 23, v34
	v_and_b32_e32 v10, v36, v10
	v_add3_u32 v9, v6, v5, v9
	v_bfe_u32 v5, v34, 20, 1
	v_add_u32_e32 v5, -1, v5
	v_cmp_eq_u64_e32 vcc, v[10:11], v[22:23]
	v_cndmask_b32_e32 v5, 0, v5, vcc
	v_add_u32_e32 v5, v5, v34
	v_and_b32_e32 v5, 0xfffff, v5
	v_add_co_u32_e32 v10, vcc, v5, v34
	v_add_u32_e32 v6, 6, v9
	v_addc_co_u32_e32 v11, vcc, 0, v35, vcc
	v_cmp_ne_u32_e32 vcc, 0, v6
                                        ; implicit-def: $vgpr5
	s_and_saveexec_b64 s[20:21], vcc
	s_xor_b64 s[20:21], exec, s[20:21]
; %bb.4164:                             ;   in Loop: Header=BB2_3948 Depth=2
	v_add_u32_e32 v5, 7, v9
	v_cmp_lt_u64_e32 vcc, s[44:45], v[10:11]
	v_cndmask_b32_e32 v5, v6, v5, vcc
	v_cndmask_b32_e64 v6, 0, 1, vcc
	v_lshrrev_b64 v[10:11], v6, v[10:11]
; %bb.4165:                             ;   in Loop: Header=BB2_3948 Depth=2
	s_andn2_saveexec_b64 s[20:21], s[20:21]
; %bb.4166:                             ;   in Loop: Header=BB2_3948 Depth=2
	v_bfe_u32 v5, v10, 23, 1
; %bb.4167:                             ;   in Loop: Header=BB2_3948 Depth=2
	s_or_b64 exec, exec, s[20:21]
	v_lshrrev_b64 v[10:11], 20, v[10:11]
	v_cmp_gt_i32_e32 vcc, 16, v5
	v_cndmask_b32_e32 v11, 0, v11, vcc
	v_cndmask_b32_e32 v10, 7, v10, vcc
	v_cmp_eq_u32_e32 vcc, 0, v5
	v_min_i32_e32 v5, 15, v5
	v_cmp_eq_u64_e64 s[20:21], 0, v[10:11]
	v_lshlrev_b32_e32 v5, 3, v5
	v_and_or_b32 v5, v10, 7, v5
	s_and_b64 s[20:21], vcc, s[20:21]
	v_cndmask_b32_e64 v5, v5, 0, s[20:21]
	v_or_b32_e32 v6, v5, v3
.LBB2_4168:                             ;   in Loop: Header=BB2_3948 Depth=2
	s_or_b64 exec, exec, s[60:61]
.LBB2_4169:                             ;   in Loop: Header=BB2_3948 Depth=2
	s_or_b64 exec, exec, s[58:59]
                                        ; implicit-def: $vgpr5
.LBB2_4170:                             ;   in Loop: Header=BB2_3948 Depth=2
	s_andn2_saveexec_b64 s[20:21], s[56:57]
; %bb.4171:                             ;   in Loop: Header=BB2_3948 Depth=2
	v_or_b32_sdwa v3, v5, s68 dst_sel:DWORD dst_unused:UNUSED_PAD src0_sel:BYTE_3 src1_sel:DWORD
	v_cmp_eq_u64_e32 vcc, 0, v[36:37]
	v_cndmask_b32_e32 v6, v3, v6, vcc
; %bb.4172:                             ;   in Loop: Header=BB2_3948 Depth=2
	s_or_b64 exec, exec, s[20:21]
	v_mov_b32_e32 v36, v13
	v_cmp_ne_u16_sdwa vcc, v13, v37 src0_sel:BYTE_0 src1_sel:DWORD
	v_mov_b32_e32 v3, 0
	s_and_saveexec_b64 s[20:21], vcc
	s_cbranch_execz .LBB2_4178
; %bb.4173:                             ;   in Loop: Header=BB2_3948 Depth=2
	v_cmp_ne_u16_sdwa vcc, v13, s69 src0_sel:BYTE_0 src1_sel:DWORD
	v_bfrev_b32_e32 v3, 1
	s_and_saveexec_b64 s[56:57], vcc
	s_cbranch_execz .LBB2_4177
; %bb.4174:                             ;   in Loop: Header=BB2_3948 Depth=2
	v_and_b32_e32 v5, 0x7f, v13
	v_cmp_ne_u32_e32 vcc, s68, v5
	v_mov_b32_e32 v3, 0x7f800001
	s_and_saveexec_b64 s[58:59], vcc
	s_cbranch_execz .LBB2_4176
; %bb.4175:                             ;   in Loop: Header=BB2_3948 Depth=2
	v_and_b32_e32 v3, 7, v13
	v_ffbh_u32_e32 v3, v3
	v_min_u32_e32 v3, 32, v3
	v_subrev_u32_e32 v10, 28, v3
	v_cmp_gt_u32_e32 vcc, 8, v5
	v_lshrrev_b32_e32 v9, 3, v5
	v_cndmask_b32_e32 v5, 0, v10, vcc
	v_sub_u32_e32 v3, 29, v3
	v_lshlrev_b64 v[10:11], v5, v[36:37]
	v_cndmask_b32_e32 v3, v9, v3, vcc
	v_lshlrev_b32_e32 v5, 20, v10
	v_lshlrev_b32_e32 v9, 24, v36
	v_bfrev_b32_e32 v10, 60
	v_and_b32_e32 v5, 0x700000, v5
	v_and_b32_e32 v9, 0x80000000, v9
	v_lshl_add_u32 v3, v3, 23, v10
	v_or3_b32 v3, v9, v3, v5
.LBB2_4176:                             ;   in Loop: Header=BB2_3948 Depth=2
	s_or_b64 exec, exec, s[58:59]
.LBB2_4177:                             ;   in Loop: Header=BB2_3948 Depth=2
	s_or_b64 exec, exec, s[56:57]
.LBB2_4178:                             ;   in Loop: Header=BB2_3948 Depth=2
	s_or_b64 exec, exec, s[20:21]
	v_mul_f32_e32 v9, v7, v3
	v_and_b32_sdwa v3, v9, s69 dst_sel:DWORD dst_unused:UNUSED_PAD src0_sel:BYTE_3 src1_sel:DWORD
	v_and_b32_e32 v22, 0x7f800000, v9
	v_mov_b32_e32 v23, v37
	v_and_b32_e32 v10, 0x7fffff, v9
	v_mov_b32_e32 v11, v37
	v_or_b32_e32 v5, 0x7e, v3
	v_cmp_ne_u64_e32 vcc, s[38:39], v[22:23]
	s_and_saveexec_b64 s[20:21], vcc
	s_xor_b64 s[56:57], exec, s[20:21]
	s_cbranch_execz .LBB2_4188
; %bb.4179:                             ;   in Loop: Header=BB2_3948 Depth=2
	v_and_b32_e32 v22, 0x7fffffff, v9
	v_mov_b32_e32 v23, v37
	v_cmp_gt_u64_e32 vcc, s[40:41], v[22:23]
	s_and_saveexec_b64 s[58:59], vcc
	s_cbranch_execz .LBB2_4187
; %bb.4180:                             ;   in Loop: Header=BB2_3948 Depth=2
	v_cmp_ne_u32_e32 vcc, 0, v9
	v_mov_b32_e32 v5, 0
	s_and_saveexec_b64 s[60:61], vcc
	s_cbranch_execz .LBB2_4186
; %bb.4181:                             ;   in Loop: Header=BB2_3948 Depth=2
	v_bfe_u32 v5, v9, 23, 8
	v_sub_u32_e32 v21, 0x79, v5
	v_cmp_gt_u32_e32 vcc, s71, v5
	v_add_u32_e32 v9, 0xffffff81, v5
	v_cndmask_b32_e32 v21, 0, v21, vcc
	v_cmp_eq_u32_e32 vcc, 0, v5
	v_mov_b32_e32 v5, 0xffffff82
	v_cndmask_b32_e32 v5, v9, v5, vcc
	v_mov_b32_e32 v9, 0x78
	v_cndmask_b32_e32 v9, v21, v9, vcc
	v_or_b32_e32 v22, 0x800000, v10
	v_add_u32_e32 v21, 20, v9
	v_cndmask_b32_e32 v10, v22, v10, vcc
	v_lshlrev_b64 v[22:23], v21, -1
	v_not_b32_e32 v21, v23
	v_not_b32_e32 v22, v22
	v_and_b32_e32 v23, 0, v21
	v_and_b32_e32 v22, v10, v22
	v_add_u32_e32 v21, 19, v9
	v_lshrrev_b64 v[10:11], v9, v[10:11]
	v_lshlrev_b64 v[34:35], v21, 1
	v_lshrrev_b32_e32 v21, 23, v10
	v_add3_u32 v21, v9, v5, v21
	v_bfe_u32 v5, v10, 20, 1
	v_add_u32_e32 v5, -1, v5
	v_cmp_eq_u64_e32 vcc, v[22:23], v[34:35]
	v_cndmask_b32_e32 v5, 0, v5, vcc
	v_add_u32_e32 v5, v5, v10
	v_and_b32_e32 v5, 0xfffff, v5
	v_add_co_u32_e32 v10, vcc, v5, v10
	v_add_u32_e32 v9, 6, v21
	v_addc_co_u32_e32 v11, vcc, 0, v11, vcc
	v_cmp_ne_u32_e32 vcc, 0, v9
                                        ; implicit-def: $vgpr5
	s_and_saveexec_b64 s[20:21], vcc
	s_xor_b64 s[20:21], exec, s[20:21]
; %bb.4182:                             ;   in Loop: Header=BB2_3948 Depth=2
	v_add_u32_e32 v5, 7, v21
	v_cmp_lt_u64_e32 vcc, s[44:45], v[10:11]
	v_cndmask_b32_e32 v5, v9, v5, vcc
	v_cndmask_b32_e64 v9, 0, 1, vcc
	v_lshrrev_b64 v[10:11], v9, v[10:11]
; %bb.4183:                             ;   in Loop: Header=BB2_3948 Depth=2
	s_andn2_saveexec_b64 s[20:21], s[20:21]
; %bb.4184:                             ;   in Loop: Header=BB2_3948 Depth=2
	v_bfe_u32 v5, v10, 23, 1
; %bb.4185:                             ;   in Loop: Header=BB2_3948 Depth=2
	s_or_b64 exec, exec, s[20:21]
	v_lshrrev_b64 v[10:11], 20, v[10:11]
	v_cmp_gt_i32_e32 vcc, 16, v5
	v_cndmask_b32_e32 v11, 0, v11, vcc
	v_cndmask_b32_e32 v10, 7, v10, vcc
	v_cmp_eq_u32_e32 vcc, 0, v5
	v_min_i32_e32 v5, 15, v5
	v_cmp_eq_u64_e64 s[20:21], 0, v[10:11]
	v_lshlrev_b32_e32 v5, 3, v5
	v_and_or_b32 v5, v10, 7, v5
	s_and_b64 s[20:21], vcc, s[20:21]
	v_cndmask_b32_e64 v5, v5, 0, s[20:21]
	v_or_b32_e32 v5, v5, v3
.LBB2_4186:                             ;   in Loop: Header=BB2_3948 Depth=2
	s_or_b64 exec, exec, s[60:61]
.LBB2_4187:                             ;   in Loop: Header=BB2_3948 Depth=2
	s_or_b64 exec, exec, s[58:59]
                                        ; implicit-def: $vgpr9
                                        ; implicit-def: $vgpr10_vgpr11
.LBB2_4188:                             ;   in Loop: Header=BB2_3948 Depth=2
	s_andn2_saveexec_b64 s[20:21], s[56:57]
; %bb.4189:                             ;   in Loop: Header=BB2_3948 Depth=2
	v_or_b32_sdwa v3, v9, s68 dst_sel:DWORD dst_unused:UNUSED_PAD src0_sel:BYTE_3 src1_sel:DWORD
	v_cmp_eq_u64_e32 vcc, 0, v[10:11]
	v_cndmask_b32_e32 v5, v3, v5, vcc
; %bb.4190:                             ;   in Loop: Header=BB2_3948 Depth=2
	s_or_b64 exec, exec, s[20:21]
	v_lshrrev_b16_e32 v10, 8, v36
	v_cmp_ne_u16_e32 vcc, 0, v10
	v_mov_b32_e32 v3, 0
	s_and_saveexec_b64 s[20:21], vcc
	s_cbranch_execz .LBB2_4196
; %bb.4191:                             ;   in Loop: Header=BB2_3948 Depth=2
	v_cmp_ne_u16_e32 vcc, s69, v10
	v_bfrev_b32_e32 v3, 1
	s_and_saveexec_b64 s[56:57], vcc
	s_cbranch_execz .LBB2_4195
; %bb.4192:                             ;   in Loop: Header=BB2_3948 Depth=2
	v_and_b32_e32 v9, 0x7f, v10
	v_cmp_ne_u32_e32 vcc, s68, v9
	v_mov_b32_e32 v3, 0x7f800001
	s_and_saveexec_b64 s[58:59], vcc
	s_cbranch_execz .LBB2_4194
; %bb.4193:                             ;   in Loop: Header=BB2_3948 Depth=2
	v_and_b32_e32 v3, 7, v10
	v_ffbh_u32_e32 v11, v3
	v_min_u32_e32 v22, 32, v11
	v_subrev_u32_e32 v11, 28, v22
	v_lshlrev_b64 v[10:11], v11, v[10:11]
	v_lshrrev_b32_e32 v21, 3, v9
	v_sub_u32_e32 v11, 29, v22
	v_and_b32_e32 v10, 7, v10
	v_cmp_gt_u32_e32 vcc, 8, v9
	v_cndmask_b32_e32 v9, v21, v11, vcc
	v_cndmask_b32_e32 v3, v3, v10, vcc
	v_lshlrev_b32_e32 v10, 16, v36
	v_bfrev_b32_e32 v11, 60
	v_lshlrev_b32_e32 v3, 20, v3
	v_and_b32_e32 v10, 0x80000000, v10
	v_lshl_add_u32 v9, v9, 23, v11
	v_or3_b32 v3, v10, v9, v3
.LBB2_4194:                             ;   in Loop: Header=BB2_3948 Depth=2
	s_or_b64 exec, exec, s[58:59]
.LBB2_4195:                             ;   in Loop: Header=BB2_3948 Depth=2
	s_or_b64 exec, exec, s[56:57]
.LBB2_4196:                             ;   in Loop: Header=BB2_3948 Depth=2
	s_or_b64 exec, exec, s[20:21]
	v_mul_f32_e32 v10, v7, v3
	v_and_b32_sdwa v3, v10, s69 dst_sel:DWORD dst_unused:UNUSED_PAD src0_sel:BYTE_3 src1_sel:DWORD
	v_and_b32_e32 v22, 0x7f800000, v10
	v_mov_b32_e32 v23, v37
	v_and_b32_e32 v36, 0x7fffff, v10
	v_or_b32_e32 v9, 0x7e, v3
	v_cmp_ne_u64_e32 vcc, s[38:39], v[22:23]
	s_and_saveexec_b64 s[20:21], vcc
	s_xor_b64 s[56:57], exec, s[20:21]
	s_cbranch_execz .LBB2_4206
; %bb.4197:                             ;   in Loop: Header=BB2_3948 Depth=2
	v_and_b32_e32 v22, 0x7fffffff, v10
	v_mov_b32_e32 v23, v37
	v_cmp_gt_u64_e32 vcc, s[40:41], v[22:23]
	s_and_saveexec_b64 s[58:59], vcc
	s_cbranch_execz .LBB2_4205
; %bb.4198:                             ;   in Loop: Header=BB2_3948 Depth=2
	v_cmp_ne_u32_e32 vcc, 0, v10
	v_mov_b32_e32 v9, 0
	s_and_saveexec_b64 s[60:61], vcc
	s_cbranch_execz .LBB2_4204
; %bb.4199:                             ;   in Loop: Header=BB2_3948 Depth=2
	v_bfe_u32 v9, v10, 23, 8
	v_sub_u32_e32 v11, 0x79, v9
	v_cmp_gt_u32_e32 vcc, s71, v9
	v_add_u32_e32 v10, 0xffffff81, v9
	v_cndmask_b32_e32 v11, 0, v11, vcc
	v_cmp_eq_u32_e32 vcc, 0, v9
	v_mov_b32_e32 v9, 0xffffff82
	v_cndmask_b32_e32 v9, v10, v9, vcc
	v_mov_b32_e32 v10, 0x78
	v_or_b32_e32 v21, 0x800000, v36
	v_cndmask_b32_e32 v24, v11, v10, vcc
	v_cndmask_b32_e32 v36, v21, v36, vcc
	v_add_u32_e32 v10, 20, v24
	v_lshlrev_b64 v[10:11], v10, -1
	v_add_u32_e32 v21, 19, v24
	v_lshrrev_b64 v[34:35], v24, v[36:37]
	v_not_b32_e32 v11, v11
	v_not_b32_e32 v10, v10
	v_lshlrev_b64 v[22:23], v21, 1
	v_lshrrev_b32_e32 v21, 23, v34
	v_and_b32_e32 v11, 0, v11
	v_and_b32_e32 v10, v36, v10
	v_add3_u32 v24, v24, v9, v21
	v_bfe_u32 v9, v34, 20, 1
	v_add_u32_e32 v9, -1, v9
	v_cmp_eq_u64_e32 vcc, v[10:11], v[22:23]
	v_cndmask_b32_e32 v9, 0, v9, vcc
	v_add_u32_e32 v9, v9, v34
	v_and_b32_e32 v9, 0xfffff, v9
	v_add_co_u32_e32 v10, vcc, v9, v34
	v_add_u32_e32 v21, 6, v24
	v_addc_co_u32_e32 v11, vcc, 0, v35, vcc
	v_cmp_ne_u32_e32 vcc, 0, v21
                                        ; implicit-def: $vgpr9
	s_and_saveexec_b64 s[20:21], vcc
	s_xor_b64 s[20:21], exec, s[20:21]
; %bb.4200:                             ;   in Loop: Header=BB2_3948 Depth=2
	v_add_u32_e32 v9, 7, v24
	v_cmp_lt_u64_e32 vcc, s[44:45], v[10:11]
	v_cndmask_b32_e32 v9, v21, v9, vcc
	v_cndmask_b32_e64 v21, 0, 1, vcc
	v_lshrrev_b64 v[10:11], v21, v[10:11]
; %bb.4201:                             ;   in Loop: Header=BB2_3948 Depth=2
	s_andn2_saveexec_b64 s[20:21], s[20:21]
; %bb.4202:                             ;   in Loop: Header=BB2_3948 Depth=2
	v_bfe_u32 v9, v10, 23, 1
; %bb.4203:                             ;   in Loop: Header=BB2_3948 Depth=2
	s_or_b64 exec, exec, s[20:21]
	v_lshrrev_b64 v[10:11], 20, v[10:11]
	v_cmp_gt_i32_e32 vcc, 16, v9
	v_cndmask_b32_e32 v11, 0, v11, vcc
	v_cndmask_b32_e32 v10, 7, v10, vcc
	v_cmp_eq_u32_e32 vcc, 0, v9
	v_min_i32_e32 v9, 15, v9
	v_lshlrev_b32_e32 v9, 3, v9
	v_cmp_eq_u64_e64 s[20:21], 0, v[10:11]
	v_and_b32_e32 v9, 0xf8, v9
	v_and_or_b32 v9, v10, 7, v9
	s_and_b64 s[20:21], vcc, s[20:21]
	v_cndmask_b32_e64 v9, v9, 0, s[20:21]
	v_or_b32_e32 v9, v9, v3
.LBB2_4204:                             ;   in Loop: Header=BB2_3948 Depth=2
	s_or_b64 exec, exec, s[60:61]
.LBB2_4205:                             ;   in Loop: Header=BB2_3948 Depth=2
	s_or_b64 exec, exec, s[58:59]
                                        ; implicit-def: $vgpr10
.LBB2_4206:                             ;   in Loop: Header=BB2_3948 Depth=2
	s_andn2_saveexec_b64 s[20:21], s[56:57]
; %bb.4207:                             ;   in Loop: Header=BB2_3948 Depth=2
	v_or_b32_sdwa v3, v10, s68 dst_sel:DWORD dst_unused:UNUSED_PAD src0_sel:BYTE_3 src1_sel:DWORD
	v_cmp_eq_u64_e32 vcc, 0, v[36:37]
	v_cndmask_b32_e32 v9, v3, v9, vcc
; %bb.4208:                             ;   in Loop: Header=BB2_3948 Depth=2
	s_or_b64 exec, exec, s[20:21]
	v_lshrrev_b32_e32 v10, 16, v13
	v_cmp_ne_u16_sdwa vcc, v10, v37 src0_sel:BYTE_0 src1_sel:DWORD
	v_mov_b32_e32 v3, 0
	s_and_saveexec_b64 s[20:21], vcc
	s_cbranch_execz .LBB2_4214
; %bb.4209:                             ;   in Loop: Header=BB2_3948 Depth=2
	v_cmp_ne_u16_sdwa vcc, v10, s69 src0_sel:BYTE_0 src1_sel:DWORD
	v_bfrev_b32_e32 v3, 1
	s_and_saveexec_b64 s[56:57], vcc
	s_cbranch_execz .LBB2_4213
; %bb.4210:                             ;   in Loop: Header=BB2_3948 Depth=2
	v_bfe_u32 v11, v13, 16, 7
	v_cmp_ne_u32_e32 vcc, s68, v11
	v_mov_b32_e32 v3, 0x7f800001
	s_and_saveexec_b64 s[58:59], vcc
	s_cbranch_execz .LBB2_4212
; %bb.4211:                             ;   in Loop: Header=BB2_3948 Depth=2
	v_and_b32_e32 v3, 7, v10
	v_ffbh_u32_e32 v22, v3
	v_min_u32_e32 v24, 32, v22
	v_subrev_u32_e32 v22, 28, v24
	v_lshlrev_b64 v[22:23], v22, v[10:11]
	v_lshrrev_b32_e32 v21, 3, v11
	v_sub_u32_e32 v23, 29, v24
	v_and_b32_e32 v22, 7, v22
	v_cmp_gt_u32_e32 vcc, 8, v11
	v_cndmask_b32_e32 v11, v21, v23, vcc
	v_cndmask_b32_e32 v3, v3, v22, vcc
	v_lshlrev_b32_e32 v10, 24, v10
	v_bfrev_b32_e32 v21, 60
	v_lshlrev_b32_e32 v3, 20, v3
	v_and_b32_e32 v10, 0x80000000, v10
	v_lshl_add_u32 v11, v11, 23, v21
	v_or3_b32 v3, v10, v11, v3
.LBB2_4212:                             ;   in Loop: Header=BB2_3948 Depth=2
	s_or_b64 exec, exec, s[58:59]
.LBB2_4213:                             ;   in Loop: Header=BB2_3948 Depth=2
	s_or_b64 exec, exec, s[56:57]
.LBB2_4214:                             ;   in Loop: Header=BB2_3948 Depth=2
	s_or_b64 exec, exec, s[20:21]
	v_mul_f32_e32 v10, v7, v3
	v_and_b32_sdwa v3, v10, s69 dst_sel:DWORD dst_unused:UNUSED_PAD src0_sel:BYTE_3 src1_sel:DWORD
	v_and_b32_e32 v22, 0x7f800000, v10
	v_mov_b32_e32 v23, v37
	v_and_b32_e32 v36, 0x7fffff, v10
	v_or_b32_e32 v21, 0x7e, v3
	v_cmp_ne_u64_e32 vcc, s[38:39], v[22:23]
	s_and_saveexec_b64 s[20:21], vcc
	s_xor_b64 s[56:57], exec, s[20:21]
	s_cbranch_execz .LBB2_4224
; %bb.4215:                             ;   in Loop: Header=BB2_3948 Depth=2
	v_and_b32_e32 v22, 0x7fffffff, v10
	v_mov_b32_e32 v23, v37
	v_cmp_gt_u64_e32 vcc, s[40:41], v[22:23]
	s_and_saveexec_b64 s[58:59], vcc
	s_cbranch_execz .LBB2_4223
; %bb.4216:                             ;   in Loop: Header=BB2_3948 Depth=2
	v_cmp_ne_u32_e32 vcc, 0, v10
	v_mov_b32_e32 v21, 0
	s_and_saveexec_b64 s[60:61], vcc
	s_cbranch_execz .LBB2_4222
; %bb.4217:                             ;   in Loop: Header=BB2_3948 Depth=2
	v_bfe_u32 v10, v10, 23, 8
	v_sub_u32_e32 v21, 0x79, v10
	v_cmp_gt_u32_e32 vcc, s71, v10
	v_add_u32_e32 v11, 0xffffff81, v10
	v_cndmask_b32_e32 v21, 0, v21, vcc
	v_cmp_eq_u32_e32 vcc, 0, v10
	v_mov_b32_e32 v10, 0xffffff82
	v_cndmask_b32_e32 v24, v11, v10, vcc
	v_mov_b32_e32 v10, 0x78
	v_or_b32_e32 v22, 0x800000, v36
	v_cndmask_b32_e32 v21, v21, v10, vcc
	v_cndmask_b32_e32 v36, v22, v36, vcc
	v_add_u32_e32 v10, 20, v21
	v_lshlrev_b64 v[10:11], v10, -1
	v_lshrrev_b64 v[34:35], v21, v[36:37]
	v_not_b32_e32 v11, v11
	v_not_b32_e32 v10, v10
	v_add_u32_e32 v22, 19, v21
	v_lshrrev_b32_e32 v30, 23, v34
	v_and_b32_e32 v11, 0, v11
	v_and_b32_e32 v10, v36, v10
	v_lshlrev_b64 v[22:23], v22, 1
	v_add3_u32 v30, v21, v24, v30
	v_bfe_u32 v21, v34, 20, 1
	v_add_u32_e32 v21, -1, v21
	v_cmp_eq_u64_e32 vcc, v[10:11], v[22:23]
	v_cndmask_b32_e32 v10, 0, v21, vcc
	v_add_u32_e32 v10, v10, v34
	v_and_b32_e32 v10, 0xfffff, v10
	v_add_co_u32_e32 v10, vcc, v10, v34
	v_add_u32_e32 v24, 6, v30
	v_addc_co_u32_e32 v11, vcc, 0, v35, vcc
	v_cmp_ne_u32_e32 vcc, 0, v24
                                        ; implicit-def: $vgpr21
	s_and_saveexec_b64 s[20:21], vcc
	s_xor_b64 s[20:21], exec, s[20:21]
; %bb.4218:                             ;   in Loop: Header=BB2_3948 Depth=2
	v_cmp_lt_u64_e32 vcc, s[44:45], v[10:11]
	v_add_u32_e32 v21, 7, v30
	v_cndmask_b32_e64 v22, 0, 1, vcc
	v_cndmask_b32_e32 v21, v24, v21, vcc
	v_lshrrev_b64 v[10:11], v22, v[10:11]
; %bb.4219:                             ;   in Loop: Header=BB2_3948 Depth=2
	s_andn2_saveexec_b64 s[20:21], s[20:21]
; %bb.4220:                             ;   in Loop: Header=BB2_3948 Depth=2
	v_bfe_u32 v21, v10, 23, 1
; %bb.4221:                             ;   in Loop: Header=BB2_3948 Depth=2
	s_or_b64 exec, exec, s[20:21]
	v_lshrrev_b64 v[10:11], 20, v[10:11]
	v_cmp_gt_i32_e32 vcc, 16, v21
	v_cndmask_b32_e32 v11, 0, v11, vcc
	v_cndmask_b32_e32 v10, 7, v10, vcc
	v_cmp_eq_u64_e64 s[20:21], 0, v[10:11]
	v_min_i32_e32 v11, 15, v21
	v_lshlrev_b32_e32 v11, 3, v11
	v_cmp_eq_u32_e32 vcc, 0, v21
	v_and_b32_e32 v11, 0xf8, v11
	v_and_or_b32 v10, v10, 7, v11
	s_and_b64 s[20:21], vcc, s[20:21]
	v_cndmask_b32_e64 v10, v10, 0, s[20:21]
	v_or_b32_e32 v21, v10, v3
.LBB2_4222:                             ;   in Loop: Header=BB2_3948 Depth=2
	s_or_b64 exec, exec, s[60:61]
.LBB2_4223:                             ;   in Loop: Header=BB2_3948 Depth=2
	s_or_b64 exec, exec, s[58:59]
                                        ; implicit-def: $vgpr10
.LBB2_4224:                             ;   in Loop: Header=BB2_3948 Depth=2
	s_andn2_saveexec_b64 s[20:21], s[56:57]
; %bb.4225:                             ;   in Loop: Header=BB2_3948 Depth=2
	v_or_b32_sdwa v3, v10, s68 dst_sel:DWORD dst_unused:UNUSED_PAD src0_sel:BYTE_3 src1_sel:DWORD
	v_cmp_eq_u64_e32 vcc, 0, v[36:37]
	v_cndmask_b32_e32 v21, v3, v21, vcc
; %bb.4226:                             ;   in Loop: Header=BB2_3948 Depth=2
	s_or_b64 exec, exec, s[20:21]
	v_cmp_lt_u64_e32 vcc, s[42:43], v[12:13]
	v_mov_b32_e32 v3, 0
	s_and_saveexec_b64 s[20:21], vcc
	s_cbranch_execz .LBB2_4232
; %bb.4227:                             ;   in Loop: Header=BB2_3948 Depth=2
	v_lshrrev_b32_e32 v10, 24, v13
	v_cmp_ne_u32_e32 vcc, s69, v10
	v_bfrev_b32_e32 v3, 1
	s_and_saveexec_b64 s[56:57], vcc
	s_cbranch_execz .LBB2_4231
; %bb.4228:                             ;   in Loop: Header=BB2_3948 Depth=2
	v_bfe_u32 v11, v13, 24, 7
	v_cmp_ne_u32_e32 vcc, s68, v11
	v_mov_b32_e32 v3, 0x7f800001
	s_and_saveexec_b64 s[58:59], vcc
	s_cbranch_execz .LBB2_4230
; %bb.4229:                             ;   in Loop: Header=BB2_3948 Depth=2
	v_and_b32_e32 v3, 7, v10
	v_ffbh_u32_e32 v12, v3
	v_min_u32_e32 v23, 32, v12
	v_subrev_u32_e32 v12, 28, v23
	v_lshlrev_b64 v[12:13], v12, v[10:11]
	v_lshrrev_b32_e32 v22, 3, v11
	v_sub_u32_e32 v13, 29, v23
	v_and_b32_e32 v12, 7, v12
	v_cmp_gt_u32_e32 vcc, 8, v11
	v_cndmask_b32_e32 v11, v22, v13, vcc
	v_cndmask_b32_e32 v3, v3, v12, vcc
	v_lshlrev_b32_e32 v10, 24, v10
	v_bfrev_b32_e32 v12, 60
	v_lshlrev_b32_e32 v3, 20, v3
	v_and_b32_e32 v10, 0x80000000, v10
	v_lshl_add_u32 v11, v11, 23, v12
	v_or3_b32 v3, v10, v11, v3
.LBB2_4230:                             ;   in Loop: Header=BB2_3948 Depth=2
	s_or_b64 exec, exec, s[58:59]
.LBB2_4231:                             ;   in Loop: Header=BB2_3948 Depth=2
	s_or_b64 exec, exec, s[56:57]
.LBB2_4232:                             ;   in Loop: Header=BB2_3948 Depth=2
	s_or_b64 exec, exec, s[20:21]
	v_mul_f32_e32 v7, v7, v3
	v_and_b32_sdwa v3, v7, s69 dst_sel:DWORD dst_unused:UNUSED_PAD src0_sel:BYTE_3 src1_sel:DWORD
	v_and_b32_e32 v10, 0x7f800000, v7
	v_mov_b32_e32 v11, v37
	v_and_b32_e32 v36, 0x7fffff, v7
	v_or_b32_e32 v30, 0x7e, v3
	v_cmp_ne_u64_e32 vcc, s[38:39], v[10:11]
	s_and_saveexec_b64 s[20:21], vcc
	s_xor_b64 s[56:57], exec, s[20:21]
	s_cbranch_execz .LBB2_4242
; %bb.4233:                             ;   in Loop: Header=BB2_3948 Depth=2
	v_and_b32_e32 v10, 0x7fffffff, v7
	v_mov_b32_e32 v11, v37
	v_cmp_gt_u64_e32 vcc, s[40:41], v[10:11]
	s_and_saveexec_b64 s[58:59], vcc
	s_cbranch_execz .LBB2_4241
; %bb.4234:                             ;   in Loop: Header=BB2_3948 Depth=2
	v_cmp_ne_u32_e32 vcc, 0, v7
	v_mov_b32_e32 v30, 0
	s_and_saveexec_b64 s[60:61], vcc
	s_cbranch_execz .LBB2_4240
; %bb.4235:                             ;   in Loop: Header=BB2_3948 Depth=2
	v_bfe_u32 v7, v7, 23, 8
	v_sub_u32_e32 v11, 0x79, v7
	v_cmp_gt_u32_e32 vcc, s71, v7
	v_add_u32_e32 v10, 0xffffff81, v7
	v_cndmask_b32_e32 v11, 0, v11, vcc
	v_cmp_eq_u32_e32 vcc, 0, v7
	v_mov_b32_e32 v7, 0xffffff82
	v_cndmask_b32_e32 v7, v10, v7, vcc
	v_mov_b32_e32 v10, 0x78
	v_or_b32_e32 v12, 0x800000, v36
	v_cndmask_b32_e32 v13, v11, v10, vcc
	v_cndmask_b32_e32 v36, v12, v36, vcc
	v_add_u32_e32 v10, 20, v13
	v_lshlrev_b64 v[10:11], v10, -1
	v_add_u32_e32 v12, 19, v13
	v_lshrrev_b64 v[34:35], v13, v[36:37]
	v_not_b32_e32 v11, v11
	v_not_b32_e32 v10, v10
	v_lshlrev_b64 v[22:23], v12, 1
	v_lshrrev_b32_e32 v12, 23, v34
	v_and_b32_e32 v11, 0, v11
	v_and_b32_e32 v10, v36, v10
	v_add3_u32 v13, v13, v7, v12
	v_bfe_u32 v7, v34, 20, 1
	v_add_u32_e32 v7, -1, v7
	v_cmp_eq_u64_e32 vcc, v[10:11], v[22:23]
	v_cndmask_b32_e32 v7, 0, v7, vcc
	v_add_u32_e32 v7, v7, v34
	v_and_b32_e32 v7, 0xfffff, v7
	v_add_co_u32_e32 v10, vcc, v7, v34
	v_add_u32_e32 v12, 6, v13
	v_addc_co_u32_e32 v11, vcc, 0, v35, vcc
	v_cmp_ne_u32_e32 vcc, 0, v12
                                        ; implicit-def: $vgpr7
	s_and_saveexec_b64 s[20:21], vcc
	s_xor_b64 s[20:21], exec, s[20:21]
; %bb.4236:                             ;   in Loop: Header=BB2_3948 Depth=2
	v_add_u32_e32 v7, 7, v13
	v_cmp_lt_u64_e32 vcc, s[44:45], v[10:11]
	v_cndmask_b32_e32 v7, v12, v7, vcc
	v_cndmask_b32_e64 v12, 0, 1, vcc
	v_lshrrev_b64 v[10:11], v12, v[10:11]
; %bb.4237:                             ;   in Loop: Header=BB2_3948 Depth=2
	s_andn2_saveexec_b64 s[20:21], s[20:21]
; %bb.4238:                             ;   in Loop: Header=BB2_3948 Depth=2
	v_bfe_u32 v7, v10, 23, 1
; %bb.4239:                             ;   in Loop: Header=BB2_3948 Depth=2
	s_or_b64 exec, exec, s[20:21]
	v_lshrrev_b64 v[10:11], 20, v[10:11]
	v_cmp_gt_i32_e32 vcc, 16, v7
	v_cndmask_b32_e32 v11, 0, v11, vcc
	v_cndmask_b32_e32 v10, 7, v10, vcc
	v_cmp_eq_u32_e32 vcc, 0, v7
	v_min_i32_e32 v7, 15, v7
	v_lshlrev_b32_e32 v7, 3, v7
	v_cmp_eq_u64_e64 s[20:21], 0, v[10:11]
	v_and_b32_e32 v7, 0xf8, v7
	v_and_or_b32 v7, v10, 7, v7
	s_and_b64 s[20:21], vcc, s[20:21]
	v_cndmask_b32_e64 v7, v7, 0, s[20:21]
	v_or_b32_e32 v30, v7, v3
.LBB2_4240:                             ;   in Loop: Header=BB2_3948 Depth=2
	s_or_b64 exec, exec, s[60:61]
.LBB2_4241:                             ;   in Loop: Header=BB2_3948 Depth=2
	s_or_b64 exec, exec, s[58:59]
                                        ; implicit-def: $vgpr7
.LBB2_4242:                             ;   in Loop: Header=BB2_3948 Depth=2
	s_andn2_saveexec_b64 s[20:21], s[56:57]
; %bb.4243:                             ;   in Loop: Header=BB2_3948 Depth=2
	v_or_b32_sdwa v3, v7, s68 dst_sel:DWORD dst_unused:UNUSED_PAD src0_sel:BYTE_3 src1_sel:DWORD
	v_cmp_eq_u64_e32 vcc, 0, v[36:37]
	v_cndmask_b32_e32 v30, v3, v30, vcc
; %bb.4244:                             ;   in Loop: Header=BB2_3948 Depth=2
	s_or_b64 exec, exec, s[20:21]
	global_load_dwordx4 v[10:13], v[54:55], off glc slc
	v_lshlrev_b32_e32 v3, 8, v18
	v_cmp_ne_u16_sdwa vcc, v4, v37 src0_sel:BYTE_0 src1_sel:DWORD
	v_mov_b32_e32 v7, 0
	v_mov_b32_e32 v18, 0
	s_and_saveexec_b64 s[20:21], vcc
	s_cbranch_execz .LBB2_4250
; %bb.4245:                             ;   in Loop: Header=BB2_3948 Depth=2
	v_cmp_ne_u16_sdwa vcc, v4, s69 src0_sel:BYTE_0 src1_sel:DWORD
	v_bfrev_b32_e32 v18, 1
	s_and_saveexec_b64 s[56:57], vcc
	s_cbranch_execz .LBB2_4249
; %bb.4246:                             ;   in Loop: Header=BB2_3948 Depth=2
	v_and_b32_e32 v24, 0x7f, v4
	v_cmp_ne_u32_e32 vcc, s68, v24
	v_mov_b32_e32 v18, 0x7f800001
	s_and_saveexec_b64 s[58:59], vcc
	s_cbranch_execz .LBB2_4248
; %bb.4247:                             ;   in Loop: Header=BB2_3948 Depth=2
	v_and_b32_e32 v22, 7, v4
	v_ffbh_u32_e32 v22, v22
	v_min_u32_e32 v22, 32, v22
	v_lshrrev_b32_e32 v23, 3, v24
	v_subrev_u32_e32 v34, 28, v22
	v_sub_u32_e32 v22, 29, v22
	v_cmp_gt_u32_e32 vcc, 8, v24
	v_perm_b32 v18, v3, v4, s72
	v_cndmask_b32_e32 v24, v23, v22, vcc
	v_cndmask_b32_e32 v22, 0, v34, vcc
	v_lshlrev_b64 v[22:23], v22, v[18:19]
	v_lshlrev_b32_e32 v18, 20, v22
	v_lshlrev_b32_e32 v4, 24, v4
	v_bfrev_b32_e32 v22, 60
	v_and_b32_e32 v18, 0x700000, v18
	v_and_b32_e32 v4, 0x80000000, v4
	v_lshl_add_u32 v22, v24, 23, v22
	v_or3_b32 v18, v4, v22, v18
.LBB2_4248:                             ;   in Loop: Header=BB2_3948 Depth=2
	s_or_b64 exec, exec, s[58:59]
.LBB2_4249:                             ;   in Loop: Header=BB2_3948 Depth=2
	s_or_b64 exec, exec, s[56:57]
.LBB2_4250:                             ;   in Loop: Header=BB2_3948 Depth=2
	s_or_b64 exec, exec, s[20:21]
	s_waitcnt vmcnt(0)
	v_cmp_ne_u16_sdwa vcc, v10, v37 src0_sel:BYTE_0 src1_sel:DWORD
	s_and_saveexec_b64 s[20:21], vcc
	s_cbranch_execz .LBB2_4256
; %bb.4251:                             ;   in Loop: Header=BB2_3948 Depth=2
	v_cmp_ne_u16_sdwa vcc, v10, s69 src0_sel:BYTE_0 src1_sel:DWORD
	v_bfrev_b32_e32 v7, 1
	s_and_saveexec_b64 s[56:57], vcc
	s_cbranch_execz .LBB2_4255
; %bb.4252:                             ;   in Loop: Header=BB2_3948 Depth=2
	v_and_b32_e32 v4, 0x7f, v10
	v_cmp_ne_u32_e32 vcc, s68, v4
	v_mov_b32_e32 v7, 0x7f800001
	s_and_saveexec_b64 s[58:59], vcc
	s_cbranch_execz .LBB2_4254
; %bb.4253:                             ;   in Loop: Header=BB2_3948 Depth=2
	v_and_b32_e32 v7, 7, v10
	v_ffbh_u32_e32 v7, v7
	v_min_u32_e32 v7, 32, v7
	v_lshrrev_b32_e32 v22, 3, v4
	v_subrev_u32_e32 v23, 28, v7
	v_sub_u32_e32 v7, 29, v7
	v_cmp_gt_u32_e32 vcc, 8, v4
	v_cndmask_b32_e32 v4, v22, v7, vcc
	v_cndmask_b32_e32 v7, 0, v23, vcc
	v_lshlrev_b64 v[22:23], v7, v[10:11]
	v_lshlrev_b32_e32 v7, 20, v22
	v_lshlrev_b32_e32 v22, 24, v10
	v_bfrev_b32_e32 v23, 60
	v_and_b32_e32 v7, 0x700000, v7
	v_and_b32_e32 v22, 0x80000000, v22
	v_lshl_add_u32 v4, v4, 23, v23
	v_or3_b32 v7, v22, v4, v7
.LBB2_4254:                             ;   in Loop: Header=BB2_3948 Depth=2
	s_or_b64 exec, exec, s[58:59]
.LBB2_4255:                             ;   in Loop: Header=BB2_3948 Depth=2
	s_or_b64 exec, exec, s[56:57]
.LBB2_4256:                             ;   in Loop: Header=BB2_3948 Depth=2
	s_or_b64 exec, exec, s[20:21]
	v_add_f32_e32 v18, v18, v7
	v_and_b32_sdwa v7, v18, s69 dst_sel:DWORD dst_unused:UNUSED_PAD src0_sel:BYTE_3 src1_sel:DWORD
	v_and_b32_e32 v22, 0x7f800000, v18
	v_mov_b32_e32 v23, v37
	v_and_b32_e32 v36, 0x7fffff, v18
	v_or_b32_e32 v4, 0x7e, v7
	v_cmp_ne_u64_e32 vcc, s[38:39], v[22:23]
	s_and_saveexec_b64 s[20:21], vcc
	s_xor_b64 s[56:57], exec, s[20:21]
	s_cbranch_execz .LBB2_4266
; %bb.4257:                             ;   in Loop: Header=BB2_3948 Depth=2
	v_and_b32_e32 v22, 0x7fffffff, v18
	v_mov_b32_e32 v23, v37
	v_cmp_gt_u64_e32 vcc, s[40:41], v[22:23]
	s_and_saveexec_b64 s[58:59], vcc
	s_cbranch_execz .LBB2_4265
; %bb.4258:                             ;   in Loop: Header=BB2_3948 Depth=2
	v_cmp_ne_u32_e32 vcc, 0, v18
	v_mov_b32_e32 v4, 0
	s_and_saveexec_b64 s[60:61], vcc
	s_cbranch_execz .LBB2_4264
; %bb.4259:                             ;   in Loop: Header=BB2_3948 Depth=2
	v_bfe_u32 v4, v18, 23, 8
	v_sub_u32_e32 v22, 0x79, v4
	v_cmp_gt_u32_e32 vcc, s71, v4
	v_add_u32_e32 v18, 0xffffff81, v4
	v_cndmask_b32_e32 v22, 0, v22, vcc
	v_cmp_eq_u32_e32 vcc, 0, v4
	v_mov_b32_e32 v4, 0xffffff82
	v_cndmask_b32_e32 v4, v18, v4, vcc
	v_mov_b32_e32 v18, 0x78
	v_or_b32_e32 v23, 0x800000, v36
	v_cndmask_b32_e32 v18, v22, v18, vcc
	v_cndmask_b32_e32 v36, v23, v36, vcc
	v_add_u32_e32 v22, 20, v18
	v_lshlrev_b64 v[22:23], v22, -1
	v_add_u32_e32 v24, 19, v18
	v_lshrrev_b64 v[38:39], v18, v[36:37]
	v_not_b32_e32 v23, v23
	v_not_b32_e32 v22, v22
	v_lshlrev_b64 v[34:35], v24, 1
	v_lshrrev_b32_e32 v24, 23, v38
	v_and_b32_e32 v23, 0, v23
	v_and_b32_e32 v22, v36, v22
	v_add3_u32 v24, v18, v4, v24
	v_bfe_u32 v4, v38, 20, 1
	v_add_u32_e32 v4, -1, v4
	v_cmp_eq_u64_e32 vcc, v[22:23], v[34:35]
	v_cndmask_b32_e32 v4, 0, v4, vcc
	v_add_u32_e32 v4, v4, v38
	v_and_b32_e32 v4, 0xfffff, v4
	v_add_co_u32_e32 v44, vcc, v4, v38
	v_add_u32_e32 v18, 6, v24
	v_addc_co_u32_e32 v45, vcc, 0, v39, vcc
	v_cmp_ne_u32_e32 vcc, 0, v18
                                        ; implicit-def: $vgpr4
	s_and_saveexec_b64 s[20:21], vcc
	s_xor_b64 s[20:21], exec, s[20:21]
; %bb.4260:                             ;   in Loop: Header=BB2_3948 Depth=2
	v_add_u32_e32 v4, 7, v24
	v_cmp_lt_u64_e32 vcc, s[44:45], v[44:45]
	v_cndmask_b32_e32 v4, v18, v4, vcc
	v_cndmask_b32_e64 v18, 0, 1, vcc
	v_lshrrev_b64 v[44:45], v18, v[44:45]
; %bb.4261:                             ;   in Loop: Header=BB2_3948 Depth=2
	s_andn2_saveexec_b64 s[20:21], s[20:21]
; %bb.4262:                             ;   in Loop: Header=BB2_3948 Depth=2
	v_bfe_u32 v4, v44, 23, 1
; %bb.4263:                             ;   in Loop: Header=BB2_3948 Depth=2
	s_or_b64 exec, exec, s[20:21]
	v_lshrrev_b64 v[22:23], 20, v[44:45]
	v_cmp_gt_i32_e32 vcc, 16, v4
	v_cndmask_b32_e32 v23, 0, v23, vcc
	v_cndmask_b32_e32 v22, 7, v22, vcc
	v_cmp_eq_u32_e32 vcc, 0, v4
	v_min_i32_e32 v4, 15, v4
	v_cmp_eq_u64_e64 s[20:21], 0, v[22:23]
	v_lshlrev_b32_e32 v4, 3, v4
	v_and_or_b32 v4, v22, 7, v4
	s_and_b64 s[20:21], vcc, s[20:21]
	v_cndmask_b32_e64 v4, v4, 0, s[20:21]
	v_or_b32_e32 v4, v4, v7
.LBB2_4264:                             ;   in Loop: Header=BB2_3948 Depth=2
	s_or_b64 exec, exec, s[60:61]
.LBB2_4265:                             ;   in Loop: Header=BB2_3948 Depth=2
	s_or_b64 exec, exec, s[58:59]
                                        ; implicit-def: $vgpr18
.LBB2_4266:                             ;   in Loop: Header=BB2_3948 Depth=2
	s_andn2_saveexec_b64 s[20:21], s[56:57]
; %bb.4267:                             ;   in Loop: Header=BB2_3948 Depth=2
	v_or_b32_sdwa v7, v18, s68 dst_sel:DWORD dst_unused:UNUSED_PAD src0_sel:BYTE_3 src1_sel:DWORD
	v_cmp_eq_u64_e32 vcc, 0, v[36:37]
	v_cndmask_b32_e32 v4, v7, v4, vcc
; %bb.4268:                             ;   in Loop: Header=BB2_3948 Depth=2
	s_or_b64 exec, exec, s[20:21]
	v_lshrrev_b16_e32 v24, 8, v3
	v_cmp_ne_u16_e32 vcc, 0, v24
	v_mov_b32_e32 v7, 0
	v_mov_b32_e32 v18, 0
	s_and_saveexec_b64 s[20:21], vcc
	s_cbranch_execz .LBB2_4274
; %bb.4269:                             ;   in Loop: Header=BB2_3948 Depth=2
	v_cmp_ne_u16_e32 vcc, s69, v24
	v_bfrev_b32_e32 v18, 1
	s_and_saveexec_b64 s[56:57], vcc
	s_cbranch_execz .LBB2_4273
; %bb.4270:                             ;   in Loop: Header=BB2_3948 Depth=2
	v_and_b32_e32 v34, 0x7f, v24
	v_cmp_ne_u32_e32 vcc, s68, v34
	v_mov_b32_e32 v18, 0x7f800001
	s_and_saveexec_b64 s[58:59], vcc
	s_cbranch_execz .LBB2_4272
; %bb.4271:                             ;   in Loop: Header=BB2_3948 Depth=2
	v_and_b32_e32 v18, 7, v24
	v_ffbh_u32_e32 v22, v18
	v_min_u32_e32 v36, 32, v22
	v_subrev_u32_e32 v22, 28, v36
	v_lshlrev_b64 v[22:23], v22, v[24:25]
	v_lshrrev_b32_e32 v35, 3, v34
	v_sub_u32_e32 v23, 29, v36
	v_and_b32_e32 v22, 7, v22
	v_cmp_gt_u32_e32 vcc, 8, v34
	v_cndmask_b32_e32 v23, v35, v23, vcc
	v_cndmask_b32_e32 v18, v18, v22, vcc
	v_lshlrev_b32_e32 v3, 16, v3
	v_bfrev_b32_e32 v22, 60
	v_lshlrev_b32_e32 v18, 20, v18
	v_and_b32_e32 v3, 0x80000000, v3
	v_lshl_add_u32 v22, v23, 23, v22
	v_or3_b32 v18, v3, v22, v18
.LBB2_4272:                             ;   in Loop: Header=BB2_3948 Depth=2
	s_or_b64 exec, exec, s[58:59]
.LBB2_4273:                             ;   in Loop: Header=BB2_3948 Depth=2
	s_or_b64 exec, exec, s[56:57]
.LBB2_4274:                             ;   in Loop: Header=BB2_3948 Depth=2
	s_or_b64 exec, exec, s[20:21]
	v_lshrrev_b16_e32 v24, 8, v10
	v_cmp_ne_u16_e32 vcc, 0, v24
	s_and_saveexec_b64 s[20:21], vcc
	s_cbranch_execz .LBB2_4280
; %bb.4275:                             ;   in Loop: Header=BB2_3948 Depth=2
	v_cmp_ne_u16_e32 vcc, s69, v24
	v_bfrev_b32_e32 v7, 1
	s_and_saveexec_b64 s[56:57], vcc
	s_cbranch_execz .LBB2_4279
; %bb.4276:                             ;   in Loop: Header=BB2_3948 Depth=2
	v_and_b32_e32 v3, 0x7f, v24
	v_cmp_ne_u32_e32 vcc, s68, v3
	v_mov_b32_e32 v7, 0x7f800001
	s_and_saveexec_b64 s[58:59], vcc
	s_cbranch_execz .LBB2_4278
; %bb.4277:                             ;   in Loop: Header=BB2_3948 Depth=2
	v_and_b32_e32 v7, 7, v24
	v_ffbh_u32_e32 v22, v7
	v_min_u32_e32 v35, 32, v22
	v_subrev_u32_e32 v22, 28, v35
	v_lshlrev_b64 v[22:23], v22, v[24:25]
	v_lshrrev_b32_e32 v34, 3, v3
	v_sub_u32_e32 v23, 29, v35
	v_and_b32_e32 v22, 7, v22
	v_cmp_gt_u32_e32 vcc, 8, v3
	v_cndmask_b32_e32 v3, v34, v23, vcc
	v_cndmask_b32_e32 v7, v7, v22, vcc
	v_lshlrev_b32_e32 v22, 16, v10
	v_bfrev_b32_e32 v23, 60
	v_lshlrev_b32_e32 v7, 20, v7
	v_and_b32_e32 v22, 0x80000000, v22
	v_lshl_add_u32 v3, v3, 23, v23
	v_or3_b32 v7, v22, v3, v7
.LBB2_4278:                             ;   in Loop: Header=BB2_3948 Depth=2
	s_or_b64 exec, exec, s[58:59]
.LBB2_4279:                             ;   in Loop: Header=BB2_3948 Depth=2
	s_or_b64 exec, exec, s[56:57]
.LBB2_4280:                             ;   in Loop: Header=BB2_3948 Depth=2
	s_or_b64 exec, exec, s[20:21]
	v_add_f32_e32 v18, v18, v7
	v_and_b32_sdwa v3, v18, s69 dst_sel:DWORD dst_unused:UNUSED_PAD src0_sel:BYTE_3 src1_sel:DWORD
	v_and_b32_e32 v22, 0x7f800000, v18
	v_mov_b32_e32 v23, v37
	v_and_b32_e32 v36, 0x7fffff, v18
	v_or_b32_e32 v7, 0x7e, v3
	v_cmp_ne_u64_e32 vcc, s[38:39], v[22:23]
	s_and_saveexec_b64 s[20:21], vcc
	s_xor_b64 s[56:57], exec, s[20:21]
	s_cbranch_execz .LBB2_4290
; %bb.4281:                             ;   in Loop: Header=BB2_3948 Depth=2
	v_and_b32_e32 v22, 0x7fffffff, v18
	v_mov_b32_e32 v23, v37
	v_cmp_gt_u64_e32 vcc, s[40:41], v[22:23]
	s_and_saveexec_b64 s[58:59], vcc
	s_cbranch_execz .LBB2_4289
; %bb.4282:                             ;   in Loop: Header=BB2_3948 Depth=2
	v_cmp_ne_u32_e32 vcc, 0, v18
	v_mov_b32_e32 v7, 0
	s_and_saveexec_b64 s[60:61], vcc
	s_cbranch_execz .LBB2_4288
; %bb.4283:                             ;   in Loop: Header=BB2_3948 Depth=2
	v_bfe_u32 v7, v18, 23, 8
	v_sub_u32_e32 v22, 0x79, v7
	v_cmp_gt_u32_e32 vcc, s71, v7
	v_add_u32_e32 v18, 0xffffff81, v7
	v_cndmask_b32_e32 v22, 0, v22, vcc
	v_cmp_eq_u32_e32 vcc, 0, v7
	v_mov_b32_e32 v7, 0xffffff82
	v_cndmask_b32_e32 v7, v18, v7, vcc
	v_mov_b32_e32 v18, 0x78
	v_or_b32_e32 v23, 0x800000, v36
	v_cndmask_b32_e32 v18, v22, v18, vcc
	v_cndmask_b32_e32 v36, v23, v36, vcc
	v_add_u32_e32 v22, 20, v18
	v_lshlrev_b64 v[22:23], v22, -1
	v_add_u32_e32 v24, 19, v18
	v_lshrrev_b64 v[38:39], v18, v[36:37]
	v_not_b32_e32 v23, v23
	v_not_b32_e32 v22, v22
	v_lshlrev_b64 v[34:35], v24, 1
	v_lshrrev_b32_e32 v24, 23, v38
	v_and_b32_e32 v23, 0, v23
	v_and_b32_e32 v22, v36, v22
	v_add3_u32 v24, v18, v7, v24
	v_bfe_u32 v7, v38, 20, 1
	v_add_u32_e32 v7, -1, v7
	v_cmp_eq_u64_e32 vcc, v[22:23], v[34:35]
	v_cndmask_b32_e32 v7, 0, v7, vcc
	v_add_u32_e32 v7, v7, v38
	v_and_b32_e32 v7, 0xfffff, v7
	v_add_co_u32_e32 v44, vcc, v7, v38
	v_add_u32_e32 v18, 6, v24
	v_addc_co_u32_e32 v45, vcc, 0, v39, vcc
	v_cmp_ne_u32_e32 vcc, 0, v18
                                        ; implicit-def: $vgpr7
	s_and_saveexec_b64 s[20:21], vcc
	s_xor_b64 s[20:21], exec, s[20:21]
; %bb.4284:                             ;   in Loop: Header=BB2_3948 Depth=2
	v_add_u32_e32 v7, 7, v24
	v_cmp_lt_u64_e32 vcc, s[44:45], v[44:45]
	v_cndmask_b32_e32 v7, v18, v7, vcc
	v_cndmask_b32_e64 v18, 0, 1, vcc
	v_lshrrev_b64 v[44:45], v18, v[44:45]
; %bb.4285:                             ;   in Loop: Header=BB2_3948 Depth=2
	s_andn2_saveexec_b64 s[20:21], s[20:21]
; %bb.4286:                             ;   in Loop: Header=BB2_3948 Depth=2
	v_bfe_u32 v7, v44, 23, 1
; %bb.4287:                             ;   in Loop: Header=BB2_3948 Depth=2
	s_or_b64 exec, exec, s[20:21]
	v_lshrrev_b64 v[22:23], 20, v[44:45]
	v_cmp_gt_i32_e32 vcc, 16, v7
	v_cndmask_b32_e32 v23, 0, v23, vcc
	v_cndmask_b32_e32 v22, 7, v22, vcc
	v_cmp_eq_u32_e32 vcc, 0, v7
	v_min_i32_e32 v7, 15, v7
	v_cmp_eq_u64_e64 s[20:21], 0, v[22:23]
	v_lshlrev_b32_e32 v7, 3, v7
	v_and_or_b32 v7, v22, 7, v7
	s_and_b64 s[20:21], vcc, s[20:21]
	v_cndmask_b32_e64 v7, v7, 0, s[20:21]
	v_or_b32_e32 v7, v7, v3
.LBB2_4288:                             ;   in Loop: Header=BB2_3948 Depth=2
	s_or_b64 exec, exec, s[60:61]
.LBB2_4289:                             ;   in Loop: Header=BB2_3948 Depth=2
	s_or_b64 exec, exec, s[58:59]
                                        ; implicit-def: $vgpr18
.LBB2_4290:                             ;   in Loop: Header=BB2_3948 Depth=2
	s_andn2_saveexec_b64 s[20:21], s[56:57]
; %bb.4291:                             ;   in Loop: Header=BB2_3948 Depth=2
	v_or_b32_sdwa v3, v18, s68 dst_sel:DWORD dst_unused:UNUSED_PAD src0_sel:BYTE_3 src1_sel:DWORD
	v_cmp_eq_u64_e32 vcc, 0, v[36:37]
	v_cndmask_b32_e32 v7, v3, v7, vcc
; %bb.4292:                             ;   in Loop: Header=BB2_3948 Depth=2
	s_or_b64 exec, exec, s[20:21]
	v_cmp_ne_u16_sdwa vcc, v42, v37 src0_sel:BYTE_0 src1_sel:DWORD
	v_mov_b32_e32 v3, 0
	v_mov_b32_e32 v18, 0
	s_and_saveexec_b64 s[20:21], vcc
	s_cbranch_execz .LBB2_4298
; %bb.4293:                             ;   in Loop: Header=BB2_3948 Depth=2
	v_cmp_ne_u16_sdwa vcc, v42, s69 src0_sel:BYTE_0 src1_sel:DWORD
	v_bfrev_b32_e32 v18, 1
	s_and_saveexec_b64 s[56:57], vcc
	s_cbranch_execz .LBB2_4297
; %bb.4294:                             ;   in Loop: Header=BB2_3948 Depth=2
	v_and_b32_e32 v24, 0x7f, v42
	v_cmp_ne_u32_e32 vcc, s68, v24
	v_mov_b32_e32 v18, 0x7f800001
	s_and_saveexec_b64 s[58:59], vcc
	s_cbranch_execz .LBB2_4296
; %bb.4295:                             ;   in Loop: Header=BB2_3948 Depth=2
	v_and_b32_e32 v18, 7, v42
	v_ffbh_u32_e32 v22, v18
	v_min_u32_e32 v35, 32, v22
	v_subrev_u32_e32 v22, 28, v35
	v_lshlrev_b64 v[22:23], v22, v[42:43]
	v_lshrrev_b32_e32 v34, 3, v24
	v_sub_u32_e32 v23, 29, v35
	v_and_b32_e32 v22, 7, v22
	v_cmp_gt_u32_e32 vcc, 8, v24
	v_cndmask_b32_e32 v23, v34, v23, vcc
	v_cndmask_b32_e32 v18, v18, v22, vcc
	v_lshlrev_b32_e32 v22, 24, v42
	v_bfrev_b32_e32 v24, 60
	v_lshlrev_b32_e32 v18, 20, v18
	v_and_b32_e32 v22, 0x80000000, v22
	v_lshl_add_u32 v23, v23, 23, v24
	v_or3_b32 v18, v22, v23, v18
.LBB2_4296:                             ;   in Loop: Header=BB2_3948 Depth=2
	s_or_b64 exec, exec, s[58:59]
.LBB2_4297:                             ;   in Loop: Header=BB2_3948 Depth=2
	s_or_b64 exec, exec, s[56:57]
.LBB2_4298:                             ;   in Loop: Header=BB2_3948 Depth=2
	s_or_b64 exec, exec, s[20:21]
	v_lshrrev_b32_e32 v24, 16, v10
	v_cmp_ne_u16_sdwa vcc, v24, v37 src0_sel:BYTE_0 src1_sel:DWORD
	s_and_saveexec_b64 s[20:21], vcc
	s_cbranch_execz .LBB2_4304
; %bb.4299:                             ;   in Loop: Header=BB2_3948 Depth=2
	v_cmp_ne_u16_sdwa vcc, v24, s69 src0_sel:BYTE_0 src1_sel:DWORD
	v_bfrev_b32_e32 v3, 1
	s_and_saveexec_b64 s[56:57], vcc
	s_cbranch_execz .LBB2_4303
; %bb.4300:                             ;   in Loop: Header=BB2_3948 Depth=2
	v_bfe_u32 v34, v10, 16, 7
	v_cmp_ne_u32_e32 vcc, s68, v34
	v_mov_b32_e32 v3, 0x7f800001
	s_and_saveexec_b64 s[58:59], vcc
	s_cbranch_execz .LBB2_4302
; %bb.4301:                             ;   in Loop: Header=BB2_3948 Depth=2
	v_and_b32_e32 v3, 7, v24
	v_ffbh_u32_e32 v22, v3
	v_min_u32_e32 v36, 32, v22
	v_subrev_u32_e32 v22, 28, v36
	v_lshlrev_b64 v[22:23], v22, v[24:25]
	v_lshrrev_b32_e32 v35, 3, v34
	v_sub_u32_e32 v23, 29, v36
	v_and_b32_e32 v22, 7, v22
	v_cmp_gt_u32_e32 vcc, 8, v34
	v_cndmask_b32_e32 v23, v35, v23, vcc
	v_cndmask_b32_e32 v3, v3, v22, vcc
	v_lshlrev_b32_e32 v22, 8, v10
	v_bfrev_b32_e32 v24, 60
	v_lshlrev_b32_e32 v3, 20, v3
	v_and_b32_e32 v22, 0x80000000, v22
	v_lshl_add_u32 v23, v23, 23, v24
	v_or3_b32 v3, v22, v23, v3
.LBB2_4302:                             ;   in Loop: Header=BB2_3948 Depth=2
	s_or_b64 exec, exec, s[58:59]
.LBB2_4303:                             ;   in Loop: Header=BB2_3948 Depth=2
	s_or_b64 exec, exec, s[56:57]
.LBB2_4304:                             ;   in Loop: Header=BB2_3948 Depth=2
	s_or_b64 exec, exec, s[20:21]
	v_add_f32_e32 v24, v18, v3
	v_and_b32_sdwa v3, v24, s69 dst_sel:DWORD dst_unused:UNUSED_PAD src0_sel:BYTE_3 src1_sel:DWORD
	v_and_b32_e32 v22, 0x7f800000, v24
	v_mov_b32_e32 v23, v37
	v_and_b32_e32 v36, 0x7fffff, v24
	v_or_b32_e32 v18, 0x7e, v3
	v_cmp_ne_u64_e32 vcc, s[38:39], v[22:23]
	s_and_saveexec_b64 s[20:21], vcc
	s_xor_b64 s[56:57], exec, s[20:21]
	s_cbranch_execz .LBB2_4314
; %bb.4305:                             ;   in Loop: Header=BB2_3948 Depth=2
	v_and_b32_e32 v22, 0x7fffffff, v24
	v_mov_b32_e32 v23, v37
	v_cmp_gt_u64_e32 vcc, s[40:41], v[22:23]
	s_and_saveexec_b64 s[58:59], vcc
	s_cbranch_execz .LBB2_4313
; %bb.4306:                             ;   in Loop: Header=BB2_3948 Depth=2
	v_cmp_ne_u32_e32 vcc, 0, v24
	v_mov_b32_e32 v18, 0
	s_and_saveexec_b64 s[60:61], vcc
	s_cbranch_execz .LBB2_4312
; %bb.4307:                             ;   in Loop: Header=BB2_3948 Depth=2
	v_bfe_u32 v18, v24, 23, 8
	v_sub_u32_e32 v23, 0x79, v18
	v_cmp_gt_u32_e32 vcc, s71, v18
	v_add_u32_e32 v22, 0xffffff81, v18
	v_cndmask_b32_e32 v23, 0, v23, vcc
	v_cmp_eq_u32_e32 vcc, 0, v18
	v_mov_b32_e32 v18, 0xffffff82
	v_cndmask_b32_e32 v18, v22, v18, vcc
	v_mov_b32_e32 v22, 0x78
	v_or_b32_e32 v24, 0x800000, v36
	v_cndmask_b32_e32 v34, v23, v22, vcc
	v_cndmask_b32_e32 v36, v24, v36, vcc
	v_add_u32_e32 v22, 20, v34
	v_lshlrev_b64 v[22:23], v22, -1
	v_add_u32_e32 v24, 19, v34
	v_lshrrev_b64 v[48:49], v34, v[36:37]
	v_not_b32_e32 v23, v23
	v_not_b32_e32 v22, v22
	v_lshlrev_b64 v[38:39], v24, 1
	v_lshrrev_b32_e32 v24, 23, v48
	v_and_b32_e32 v23, 0, v23
	v_and_b32_e32 v22, v36, v22
	v_add3_u32 v34, v34, v18, v24
	v_bfe_u32 v18, v48, 20, 1
	v_add_u32_e32 v18, -1, v18
	v_cmp_eq_u64_e32 vcc, v[22:23], v[38:39]
	v_cndmask_b32_e32 v18, 0, v18, vcc
	v_add_u32_e32 v18, v18, v48
	v_and_b32_e32 v18, 0xfffff, v18
	v_add_co_u32_e32 v42, vcc, v18, v48
	v_add_u32_e32 v24, 6, v34
	v_addc_co_u32_e32 v43, vcc, 0, v49, vcc
	v_cmp_ne_u32_e32 vcc, 0, v24
                                        ; implicit-def: $vgpr18
	s_and_saveexec_b64 s[20:21], vcc
	s_xor_b64 s[20:21], exec, s[20:21]
; %bb.4308:                             ;   in Loop: Header=BB2_3948 Depth=2
	v_cmp_lt_u64_e32 vcc, s[44:45], v[42:43]
	v_add_u32_e32 v18, 7, v34
	v_cndmask_b32_e64 v22, 0, 1, vcc
	v_cndmask_b32_e32 v18, v24, v18, vcc
	v_lshrrev_b64 v[42:43], v22, v[42:43]
; %bb.4309:                             ;   in Loop: Header=BB2_3948 Depth=2
	s_andn2_saveexec_b64 s[20:21], s[20:21]
; %bb.4310:                             ;   in Loop: Header=BB2_3948 Depth=2
	v_bfe_u32 v18, v42, 23, 1
; %bb.4311:                             ;   in Loop: Header=BB2_3948 Depth=2
	s_or_b64 exec, exec, s[20:21]
	v_lshrrev_b64 v[22:23], 20, v[42:43]
	v_cmp_gt_i32_e32 vcc, 16, v18
	v_cndmask_b32_e32 v23, 0, v23, vcc
	v_cndmask_b32_e32 v22, 7, v22, vcc
	v_cmp_eq_u32_e32 vcc, 0, v18
	v_min_i32_e32 v18, 15, v18
	v_cmp_eq_u64_e64 s[20:21], 0, v[22:23]
	v_lshlrev_b32_e32 v18, 3, v18
	v_and_or_b32 v18, v22, 7, v18
	s_and_b64 s[20:21], vcc, s[20:21]
	v_cndmask_b32_e64 v18, v18, 0, s[20:21]
	v_or_b32_e32 v18, v18, v3
.LBB2_4312:                             ;   in Loop: Header=BB2_3948 Depth=2
	s_or_b64 exec, exec, s[60:61]
.LBB2_4313:                             ;   in Loop: Header=BB2_3948 Depth=2
	s_or_b64 exec, exec, s[58:59]
                                        ; implicit-def: $vgpr24
.LBB2_4314:                             ;   in Loop: Header=BB2_3948 Depth=2
	s_andn2_saveexec_b64 s[20:21], s[56:57]
; %bb.4315:                             ;   in Loop: Header=BB2_3948 Depth=2
	v_or_b32_sdwa v3, v24, s68 dst_sel:DWORD dst_unused:UNUSED_PAD src0_sel:BYTE_3 src1_sel:DWORD
	v_cmp_eq_u64_e32 vcc, 0, v[36:37]
	v_cndmask_b32_e32 v18, v3, v18, vcc
; %bb.4316:                             ;   in Loop: Header=BB2_3948 Depth=2
	s_or_b64 exec, exec, s[20:21]
	v_lshlrev_b32_e32 v3, 8, v27
	v_and_b32_e32 v24, 0xff00, v3
	v_cmp_ne_u32_e32 vcc, 0, v24
	v_mov_b32_e32 v3, 0
	v_mov_b32_e32 v27, 0
	s_and_saveexec_b64 s[20:21], vcc
	s_cbranch_execz .LBB2_4322
; %bb.4317:                             ;   in Loop: Header=BB2_3948 Depth=2
	v_cmp_ne_u32_e32 vcc, s73, v24
	v_bfrev_b32_e32 v27, 1
	s_and_saveexec_b64 s[56:57], vcc
	s_cbranch_execz .LBB2_4321
; %bb.4318:                             ;   in Loop: Header=BB2_3948 Depth=2
	v_bfe_u32 v34, v24, 8, 7
	v_cmp_ne_u32_e32 vcc, s68, v34
	v_mov_b32_e32 v27, 0x7f800001
	s_and_saveexec_b64 s[58:59], vcc
	s_cbranch_execz .LBB2_4320
; %bb.4319:                             ;   in Loop: Header=BB2_3948 Depth=2
	v_lshrrev_b32_e32 v22, 8, v24
	v_and_b32_e32 v27, 7, v22
	v_ffbh_u32_e32 v23, v27
	v_min_u32_e32 v36, 32, v23
	v_subrev_u32_e32 v23, 28, v36
	v_lshlrev_b64 v[22:23], v23, v[22:23]
	v_lshrrev_b32_e32 v35, 3, v34
	v_sub_u32_e32 v23, 29, v36
	v_and_b32_e32 v22, 7, v22
	v_cmp_gt_u32_e32 vcc, 8, v34
	v_cndmask_b32_e32 v23, v35, v23, vcc
	v_cndmask_b32_e32 v22, v27, v22, vcc
	v_lshlrev_b32_e32 v24, 16, v24
	v_bfrev_b32_e32 v27, 60
	v_lshlrev_b32_e32 v22, 20, v22
	v_and_b32_e32 v24, 0x80000000, v24
	v_lshl_add_u32 v23, v23, 23, v27
	v_or3_b32 v27, v24, v23, v22
.LBB2_4320:                             ;   in Loop: Header=BB2_3948 Depth=2
	s_or_b64 exec, exec, s[58:59]
.LBB2_4321:                             ;   in Loop: Header=BB2_3948 Depth=2
	s_or_b64 exec, exec, s[56:57]
.LBB2_4322:                             ;   in Loop: Header=BB2_3948 Depth=2
	s_or_b64 exec, exec, s[20:21]
	v_cmp_lt_u32_e32 vcc, s43, v10
	s_and_saveexec_b64 s[20:21], vcc
	s_cbranch_execz .LBB2_4328
; %bb.4323:                             ;   in Loop: Header=BB2_3948 Depth=2
	v_lshrrev_b32_e32 v24, 24, v10
	v_cmp_ne_u32_e32 vcc, s69, v24
	v_bfrev_b32_e32 v3, 1
	s_and_saveexec_b64 s[56:57], vcc
	s_cbranch_execz .LBB2_4327
; %bb.4324:                             ;   in Loop: Header=BB2_3948 Depth=2
	v_bfe_u32 v34, v10, 24, 7
	v_cmp_ne_u32_e32 vcc, s68, v34
	v_mov_b32_e32 v3, 0x7f800001
	s_and_saveexec_b64 s[58:59], vcc
	s_cbranch_execz .LBB2_4326
; %bb.4325:                             ;   in Loop: Header=BB2_3948 Depth=2
	v_and_b32_e32 v3, 7, v24
	v_ffbh_u32_e32 v22, v3
	v_min_u32_e32 v36, 32, v22
	v_subrev_u32_e32 v22, 28, v36
	v_lshlrev_b64 v[22:23], v22, v[24:25]
	v_lshrrev_b32_e32 v35, 3, v34
	v_sub_u32_e32 v23, 29, v36
	v_and_b32_e32 v22, 7, v22
	v_cmp_gt_u32_e32 vcc, 8, v34
	v_cndmask_b32_e32 v23, v35, v23, vcc
	v_cndmask_b32_e32 v3, v3, v22, vcc
	v_lshlrev_b32_e32 v22, 24, v24
	v_bfrev_b32_e32 v24, 60
	v_lshlrev_b32_e32 v3, 20, v3
	v_and_b32_e32 v22, 0x80000000, v22
	v_lshl_add_u32 v23, v23, 23, v24
	v_or3_b32 v3, v22, v23, v3
.LBB2_4326:                             ;   in Loop: Header=BB2_3948 Depth=2
	s_or_b64 exec, exec, s[58:59]
.LBB2_4327:                             ;   in Loop: Header=BB2_3948 Depth=2
	s_or_b64 exec, exec, s[56:57]
.LBB2_4328:                             ;   in Loop: Header=BB2_3948 Depth=2
	s_or_b64 exec, exec, s[20:21]
	v_add_f32_e32 v24, v27, v3
	v_and_b32_sdwa v3, v24, s69 dst_sel:DWORD dst_unused:UNUSED_PAD src0_sel:BYTE_3 src1_sel:DWORD
	v_and_b32_e32 v22, 0x7f800000, v24
	v_mov_b32_e32 v23, v37
	v_and_b32_e32 v36, 0x7fffff, v24
	v_or_b32_e32 v27, 0x7e, v3
	v_cmp_ne_u64_e32 vcc, s[38:39], v[22:23]
	s_and_saveexec_b64 s[20:21], vcc
	s_xor_b64 s[56:57], exec, s[20:21]
	s_cbranch_execz .LBB2_4338
; %bb.4329:                             ;   in Loop: Header=BB2_3948 Depth=2
	v_and_b32_e32 v22, 0x7fffffff, v24
	v_mov_b32_e32 v23, v37
	v_cmp_gt_u64_e32 vcc, s[40:41], v[22:23]
	s_and_saveexec_b64 s[58:59], vcc
	s_cbranch_execz .LBB2_4337
; %bb.4330:                             ;   in Loop: Header=BB2_3948 Depth=2
	v_cmp_ne_u32_e32 vcc, 0, v24
	v_mov_b32_e32 v27, 0
	s_and_saveexec_b64 s[60:61], vcc
	s_cbranch_execz .LBB2_4336
; %bb.4331:                             ;   in Loop: Header=BB2_3948 Depth=2
	v_bfe_u32 v22, v24, 23, 8
	v_sub_u32_e32 v24, 0x79, v22
	v_cmp_gt_u32_e32 vcc, s71, v22
	v_add_u32_e32 v23, 0xffffff81, v22
	v_cndmask_b32_e32 v24, 0, v24, vcc
	v_cmp_eq_u32_e32 vcc, 0, v22
	v_mov_b32_e32 v22, 0xffffff82
	v_cndmask_b32_e32 v34, v23, v22, vcc
	v_mov_b32_e32 v22, 0x78
	v_or_b32_e32 v27, 0x800000, v36
	v_cndmask_b32_e32 v24, v24, v22, vcc
	v_cndmask_b32_e32 v36, v27, v36, vcc
	v_add_u32_e32 v22, 20, v24
	v_lshlrev_b64 v[22:23], v22, -1
	v_add_u32_e32 v27, 19, v24
	v_lshrrev_b64 v[48:49], v24, v[36:37]
	v_not_b32_e32 v23, v23
	v_not_b32_e32 v22, v22
	v_lshlrev_b64 v[38:39], v27, 1
	v_lshrrev_b32_e32 v27, 23, v48
	v_and_b32_e32 v23, 0, v23
	v_and_b32_e32 v22, v36, v22
	v_add3_u32 v34, v24, v34, v27
	v_bfe_u32 v24, v48, 20, 1
	v_add_u32_e32 v24, -1, v24
	v_cmp_eq_u64_e32 vcc, v[22:23], v[38:39]
	v_cndmask_b32_e32 v22, 0, v24, vcc
	v_add_u32_e32 v22, v22, v48
	v_and_b32_e32 v22, 0xfffff, v22
	v_add_co_u32_e32 v42, vcc, v22, v48
	v_add_u32_e32 v27, 6, v34
	v_addc_co_u32_e32 v43, vcc, 0, v49, vcc
	v_cmp_ne_u32_e32 vcc, 0, v27
                                        ; implicit-def: $vgpr24
	s_and_saveexec_b64 s[20:21], vcc
	s_xor_b64 s[20:21], exec, s[20:21]
; %bb.4332:                             ;   in Loop: Header=BB2_3948 Depth=2
	v_add_u32_e32 v22, 7, v34
	v_cmp_lt_u64_e32 vcc, s[44:45], v[42:43]
	v_cndmask_b32_e32 v24, v27, v22, vcc
	v_cndmask_b32_e64 v22, 0, 1, vcc
	v_lshrrev_b64 v[42:43], v22, v[42:43]
; %bb.4333:                             ;   in Loop: Header=BB2_3948 Depth=2
	s_andn2_saveexec_b64 s[20:21], s[20:21]
; %bb.4334:                             ;   in Loop: Header=BB2_3948 Depth=2
	v_bfe_u32 v24, v42, 23, 1
; %bb.4335:                             ;   in Loop: Header=BB2_3948 Depth=2
	s_or_b64 exec, exec, s[20:21]
	v_lshrrev_b64 v[22:23], 20, v[42:43]
	v_cmp_gt_i32_e32 vcc, 16, v24
	v_cndmask_b32_e32 v23, 0, v23, vcc
	v_cndmask_b32_e32 v22, 7, v22, vcc
	v_cmp_eq_u64_e64 s[20:21], 0, v[22:23]
	v_min_i32_e32 v23, 15, v24
	v_cmp_eq_u32_e32 vcc, 0, v24
	v_lshlrev_b32_e32 v23, 3, v23
	v_and_or_b32 v22, v22, 7, v23
	s_and_b64 s[20:21], vcc, s[20:21]
	v_cndmask_b32_e64 v22, v22, 0, s[20:21]
	v_or_b32_e32 v27, v22, v3
.LBB2_4336:                             ;   in Loop: Header=BB2_3948 Depth=2
	s_or_b64 exec, exec, s[60:61]
.LBB2_4337:                             ;   in Loop: Header=BB2_3948 Depth=2
	s_or_b64 exec, exec, s[58:59]
                                        ; implicit-def: $vgpr24
.LBB2_4338:                             ;   in Loop: Header=BB2_3948 Depth=2
	s_andn2_saveexec_b64 s[20:21], s[56:57]
; %bb.4339:                             ;   in Loop: Header=BB2_3948 Depth=2
	v_or_b32_sdwa v3, v24, s68 dst_sel:DWORD dst_unused:UNUSED_PAD src0_sel:BYTE_3 src1_sel:DWORD
	v_cmp_eq_u64_e32 vcc, 0, v[36:37]
	v_cndmask_b32_e32 v27, v3, v27, vcc
; %bb.4340:                             ;   in Loop: Header=BB2_3948 Depth=2
	s_or_b64 exec, exec, s[20:21]
	v_lshlrev_b32_e32 v3, 8, v31
	v_lshlrev_b32_e32 v22, 24, v33
	v_perm_b32 v23, v32, v20, s74
	v_or3_b32 v36, v23, v22, v3
	v_cmp_ne_u16_sdwa vcc, v20, v37 src0_sel:BYTE_0 src1_sel:DWORD
	v_mov_b32_e32 v31, 0
	v_mov_b32_e32 v24, 0
	s_and_saveexec_b64 s[20:21], vcc
	s_cbranch_execz .LBB2_4346
; %bb.4341:                             ;   in Loop: Header=BB2_3948 Depth=2
	v_cmp_ne_u16_sdwa vcc, v20, s69 src0_sel:BYTE_0 src1_sel:DWORD
	v_bfrev_b32_e32 v24, 1
	s_and_saveexec_b64 s[56:57], vcc
	s_cbranch_execz .LBB2_4345
; %bb.4342:                             ;   in Loop: Header=BB2_3948 Depth=2
	v_and_b32_e32 v32, 0x7f, v20
	v_cmp_ne_u32_e32 vcc, s68, v32
	v_mov_b32_e32 v24, 0x7f800001
	s_and_saveexec_b64 s[58:59], vcc
	s_cbranch_execz .LBB2_4344
; %bb.4343:                             ;   in Loop: Header=BB2_3948 Depth=2
	v_and_b32_e32 v20, 7, v20
	v_ffbh_u32_e32 v20, v20
	v_min_u32_e32 v20, 32, v20
	v_lshrrev_b32_e32 v22, 3, v32
	v_subrev_u32_e32 v23, 28, v20
	v_sub_u32_e32 v20, 29, v20
	v_cmp_gt_u32_e32 vcc, 8, v32
	v_cndmask_b32_e32 v20, v22, v20, vcc
	v_cndmask_b32_e32 v22, 0, v23, vcc
	v_lshlrev_b64 v[22:23], v22, v[36:37]
	v_lshlrev_b32_e32 v22, 20, v22
	v_lshlrev_b32_e32 v23, 24, v36
	v_bfrev_b32_e32 v24, 60
	v_and_b32_e32 v22, 0x700000, v22
	v_and_b32_e32 v23, 0x80000000, v23
	v_lshl_add_u32 v20, v20, 23, v24
	v_or3_b32 v24, v23, v20, v22
.LBB2_4344:                             ;   in Loop: Header=BB2_3948 Depth=2
	s_or_b64 exec, exec, s[58:59]
.LBB2_4345:                             ;   in Loop: Header=BB2_3948 Depth=2
	s_or_b64 exec, exec, s[56:57]
.LBB2_4346:                             ;   in Loop: Header=BB2_3948 Depth=2
	s_or_b64 exec, exec, s[20:21]
	v_cmp_ne_u16_sdwa vcc, v11, v37 src0_sel:BYTE_0 src1_sel:DWORD
	s_and_saveexec_b64 s[20:21], vcc
	s_cbranch_execz .LBB2_4352
; %bb.4347:                             ;   in Loop: Header=BB2_3948 Depth=2
	v_cmp_ne_u16_sdwa vcc, v11, s69 src0_sel:BYTE_0 src1_sel:DWORD
	v_bfrev_b32_e32 v31, 1
	s_and_saveexec_b64 s[56:57], vcc
	s_cbranch_execz .LBB2_4351
; %bb.4348:                             ;   in Loop: Header=BB2_3948 Depth=2
	v_and_b32_e32 v20, 0x7f, v11
	v_cmp_ne_u32_e32 vcc, s68, v20
	v_mov_b32_e32 v31, 0x7f800001
	s_and_saveexec_b64 s[58:59], vcc
	s_cbranch_execz .LBB2_4350
; %bb.4349:                             ;   in Loop: Header=BB2_3948 Depth=2
	v_and_b32_e32 v31, 7, v11
	v_ffbh_u32_e32 v31, v31
	v_min_u32_e32 v31, 32, v31
	v_lshrrev_b32_e32 v32, 3, v20
	v_subrev_u32_e32 v33, 28, v31
	v_sub_u32_e32 v31, 29, v31
	v_cmp_gt_u32_e32 vcc, 8, v20
	v_mov_b32_e32 v22, v11
	v_mov_b32_e32 v23, v37
	v_cndmask_b32_e32 v20, v32, v31, vcc
	v_cndmask_b32_e32 v31, 0, v33, vcc
	v_lshlrev_b64 v[32:33], v31, v[22:23]
	v_lshlrev_b32_e32 v23, 20, v32
	v_lshlrev_b32_e32 v22, 24, v22
	v_bfrev_b32_e32 v31, 60
	v_and_b32_e32 v23, 0x700000, v23
	v_and_b32_e32 v22, 0x80000000, v22
	v_lshl_add_u32 v20, v20, 23, v31
	v_or3_b32 v31, v22, v20, v23
.LBB2_4350:                             ;   in Loop: Header=BB2_3948 Depth=2
	s_or_b64 exec, exec, s[58:59]
.LBB2_4351:                             ;   in Loop: Header=BB2_3948 Depth=2
	s_or_b64 exec, exec, s[56:57]
.LBB2_4352:                             ;   in Loop: Header=BB2_3948 Depth=2
	s_or_b64 exec, exec, s[20:21]
	v_add_f32_e32 v31, v24, v31
	v_and_b32_sdwa v24, v31, s69 dst_sel:DWORD dst_unused:UNUSED_PAD src0_sel:BYTE_3 src1_sel:DWORD
	v_and_b32_e32 v22, 0x7f800000, v31
	v_mov_b32_e32 v23, v37
	v_and_b32_e32 v42, 0x7fffff, v31
	v_mov_b32_e32 v43, v37
	v_or_b32_e32 v20, 0x7e, v24
	v_cmp_ne_u64_e32 vcc, s[38:39], v[22:23]
	s_and_saveexec_b64 s[20:21], vcc
	s_xor_b64 s[56:57], exec, s[20:21]
	s_cbranch_execz .LBB2_4362
; %bb.4353:                             ;   in Loop: Header=BB2_3948 Depth=2
	v_and_b32_e32 v22, 0x7fffffff, v31
	v_mov_b32_e32 v23, v37
	v_cmp_gt_u64_e32 vcc, s[40:41], v[22:23]
	s_and_saveexec_b64 s[58:59], vcc
	s_cbranch_execz .LBB2_4361
; %bb.4354:                             ;   in Loop: Header=BB2_3948 Depth=2
	v_cmp_ne_u32_e32 vcc, 0, v31
	v_mov_b32_e32 v20, 0
	s_and_saveexec_b64 s[60:61], vcc
	s_cbranch_execz .LBB2_4360
; %bb.4355:                             ;   in Loop: Header=BB2_3948 Depth=2
	v_bfe_u32 v20, v31, 23, 8
	v_sub_u32_e32 v23, 0x79, v20
	v_cmp_gt_u32_e32 vcc, s71, v20
	v_add_u32_e32 v22, 0xffffff81, v20
	v_cndmask_b32_e32 v23, 0, v23, vcc
	v_cmp_eq_u32_e32 vcc, 0, v20
	v_mov_b32_e32 v20, 0xffffff82
	v_cndmask_b32_e32 v20, v22, v20, vcc
	v_mov_b32_e32 v22, 0x78
	v_or_b32_e32 v31, 0x800000, v42
	v_cndmask_b32_e32 v32, v23, v22, vcc
	v_cndmask_b32_e32 v42, v31, v42, vcc
	v_add_u32_e32 v22, 20, v32
	v_lshlrev_b64 v[22:23], v22, -1
	v_add_u32_e32 v31, 19, v32
	v_lshrrev_b64 v[38:39], v32, v[42:43]
	v_not_b32_e32 v23, v23
	v_not_b32_e32 v22, v22
	v_lshlrev_b64 v[34:35], v31, 1
	v_lshrrev_b32_e32 v31, 23, v38
	v_and_b32_e32 v23, 0, v23
	v_and_b32_e32 v22, v42, v22
	v_add3_u32 v32, v32, v20, v31
	v_bfe_u32 v20, v38, 20, 1
	v_add_u32_e32 v20, -1, v20
	v_cmp_eq_u64_e32 vcc, v[22:23], v[34:35]
	v_cndmask_b32_e32 v20, 0, v20, vcc
	v_add_u32_e32 v20, v20, v38
	v_and_b32_e32 v20, 0xfffff, v20
	v_add_co_u32_e32 v42, vcc, v20, v38
	v_add_u32_e32 v31, 6, v32
	v_addc_co_u32_e32 v43, vcc, 0, v39, vcc
	v_cmp_ne_u32_e32 vcc, 0, v31
                                        ; implicit-def: $vgpr20
	s_and_saveexec_b64 s[20:21], vcc
	s_xor_b64 s[20:21], exec, s[20:21]
; %bb.4356:                             ;   in Loop: Header=BB2_3948 Depth=2
	v_cmp_lt_u64_e32 vcc, s[44:45], v[42:43]
	v_add_u32_e32 v20, 7, v32
	v_cndmask_b32_e64 v22, 0, 1, vcc
	v_cndmask_b32_e32 v20, v31, v20, vcc
	v_lshrrev_b64 v[42:43], v22, v[42:43]
; %bb.4357:                             ;   in Loop: Header=BB2_3948 Depth=2
	s_andn2_saveexec_b64 s[20:21], s[20:21]
; %bb.4358:                             ;   in Loop: Header=BB2_3948 Depth=2
	v_bfe_u32 v20, v42, 23, 1
; %bb.4359:                             ;   in Loop: Header=BB2_3948 Depth=2
	s_or_b64 exec, exec, s[20:21]
	v_lshrrev_b64 v[22:23], 20, v[42:43]
	v_cmp_gt_i32_e32 vcc, 16, v20
	v_cndmask_b32_e32 v23, 0, v23, vcc
	v_cndmask_b32_e32 v22, 7, v22, vcc
	v_cmp_eq_u32_e32 vcc, 0, v20
	v_min_i32_e32 v20, 15, v20
	v_cmp_eq_u64_e64 s[20:21], 0, v[22:23]
	v_lshlrev_b32_e32 v20, 3, v20
	v_and_or_b32 v20, v22, 7, v20
	s_and_b64 s[20:21], vcc, s[20:21]
	v_cndmask_b32_e64 v20, v20, 0, s[20:21]
	v_or_b32_e32 v20, v20, v24
.LBB2_4360:                             ;   in Loop: Header=BB2_3948 Depth=2
	s_or_b64 exec, exec, s[60:61]
.LBB2_4361:                             ;   in Loop: Header=BB2_3948 Depth=2
	s_or_b64 exec, exec, s[58:59]
                                        ; implicit-def: $vgpr31
                                        ; implicit-def: $vgpr42_vgpr43
.LBB2_4362:                             ;   in Loop: Header=BB2_3948 Depth=2
	s_andn2_saveexec_b64 s[20:21], s[56:57]
; %bb.4363:                             ;   in Loop: Header=BB2_3948 Depth=2
	v_or_b32_sdwa v22, v31, s68 dst_sel:DWORD dst_unused:UNUSED_PAD src0_sel:BYTE_3 src1_sel:DWORD
	v_cmp_eq_u64_e32 vcc, 0, v[42:43]
	v_cndmask_b32_e32 v20, v22, v20, vcc
; %bb.4364:                             ;   in Loop: Header=BB2_3948 Depth=2
	s_or_b64 exec, exec, s[20:21]
	v_lshrrev_b16_e32 v24, 8, v3
	v_cmp_ne_u16_e32 vcc, 0, v24
	v_mov_b32_e32 v31, 0
	v_mov_b32_e32 v32, 0
	s_and_saveexec_b64 s[20:21], vcc
	s_cbranch_execz .LBB2_4370
; %bb.4365:                             ;   in Loop: Header=BB2_3948 Depth=2
	v_cmp_ne_u16_e32 vcc, s69, v24
	v_bfrev_b32_e32 v32, 1
	s_and_saveexec_b64 s[56:57], vcc
	s_cbranch_execz .LBB2_4369
; %bb.4366:                             ;   in Loop: Header=BB2_3948 Depth=2
	v_and_b32_e32 v33, 0x7f, v24
	v_cmp_ne_u32_e32 vcc, s68, v33
	v_mov_b32_e32 v32, 0x7f800001
	s_and_saveexec_b64 s[58:59], vcc
	s_cbranch_execz .LBB2_4368
; %bb.4367:                             ;   in Loop: Header=BB2_3948 Depth=2
	v_and_b32_e32 v32, 7, v24
	v_ffbh_u32_e32 v22, v32
	v_min_u32_e32 v35, 32, v22
	v_subrev_u32_e32 v22, 28, v35
	v_lshlrev_b64 v[22:23], v22, v[24:25]
	v_lshrrev_b32_e32 v34, 3, v33
	v_sub_u32_e32 v23, 29, v35
	v_and_b32_e32 v22, 7, v22
	v_cmp_gt_u32_e32 vcc, 8, v33
	v_cndmask_b32_e32 v23, v34, v23, vcc
	v_cndmask_b32_e32 v22, v32, v22, vcc
	v_lshlrev_b32_e32 v3, 16, v3
	v_bfrev_b32_e32 v24, 60
	v_lshlrev_b32_e32 v22, 20, v22
	v_and_b32_e32 v3, 0x80000000, v3
	v_lshl_add_u32 v23, v23, 23, v24
	v_or3_b32 v32, v3, v23, v22
.LBB2_4368:                             ;   in Loop: Header=BB2_3948 Depth=2
	s_or_b64 exec, exec, s[58:59]
.LBB2_4369:                             ;   in Loop: Header=BB2_3948 Depth=2
	s_or_b64 exec, exec, s[56:57]
.LBB2_4370:                             ;   in Loop: Header=BB2_3948 Depth=2
	s_or_b64 exec, exec, s[20:21]
	v_mov_b32_e32 v24, v11
	v_lshrrev_b16_e32 v42, 8, v24
	v_cmp_ne_u16_e32 vcc, 0, v42
	s_and_saveexec_b64 s[20:21], vcc
	s_cbranch_execz .LBB2_4376
; %bb.4371:                             ;   in Loop: Header=BB2_3948 Depth=2
	v_cmp_ne_u16_e32 vcc, s69, v42
	v_bfrev_b32_e32 v31, 1
	s_and_saveexec_b64 s[56:57], vcc
	s_cbranch_execz .LBB2_4375
; %bb.4372:                             ;   in Loop: Header=BB2_3948 Depth=2
	v_and_b32_e32 v3, 0x7f, v42
	v_cmp_ne_u32_e32 vcc, s68, v3
	v_mov_b32_e32 v31, 0x7f800001
	s_and_saveexec_b64 s[58:59], vcc
	s_cbranch_execz .LBB2_4374
; %bb.4373:                             ;   in Loop: Header=BB2_3948 Depth=2
	v_and_b32_e32 v31, 7, v42
	v_ffbh_u32_e32 v22, v31
	v_min_u32_e32 v34, 32, v22
	v_subrev_u32_e32 v22, 28, v34
	v_lshlrev_b64 v[22:23], v22, v[42:43]
	v_lshrrev_b32_e32 v33, 3, v3
	v_sub_u32_e32 v23, 29, v34
	v_and_b32_e32 v22, 7, v22
	v_cmp_gt_u32_e32 vcc, 8, v3
	v_cndmask_b32_e32 v3, v33, v23, vcc
	v_cndmask_b32_e32 v22, v31, v22, vcc
	v_lshlrev_b32_e32 v23, 16, v24
	v_bfrev_b32_e32 v24, 60
	v_lshlrev_b32_e32 v22, 20, v22
	v_and_b32_e32 v23, 0x80000000, v23
	v_lshl_add_u32 v3, v3, 23, v24
	v_or3_b32 v31, v23, v3, v22
.LBB2_4374:                             ;   in Loop: Header=BB2_3948 Depth=2
	s_or_b64 exec, exec, s[58:59]
.LBB2_4375:                             ;   in Loop: Header=BB2_3948 Depth=2
	s_or_b64 exec, exec, s[56:57]
.LBB2_4376:                             ;   in Loop: Header=BB2_3948 Depth=2
	s_or_b64 exec, exec, s[20:21]
	v_add_f32_e32 v24, v32, v31
	v_and_b32_sdwa v3, v24, s69 dst_sel:DWORD dst_unused:UNUSED_PAD src0_sel:BYTE_3 src1_sel:DWORD
	v_and_b32_e32 v22, 0x7f800000, v24
	v_mov_b32_e32 v23, v37
	v_and_b32_e32 v42, 0x7fffff, v24
	v_mov_b32_e32 v43, v37
	v_or_b32_e32 v31, 0x7e, v3
	v_cmp_ne_u64_e32 vcc, s[38:39], v[22:23]
	s_and_saveexec_b64 s[20:21], vcc
	s_xor_b64 s[56:57], exec, s[20:21]
	s_cbranch_execz .LBB2_4386
; %bb.4377:                             ;   in Loop: Header=BB2_3948 Depth=2
	v_and_b32_e32 v22, 0x7fffffff, v24
	v_mov_b32_e32 v23, v37
	v_cmp_gt_u64_e32 vcc, s[40:41], v[22:23]
	s_and_saveexec_b64 s[58:59], vcc
	s_cbranch_execz .LBB2_4385
; %bb.4378:                             ;   in Loop: Header=BB2_3948 Depth=2
	v_cmp_ne_u32_e32 vcc, 0, v24
	v_mov_b32_e32 v31, 0
	s_and_saveexec_b64 s[60:61], vcc
	s_cbranch_execz .LBB2_4384
; %bb.4379:                             ;   in Loop: Header=BB2_3948 Depth=2
	v_bfe_u32 v22, v24, 23, 8
	v_sub_u32_e32 v24, 0x79, v22
	v_cmp_gt_u32_e32 vcc, s71, v22
	v_add_u32_e32 v23, 0xffffff81, v22
	v_cndmask_b32_e32 v24, 0, v24, vcc
	v_cmp_eq_u32_e32 vcc, 0, v22
	v_mov_b32_e32 v22, 0xffffff82
	v_cndmask_b32_e32 v32, v23, v22, vcc
	v_mov_b32_e32 v22, 0x78
	v_or_b32_e32 v31, 0x800000, v42
	v_cndmask_b32_e32 v24, v24, v22, vcc
	v_cndmask_b32_e32 v42, v31, v42, vcc
	v_add_u32_e32 v22, 20, v24
	v_lshlrev_b64 v[22:23], v22, -1
	v_add_u32_e32 v31, 19, v24
	v_lshrrev_b64 v[38:39], v24, v[42:43]
	v_not_b32_e32 v23, v23
	v_not_b32_e32 v22, v22
	v_lshlrev_b64 v[34:35], v31, 1
	v_lshrrev_b32_e32 v31, 23, v38
	v_and_b32_e32 v23, 0, v23
	v_and_b32_e32 v22, v42, v22
	v_add3_u32 v32, v24, v32, v31
	v_bfe_u32 v24, v38, 20, 1
	v_add_u32_e32 v24, -1, v24
	v_cmp_eq_u64_e32 vcc, v[22:23], v[34:35]
	v_cndmask_b32_e32 v22, 0, v24, vcc
	v_add_u32_e32 v22, v22, v38
	v_and_b32_e32 v22, 0xfffff, v22
	v_add_co_u32_e32 v42, vcc, v22, v38
	v_add_u32_e32 v31, 6, v32
	v_addc_co_u32_e32 v43, vcc, 0, v39, vcc
	v_cmp_ne_u32_e32 vcc, 0, v31
                                        ; implicit-def: $vgpr24
	s_and_saveexec_b64 s[20:21], vcc
	s_xor_b64 s[20:21], exec, s[20:21]
; %bb.4380:                             ;   in Loop: Header=BB2_3948 Depth=2
	v_add_u32_e32 v22, 7, v32
	v_cmp_lt_u64_e32 vcc, s[44:45], v[42:43]
	v_cndmask_b32_e32 v24, v31, v22, vcc
	v_cndmask_b32_e64 v22, 0, 1, vcc
	v_lshrrev_b64 v[42:43], v22, v[42:43]
; %bb.4381:                             ;   in Loop: Header=BB2_3948 Depth=2
	s_andn2_saveexec_b64 s[20:21], s[20:21]
; %bb.4382:                             ;   in Loop: Header=BB2_3948 Depth=2
	v_bfe_u32 v24, v42, 23, 1
; %bb.4383:                             ;   in Loop: Header=BB2_3948 Depth=2
	s_or_b64 exec, exec, s[20:21]
	v_lshrrev_b64 v[22:23], 20, v[42:43]
	v_cmp_gt_i32_e32 vcc, 16, v24
	v_cndmask_b32_e32 v23, 0, v23, vcc
	v_cndmask_b32_e32 v22, 7, v22, vcc
	v_cmp_eq_u64_e64 s[20:21], 0, v[22:23]
	v_min_i32_e32 v23, 15, v24
	v_cmp_eq_u32_e32 vcc, 0, v24
	v_lshlrev_b32_e32 v23, 3, v23
	v_and_or_b32 v22, v22, 7, v23
	s_and_b64 s[20:21], vcc, s[20:21]
	v_cndmask_b32_e64 v22, v22, 0, s[20:21]
	v_or_b32_e32 v31, v22, v3
.LBB2_4384:                             ;   in Loop: Header=BB2_3948 Depth=2
	s_or_b64 exec, exec, s[60:61]
.LBB2_4385:                             ;   in Loop: Header=BB2_3948 Depth=2
	s_or_b64 exec, exec, s[58:59]
                                        ; implicit-def: $vgpr24
                                        ; implicit-def: $vgpr42_vgpr43
.LBB2_4386:                             ;   in Loop: Header=BB2_3948 Depth=2
	s_andn2_saveexec_b64 s[20:21], s[56:57]
; %bb.4387:                             ;   in Loop: Header=BB2_3948 Depth=2
	v_or_b32_sdwa v3, v24, s68 dst_sel:DWORD dst_unused:UNUSED_PAD src0_sel:BYTE_3 src1_sel:DWORD
	v_cmp_eq_u64_e32 vcc, 0, v[42:43]
	v_cndmask_b32_e32 v31, v3, v31, vcc
; %bb.4388:                             ;   in Loop: Header=BB2_3948 Depth=2
	s_or_b64 exec, exec, s[20:21]
	v_lshrrev_b32_e32 v24, 16, v36
	v_cmp_ne_u16_sdwa vcc, v24, v37 src0_sel:BYTE_0 src1_sel:DWORD
	v_mov_b32_e32 v3, 0
	v_mov_b32_e32 v32, 0
	s_and_saveexec_b64 s[20:21], vcc
	s_cbranch_execz .LBB2_4394
; %bb.4389:                             ;   in Loop: Header=BB2_3948 Depth=2
	v_cmp_ne_u16_sdwa vcc, v24, s69 src0_sel:BYTE_0 src1_sel:DWORD
	v_bfrev_b32_e32 v32, 1
	s_and_saveexec_b64 s[56:57], vcc
	s_cbranch_execz .LBB2_4393
; %bb.4390:                             ;   in Loop: Header=BB2_3948 Depth=2
	v_bfe_u32 v33, v36, 16, 7
	v_cmp_ne_u32_e32 vcc, s68, v33
	v_mov_b32_e32 v32, 0x7f800001
	s_and_saveexec_b64 s[58:59], vcc
	s_cbranch_execz .LBB2_4392
; %bb.4391:                             ;   in Loop: Header=BB2_3948 Depth=2
	v_and_b32_e32 v32, 7, v24
	v_ffbh_u32_e32 v22, v32
	v_min_u32_e32 v35, 32, v22
	v_subrev_u32_e32 v22, 28, v35
	v_lshlrev_b64 v[22:23], v22, v[24:25]
	v_lshrrev_b32_e32 v34, 3, v33
	v_sub_u32_e32 v23, 29, v35
	v_and_b32_e32 v22, 7, v22
	v_cmp_gt_u32_e32 vcc, 8, v33
	v_cndmask_b32_e32 v23, v34, v23, vcc
	v_cndmask_b32_e32 v22, v32, v22, vcc
	v_lshlrev_b32_e32 v24, 24, v24
	v_bfrev_b32_e32 v32, 60
	v_lshlrev_b32_e32 v22, 20, v22
	v_and_b32_e32 v24, 0x80000000, v24
	v_lshl_add_u32 v23, v23, 23, v32
	v_or3_b32 v32, v24, v23, v22
.LBB2_4392:                             ;   in Loop: Header=BB2_3948 Depth=2
	s_or_b64 exec, exec, s[58:59]
.LBB2_4393:                             ;   in Loop: Header=BB2_3948 Depth=2
	s_or_b64 exec, exec, s[56:57]
.LBB2_4394:                             ;   in Loop: Header=BB2_3948 Depth=2
	s_or_b64 exec, exec, s[20:21]
	v_lshrrev_b32_e32 v24, 16, v11
	v_cmp_ne_u16_sdwa vcc, v24, v37 src0_sel:BYTE_0 src1_sel:DWORD
	s_and_saveexec_b64 s[20:21], vcc
	s_cbranch_execz .LBB2_4400
; %bb.4395:                             ;   in Loop: Header=BB2_3948 Depth=2
	v_cmp_ne_u16_sdwa vcc, v24, s69 src0_sel:BYTE_0 src1_sel:DWORD
	v_bfrev_b32_e32 v3, 1
	s_and_saveexec_b64 s[56:57], vcc
	s_cbranch_execz .LBB2_4399
; %bb.4396:                             ;   in Loop: Header=BB2_3948 Depth=2
	v_bfe_u32 v33, v11, 16, 7
	v_cmp_ne_u32_e32 vcc, s68, v33
	v_mov_b32_e32 v3, 0x7f800001
	s_and_saveexec_b64 s[58:59], vcc
	s_cbranch_execz .LBB2_4398
; %bb.4397:                             ;   in Loop: Header=BB2_3948 Depth=2
	v_and_b32_e32 v3, 7, v24
	v_ffbh_u32_e32 v22, v3
	v_min_u32_e32 v35, 32, v22
	v_subrev_u32_e32 v22, 28, v35
	v_lshlrev_b64 v[22:23], v22, v[24:25]
	v_lshrrev_b32_e32 v34, 3, v33
	v_sub_u32_e32 v23, 29, v35
	v_and_b32_e32 v22, 7, v22
	v_cmp_gt_u32_e32 vcc, 8, v33
	v_cndmask_b32_e32 v23, v34, v23, vcc
	v_cndmask_b32_e32 v3, v3, v22, vcc
	v_lshlrev_b32_e32 v22, 8, v11
	v_bfrev_b32_e32 v24, 60
	v_lshlrev_b32_e32 v3, 20, v3
	v_and_b32_e32 v22, 0x80000000, v22
	v_lshl_add_u32 v23, v23, 23, v24
	v_or3_b32 v3, v22, v23, v3
.LBB2_4398:                             ;   in Loop: Header=BB2_3948 Depth=2
	s_or_b64 exec, exec, s[58:59]
.LBB2_4399:                             ;   in Loop: Header=BB2_3948 Depth=2
	s_or_b64 exec, exec, s[56:57]
.LBB2_4400:                             ;   in Loop: Header=BB2_3948 Depth=2
	s_or_b64 exec, exec, s[20:21]
	v_add_f32_e32 v24, v32, v3
	v_and_b32_sdwa v3, v24, s69 dst_sel:DWORD dst_unused:UNUSED_PAD src0_sel:BYTE_3 src1_sel:DWORD
	v_and_b32_e32 v22, 0x7f800000, v24
	v_mov_b32_e32 v23, v37
	v_and_b32_e32 v42, 0x7fffff, v24
	v_mov_b32_e32 v43, v37
	v_or_b32_e32 v32, 0x7e, v3
	v_cmp_ne_u64_e32 vcc, s[38:39], v[22:23]
	s_and_saveexec_b64 s[20:21], vcc
	s_xor_b64 s[56:57], exec, s[20:21]
	s_cbranch_execz .LBB2_4410
; %bb.4401:                             ;   in Loop: Header=BB2_3948 Depth=2
	v_and_b32_e32 v22, 0x7fffffff, v24
	v_mov_b32_e32 v23, v37
	v_cmp_gt_u64_e32 vcc, s[40:41], v[22:23]
	s_and_saveexec_b64 s[58:59], vcc
	s_cbranch_execz .LBB2_4409
; %bb.4402:                             ;   in Loop: Header=BB2_3948 Depth=2
	v_cmp_ne_u32_e32 vcc, 0, v24
	v_mov_b32_e32 v32, 0
	s_and_saveexec_b64 s[60:61], vcc
	s_cbranch_execz .LBB2_4408
; %bb.4403:                             ;   in Loop: Header=BB2_3948 Depth=2
	v_bfe_u32 v22, v24, 23, 8
	v_sub_u32_e32 v24, 0x79, v22
	v_cmp_gt_u32_e32 vcc, s71, v22
	v_add_u32_e32 v23, 0xffffff81, v22
	v_cndmask_b32_e32 v24, 0, v24, vcc
	v_cmp_eq_u32_e32 vcc, 0, v22
	v_mov_b32_e32 v22, 0xffffff82
	v_cndmask_b32_e32 v33, v23, v22, vcc
	v_mov_b32_e32 v22, 0x78
	v_or_b32_e32 v32, 0x800000, v42
	v_cndmask_b32_e32 v24, v24, v22, vcc
	v_cndmask_b32_e32 v42, v32, v42, vcc
	v_add_u32_e32 v22, 20, v24
	v_lshlrev_b64 v[22:23], v22, -1
	v_add_u32_e32 v32, 19, v24
	v_lshrrev_b64 v[38:39], v24, v[42:43]
	v_not_b32_e32 v23, v23
	v_not_b32_e32 v22, v22
	v_lshlrev_b64 v[34:35], v32, 1
	v_lshrrev_b32_e32 v32, 23, v38
	v_and_b32_e32 v23, 0, v23
	v_and_b32_e32 v22, v42, v22
	v_add3_u32 v33, v24, v33, v32
	v_bfe_u32 v24, v38, 20, 1
	v_add_u32_e32 v24, -1, v24
	v_cmp_eq_u64_e32 vcc, v[22:23], v[34:35]
	v_cndmask_b32_e32 v22, 0, v24, vcc
	v_add_u32_e32 v22, v22, v38
	v_and_b32_e32 v22, 0xfffff, v22
	v_add_co_u32_e32 v42, vcc, v22, v38
	v_add_u32_e32 v32, 6, v33
	v_addc_co_u32_e32 v43, vcc, 0, v39, vcc
	v_cmp_ne_u32_e32 vcc, 0, v32
                                        ; implicit-def: $vgpr24
	s_and_saveexec_b64 s[20:21], vcc
	s_xor_b64 s[20:21], exec, s[20:21]
; %bb.4404:                             ;   in Loop: Header=BB2_3948 Depth=2
	v_add_u32_e32 v22, 7, v33
	v_cmp_lt_u64_e32 vcc, s[44:45], v[42:43]
	v_cndmask_b32_e32 v24, v32, v22, vcc
	v_cndmask_b32_e64 v22, 0, 1, vcc
	v_lshrrev_b64 v[42:43], v22, v[42:43]
; %bb.4405:                             ;   in Loop: Header=BB2_3948 Depth=2
	s_andn2_saveexec_b64 s[20:21], s[20:21]
; %bb.4406:                             ;   in Loop: Header=BB2_3948 Depth=2
	v_bfe_u32 v24, v42, 23, 1
; %bb.4407:                             ;   in Loop: Header=BB2_3948 Depth=2
	s_or_b64 exec, exec, s[20:21]
	v_lshrrev_b64 v[22:23], 20, v[42:43]
	v_cmp_gt_i32_e32 vcc, 16, v24
	v_cndmask_b32_e32 v23, 0, v23, vcc
	v_cndmask_b32_e32 v22, 7, v22, vcc
	v_cmp_eq_u64_e64 s[20:21], 0, v[22:23]
	v_min_i32_e32 v23, 15, v24
	v_lshlrev_b32_e32 v23, 3, v23
	v_cmp_eq_u32_e32 vcc, 0, v24
	v_and_b32_e32 v23, 0xf8, v23
	v_and_or_b32 v22, v22, 7, v23
	s_and_b64 s[20:21], vcc, s[20:21]
	v_cndmask_b32_e64 v22, v22, 0, s[20:21]
	v_or_b32_e32 v32, v22, v3
.LBB2_4408:                             ;   in Loop: Header=BB2_3948 Depth=2
	s_or_b64 exec, exec, s[60:61]
.LBB2_4409:                             ;   in Loop: Header=BB2_3948 Depth=2
	s_or_b64 exec, exec, s[58:59]
                                        ; implicit-def: $vgpr24
                                        ; implicit-def: $vgpr42_vgpr43
.LBB2_4410:                             ;   in Loop: Header=BB2_3948 Depth=2
	s_andn2_saveexec_b64 s[20:21], s[56:57]
; %bb.4411:                             ;   in Loop: Header=BB2_3948 Depth=2
	v_or_b32_sdwa v3, v24, s68 dst_sel:DWORD dst_unused:UNUSED_PAD src0_sel:BYTE_3 src1_sel:DWORD
	v_cmp_eq_u64_e32 vcc, 0, v[42:43]
	v_cndmask_b32_e32 v32, v3, v32, vcc
; %bb.4412:                             ;   in Loop: Header=BB2_3948 Depth=2
	s_or_b64 exec, exec, s[20:21]
	v_cmp_lt_u32_e32 vcc, s43, v36
	v_mov_b32_e32 v3, 0
	v_mov_b32_e32 v33, 0
	s_and_saveexec_b64 s[20:21], vcc
	s_cbranch_execz .LBB2_4418
; %bb.4413:                             ;   in Loop: Header=BB2_3948 Depth=2
	v_lshrrev_b32_e32 v24, 24, v36
	v_cmp_ne_u32_sdwa vcc, v36, s69 src0_sel:BYTE_3 src1_sel:DWORD
	v_bfrev_b32_e32 v33, 1
	s_and_saveexec_b64 s[56:57], vcc
	s_cbranch_execz .LBB2_4417
; %bb.4414:                             ;   in Loop: Header=BB2_3948 Depth=2
	v_bfe_u32 v34, v36, 24, 7
	v_cmp_ne_u32_e32 vcc, s68, v34
	v_mov_b32_e32 v33, 0x7f800001
	s_and_saveexec_b64 s[58:59], vcc
	s_cbranch_execz .LBB2_4416
; %bb.4415:                             ;   in Loop: Header=BB2_3948 Depth=2
	v_and_b32_e32 v33, 7, v24
	v_ffbh_u32_e32 v22, v33
	v_min_u32_e32 v38, 32, v22
	v_subrev_u32_e32 v22, 28, v38
	v_lshlrev_b64 v[22:23], v22, v[24:25]
	v_lshrrev_b32_e32 v35, 3, v34
	v_sub_u32_e32 v23, 29, v38
	v_and_b32_e32 v22, 7, v22
	v_cmp_gt_u32_e32 vcc, 8, v34
	v_mov_b32_e32 v24, 24
	v_cndmask_b32_e32 v23, v35, v23, vcc
	v_cndmask_b32_e32 v22, v33, v22, vcc
	v_lshlrev_b32_sdwa v24, v24, v36 dst_sel:DWORD dst_unused:UNUSED_PAD src0_sel:DWORD src1_sel:BYTE_3
	v_bfrev_b32_e32 v33, 60
	v_lshlrev_b32_e32 v22, 20, v22
	v_and_b32_e32 v24, 0x80000000, v24
	v_lshl_add_u32 v23, v23, 23, v33
	v_or3_b32 v33, v24, v23, v22
.LBB2_4416:                             ;   in Loop: Header=BB2_3948 Depth=2
	s_or_b64 exec, exec, s[58:59]
.LBB2_4417:                             ;   in Loop: Header=BB2_3948 Depth=2
	s_or_b64 exec, exec, s[56:57]
.LBB2_4418:                             ;   in Loop: Header=BB2_3948 Depth=2
	s_or_b64 exec, exec, s[20:21]
	v_cmp_lt_u64_e32 vcc, s[42:43], v[10:11]
	s_and_saveexec_b64 s[20:21], vcc
	s_cbranch_execz .LBB2_4424
; %bb.4419:                             ;   in Loop: Header=BB2_3948 Depth=2
	v_lshrrev_b32_e32 v10, 24, v11
	v_cmp_ne_u32_e32 vcc, s69, v10
	v_bfrev_b32_e32 v3, 1
	s_and_saveexec_b64 s[56:57], vcc
	s_cbranch_execz .LBB2_4423
; %bb.4420:                             ;   in Loop: Header=BB2_3948 Depth=2
	v_bfe_u32 v11, v11, 24, 7
	v_cmp_ne_u32_e32 vcc, s68, v11
	v_mov_b32_e32 v3, 0x7f800001
	s_and_saveexec_b64 s[58:59], vcc
	s_cbranch_execz .LBB2_4422
; %bb.4421:                             ;   in Loop: Header=BB2_3948 Depth=2
	v_and_b32_e32 v3, 7, v10
	v_ffbh_u32_e32 v22, v3
	v_min_u32_e32 v34, 32, v22
	v_subrev_u32_e32 v22, 28, v34
	v_lshlrev_b64 v[22:23], v22, v[10:11]
	v_lshrrev_b32_e32 v24, 3, v11
	v_sub_u32_e32 v23, 29, v34
	v_and_b32_e32 v22, 7, v22
	v_cmp_gt_u32_e32 vcc, 8, v11
	v_cndmask_b32_e32 v11, v24, v23, vcc
	v_cndmask_b32_e32 v3, v3, v22, vcc
	v_lshlrev_b32_e32 v10, 24, v10
	v_bfrev_b32_e32 v22, 60
	v_lshlrev_b32_e32 v3, 20, v3
	v_and_b32_e32 v10, 0x80000000, v10
	v_lshl_add_u32 v11, v11, 23, v22
	v_or3_b32 v3, v10, v11, v3
.LBB2_4422:                             ;   in Loop: Header=BB2_3948 Depth=2
	s_or_b64 exec, exec, s[58:59]
.LBB2_4423:                             ;   in Loop: Header=BB2_3948 Depth=2
	s_or_b64 exec, exec, s[56:57]
.LBB2_4424:                             ;   in Loop: Header=BB2_3948 Depth=2
	s_or_b64 exec, exec, s[20:21]
	v_add_f32_e32 v10, v33, v3
	v_and_b32_sdwa v3, v10, s69 dst_sel:DWORD dst_unused:UNUSED_PAD src0_sel:BYTE_3 src1_sel:DWORD
	v_and_b32_e32 v22, 0x7f800000, v10
	v_mov_b32_e32 v23, v37
	v_and_b32_e32 v36, 0x7fffff, v10
	v_or_b32_e32 v24, 0x7e, v3
	v_cmp_ne_u64_e32 vcc, s[38:39], v[22:23]
	s_and_saveexec_b64 s[20:21], vcc
	s_xor_b64 s[56:57], exec, s[20:21]
	s_cbranch_execz .LBB2_4434
; %bb.4425:                             ;   in Loop: Header=BB2_3948 Depth=2
	v_and_b32_e32 v22, 0x7fffffff, v10
	v_mov_b32_e32 v23, v37
	v_cmp_gt_u64_e32 vcc, s[40:41], v[22:23]
	s_and_saveexec_b64 s[58:59], vcc
	s_cbranch_execz .LBB2_4433
; %bb.4426:                             ;   in Loop: Header=BB2_3948 Depth=2
	v_cmp_ne_u32_e32 vcc, 0, v10
	v_mov_b32_e32 v24, 0
	s_and_saveexec_b64 s[60:61], vcc
	s_cbranch_execz .LBB2_4432
; %bb.4427:                             ;   in Loop: Header=BB2_3948 Depth=2
	v_bfe_u32 v10, v10, 23, 8
	v_sub_u32_e32 v22, 0x79, v10
	v_cmp_gt_u32_e32 vcc, s71, v10
	v_add_u32_e32 v11, 0xffffff81, v10
	v_cndmask_b32_e32 v22, 0, v22, vcc
	v_cmp_eq_u32_e32 vcc, 0, v10
	v_mov_b32_e32 v10, 0xffffff82
	v_cndmask_b32_e32 v24, v11, v10, vcc
	v_mov_b32_e32 v10, 0x78
	v_or_b32_e32 v23, 0x800000, v36
	v_cndmask_b32_e32 v33, v22, v10, vcc
	v_cndmask_b32_e32 v36, v23, v36, vcc
	v_add_u32_e32 v10, 20, v33
	v_lshlrev_b64 v[10:11], v10, -1
	v_lshrrev_b64 v[38:39], v33, v[36:37]
	v_not_b32_e32 v11, v11
	v_not_b32_e32 v10, v10
	v_add_u32_e32 v22, 19, v33
	v_lshrrev_b32_e32 v34, 23, v38
	v_and_b32_e32 v11, 0, v11
	v_and_b32_e32 v10, v36, v10
	v_lshlrev_b64 v[22:23], v22, 1
	v_add3_u32 v34, v33, v24, v34
	v_bfe_u32 v24, v38, 20, 1
	v_add_u32_e32 v24, -1, v24
	v_cmp_eq_u64_e32 vcc, v[10:11], v[22:23]
	v_cndmask_b32_e32 v10, 0, v24, vcc
	v_add_u32_e32 v10, v10, v38
	v_and_b32_e32 v10, 0xfffff, v10
	v_add_co_u32_e32 v10, vcc, v10, v38
	v_add_u32_e32 v33, 6, v34
	v_addc_co_u32_e32 v11, vcc, 0, v39, vcc
	v_cmp_ne_u32_e32 vcc, 0, v33
                                        ; implicit-def: $vgpr24
	s_and_saveexec_b64 s[20:21], vcc
	s_xor_b64 s[20:21], exec, s[20:21]
; %bb.4428:                             ;   in Loop: Header=BB2_3948 Depth=2
	v_add_u32_e32 v22, 7, v34
	v_cmp_lt_u64_e32 vcc, s[44:45], v[10:11]
	v_cndmask_b32_e32 v24, v33, v22, vcc
	v_cndmask_b32_e64 v22, 0, 1, vcc
	v_lshrrev_b64 v[10:11], v22, v[10:11]
; %bb.4429:                             ;   in Loop: Header=BB2_3948 Depth=2
	s_andn2_saveexec_b64 s[20:21], s[20:21]
; %bb.4430:                             ;   in Loop: Header=BB2_3948 Depth=2
	v_bfe_u32 v24, v10, 23, 1
; %bb.4431:                             ;   in Loop: Header=BB2_3948 Depth=2
	s_or_b64 exec, exec, s[20:21]
	v_lshrrev_b64 v[10:11], 20, v[10:11]
	v_cmp_gt_i32_e32 vcc, 16, v24
	v_cndmask_b32_e32 v11, 0, v11, vcc
	v_cndmask_b32_e32 v10, 7, v10, vcc
	v_cmp_eq_u64_e64 s[20:21], 0, v[10:11]
	v_min_i32_e32 v11, 15, v24
	v_lshlrev_b32_e32 v11, 3, v11
	v_cmp_eq_u32_e32 vcc, 0, v24
	v_and_b32_e32 v11, 0xf8, v11
	v_and_or_b32 v10, v10, 7, v11
	s_and_b64 s[20:21], vcc, s[20:21]
	v_cndmask_b32_e64 v10, v10, 0, s[20:21]
	v_or_b32_e32 v24, v10, v3
.LBB2_4432:                             ;   in Loop: Header=BB2_3948 Depth=2
	s_or_b64 exec, exec, s[60:61]
.LBB2_4433:                             ;   in Loop: Header=BB2_3948 Depth=2
	s_or_b64 exec, exec, s[58:59]
                                        ; implicit-def: $vgpr10
.LBB2_4434:                             ;   in Loop: Header=BB2_3948 Depth=2
	s_andn2_saveexec_b64 s[20:21], s[56:57]
; %bb.4435:                             ;   in Loop: Header=BB2_3948 Depth=2
	v_or_b32_sdwa v3, v10, s68 dst_sel:DWORD dst_unused:UNUSED_PAD src0_sel:BYTE_3 src1_sel:DWORD
	v_cmp_eq_u64_e32 vcc, 0, v[36:37]
	v_cndmask_b32_e32 v24, v3, v24, vcc
; %bb.4436:                             ;   in Loop: Header=BB2_3948 Depth=2
	s_or_b64 exec, exec, s[20:21]
	v_lshlrev_b32_e32 v3, 8, v25
	v_cmp_ne_u16_sdwa vcc, v8, v37 src0_sel:BYTE_0 src1_sel:DWORD
	v_mov_b32_e32 v10, 0
	v_mov_b32_e32 v11, 0
	s_and_saveexec_b64 s[20:21], vcc
	s_cbranch_execz .LBB2_4442
; %bb.4437:                             ;   in Loop: Header=BB2_3948 Depth=2
	v_cmp_ne_u16_sdwa vcc, v8, s69 src0_sel:BYTE_0 src1_sel:DWORD
	v_bfrev_b32_e32 v11, 1
	s_and_saveexec_b64 s[56:57], vcc
	s_cbranch_execz .LBB2_4441
; %bb.4438:                             ;   in Loop: Header=BB2_3948 Depth=2
	v_and_b32_e32 v25, 0x7f, v8
	v_cmp_ne_u32_e32 vcc, s68, v25
	v_mov_b32_e32 v11, 0x7f800001
	s_and_saveexec_b64 s[58:59], vcc
	s_cbranch_execz .LBB2_4440
; %bb.4439:                             ;   in Loop: Header=BB2_3948 Depth=2
	v_and_b32_e32 v11, 7, v8
	v_ffbh_u32_e32 v11, v11
	v_min_u32_e32 v11, 32, v11
	v_lshrrev_b32_e32 v23, 3, v25
	v_subrev_u32_e32 v33, 28, v11
	v_sub_u32_e32 v11, 29, v11
	v_cmp_gt_u32_e32 vcc, 8, v25
	v_perm_b32 v22, v3, v8, s72
	v_cndmask_b32_e32 v11, v23, v11, vcc
	v_cndmask_b32_e32 v23, 0, v33, vcc
	v_lshlrev_b64 v[22:23], v23, v[22:23]
	v_lshlrev_b32_e32 v22, 20, v22
	v_lshlrev_b32_e32 v8, 24, v8
	v_bfrev_b32_e32 v23, 60
	v_and_b32_e32 v22, 0x700000, v22
	v_and_b32_e32 v8, 0x80000000, v8
	v_lshl_add_u32 v11, v11, 23, v23
	v_or3_b32 v11, v8, v11, v22
.LBB2_4440:                             ;   in Loop: Header=BB2_3948 Depth=2
	s_or_b64 exec, exec, s[58:59]
.LBB2_4441:                             ;   in Loop: Header=BB2_3948 Depth=2
	s_or_b64 exec, exec, s[56:57]
.LBB2_4442:                             ;   in Loop: Header=BB2_3948 Depth=2
	s_or_b64 exec, exec, s[20:21]
	v_cmp_ne_u16_sdwa vcc, v12, v37 src0_sel:BYTE_0 src1_sel:DWORD
	s_and_saveexec_b64 s[20:21], vcc
	s_cbranch_execz .LBB2_4448
; %bb.4443:                             ;   in Loop: Header=BB2_3948 Depth=2
	v_cmp_ne_u16_sdwa vcc, v12, s69 src0_sel:BYTE_0 src1_sel:DWORD
	v_bfrev_b32_e32 v10, 1
	s_and_saveexec_b64 s[56:57], vcc
	s_cbranch_execz .LBB2_4447
; %bb.4444:                             ;   in Loop: Header=BB2_3948 Depth=2
	v_and_b32_e32 v8, 0x7f, v12
	v_cmp_ne_u32_e32 vcc, s68, v8
	v_mov_b32_e32 v10, 0x7f800001
	s_and_saveexec_b64 s[58:59], vcc
	s_cbranch_execz .LBB2_4446
; %bb.4445:                             ;   in Loop: Header=BB2_3948 Depth=2
	v_and_b32_e32 v10, 7, v12
	v_ffbh_u32_e32 v10, v10
	v_min_u32_e32 v10, 32, v10
	v_lshrrev_b32_e32 v22, 3, v8
	v_subrev_u32_e32 v23, 28, v10
	v_sub_u32_e32 v10, 29, v10
	v_cmp_gt_u32_e32 vcc, 8, v8
	v_cndmask_b32_e32 v8, v22, v10, vcc
	v_cndmask_b32_e32 v10, 0, v23, vcc
	v_lshlrev_b64 v[22:23], v10, v[12:13]
	v_lshlrev_b32_e32 v10, 20, v22
	v_lshlrev_b32_e32 v22, 24, v12
	v_bfrev_b32_e32 v23, 60
	v_and_b32_e32 v10, 0x700000, v10
	v_and_b32_e32 v22, 0x80000000, v22
	v_lshl_add_u32 v8, v8, 23, v23
	v_or3_b32 v10, v22, v8, v10
.LBB2_4446:                             ;   in Loop: Header=BB2_3948 Depth=2
	s_or_b64 exec, exec, s[58:59]
.LBB2_4447:                             ;   in Loop: Header=BB2_3948 Depth=2
	s_or_b64 exec, exec, s[56:57]
.LBB2_4448:                             ;   in Loop: Header=BB2_3948 Depth=2
	s_or_b64 exec, exec, s[20:21]
	v_add_f32_e32 v10, v11, v10
	v_and_b32_sdwa v25, v10, s69 dst_sel:DWORD dst_unused:UNUSED_PAD src0_sel:BYTE_3 src1_sel:DWORD
	v_and_b32_e32 v22, 0x7f800000, v10
	v_mov_b32_e32 v23, v37
	v_and_b32_e32 v36, 0x7fffff, v10
	v_or_b32_e32 v8, 0x7e, v25
	v_cmp_ne_u64_e32 vcc, s[38:39], v[22:23]
	s_and_saveexec_b64 s[20:21], vcc
	s_xor_b64 s[56:57], exec, s[20:21]
	s_cbranch_execz .LBB2_4458
; %bb.4449:                             ;   in Loop: Header=BB2_3948 Depth=2
	v_and_b32_e32 v22, 0x7fffffff, v10
	v_mov_b32_e32 v23, v37
	v_cmp_gt_u64_e32 vcc, s[40:41], v[22:23]
	s_and_saveexec_b64 s[58:59], vcc
	s_cbranch_execz .LBB2_4457
; %bb.4450:                             ;   in Loop: Header=BB2_3948 Depth=2
	v_cmp_ne_u32_e32 vcc, 0, v10
	v_mov_b32_e32 v8, 0
	s_and_saveexec_b64 s[60:61], vcc
	s_cbranch_execz .LBB2_4456
; %bb.4451:                             ;   in Loop: Header=BB2_3948 Depth=2
	v_bfe_u32 v8, v10, 23, 8
	v_sub_u32_e32 v11, 0x79, v8
	v_cmp_gt_u32_e32 vcc, s71, v8
	v_add_u32_e32 v10, 0xffffff81, v8
	v_cndmask_b32_e32 v11, 0, v11, vcc
	v_cmp_eq_u32_e32 vcc, 0, v8
	v_mov_b32_e32 v8, 0xffffff82
	v_cndmask_b32_e32 v8, v10, v8, vcc
	v_mov_b32_e32 v10, 0x78
	v_or_b32_e32 v22, 0x800000, v36
	v_cndmask_b32_e32 v33, v11, v10, vcc
	v_cndmask_b32_e32 v36, v22, v36, vcc
	v_add_u32_e32 v10, 20, v33
	v_lshlrev_b64 v[10:11], v10, -1
	v_lshrrev_b64 v[38:39], v33, v[36:37]
	v_not_b32_e32 v11, v11
	v_not_b32_e32 v10, v10
	v_add_u32_e32 v22, 19, v33
	v_lshrrev_b32_e32 v34, 23, v38
	v_and_b32_e32 v11, 0, v11
	v_and_b32_e32 v10, v36, v10
	v_lshlrev_b64 v[22:23], v22, 1
	v_add3_u32 v34, v33, v8, v34
	v_bfe_u32 v8, v38, 20, 1
	v_add_u32_e32 v8, -1, v8
	v_cmp_eq_u64_e32 vcc, v[10:11], v[22:23]
	v_cndmask_b32_e32 v8, 0, v8, vcc
	v_add_u32_e32 v8, v8, v38
	v_and_b32_e32 v8, 0xfffff, v8
	v_add_co_u32_e32 v10, vcc, v8, v38
	v_add_u32_e32 v33, 6, v34
	v_addc_co_u32_e32 v11, vcc, 0, v39, vcc
	v_cmp_ne_u32_e32 vcc, 0, v33
                                        ; implicit-def: $vgpr8
	s_and_saveexec_b64 s[20:21], vcc
	s_xor_b64 s[20:21], exec, s[20:21]
; %bb.4452:                             ;   in Loop: Header=BB2_3948 Depth=2
	v_cmp_lt_u64_e32 vcc, s[44:45], v[10:11]
	v_add_u32_e32 v8, 7, v34
	v_cndmask_b32_e64 v22, 0, 1, vcc
	v_cndmask_b32_e32 v8, v33, v8, vcc
	v_lshrrev_b64 v[10:11], v22, v[10:11]
; %bb.4453:                             ;   in Loop: Header=BB2_3948 Depth=2
	s_andn2_saveexec_b64 s[20:21], s[20:21]
; %bb.4454:                             ;   in Loop: Header=BB2_3948 Depth=2
	v_bfe_u32 v8, v10, 23, 1
; %bb.4455:                             ;   in Loop: Header=BB2_3948 Depth=2
	s_or_b64 exec, exec, s[20:21]
	v_lshrrev_b64 v[10:11], 20, v[10:11]
	v_cmp_gt_i32_e32 vcc, 16, v8
	v_cndmask_b32_e32 v11, 0, v11, vcc
	v_cndmask_b32_e32 v10, 7, v10, vcc
	v_cmp_eq_u32_e32 vcc, 0, v8
	v_min_i32_e32 v8, 15, v8
	v_cmp_eq_u64_e64 s[20:21], 0, v[10:11]
	v_lshlrev_b32_e32 v8, 3, v8
	v_and_or_b32 v8, v10, 7, v8
	s_and_b64 s[20:21], vcc, s[20:21]
	v_cndmask_b32_e64 v8, v8, 0, s[20:21]
	v_or_b32_e32 v8, v8, v25
.LBB2_4456:                             ;   in Loop: Header=BB2_3948 Depth=2
	s_or_b64 exec, exec, s[60:61]
.LBB2_4457:                             ;   in Loop: Header=BB2_3948 Depth=2
	s_or_b64 exec, exec, s[58:59]
                                        ; implicit-def: $vgpr10
.LBB2_4458:                             ;   in Loop: Header=BB2_3948 Depth=2
	s_andn2_saveexec_b64 s[20:21], s[56:57]
; %bb.4459:                             ;   in Loop: Header=BB2_3948 Depth=2
	v_or_b32_sdwa v10, v10, s68 dst_sel:DWORD dst_unused:UNUSED_PAD src0_sel:BYTE_3 src1_sel:DWORD
	v_cmp_eq_u64_e32 vcc, 0, v[36:37]
	v_cndmask_b32_e32 v8, v10, v8, vcc
; %bb.4460:                             ;   in Loop: Header=BB2_3948 Depth=2
	s_or_b64 exec, exec, s[20:21]
	v_lshrrev_b16_e32 v10, 8, v3
	v_cmp_ne_u16_e32 vcc, 0, v10
	v_mov_b32_e32 v11, 0
	v_mov_b32_e32 v25, 0
	s_and_saveexec_b64 s[20:21], vcc
	s_cbranch_execz .LBB2_4466
; %bb.4461:                             ;   in Loop: Header=BB2_3948 Depth=2
	v_cmp_ne_u16_e32 vcc, s69, v10
	v_bfrev_b32_e32 v25, 1
	s_and_saveexec_b64 s[56:57], vcc
	s_cbranch_execz .LBB2_4465
; %bb.4462:                             ;   in Loop: Header=BB2_3948 Depth=2
	v_and_b32_e32 v33, 0x7f, v10
	v_cmp_ne_u32_e32 vcc, s68, v33
	v_mov_b32_e32 v25, 0x7f800001
	s_and_saveexec_b64 s[58:59], vcc
	s_cbranch_execz .LBB2_4464
; %bb.4463:                             ;   in Loop: Header=BB2_3948 Depth=2
	v_and_b32_e32 v25, 7, v10
	v_ffbh_u32_e32 v22, v25
	v_min_u32_e32 v35, 32, v22
	v_subrev_u32_e32 v22, 28, v35
	v_lshlrev_b64 v[22:23], v22, v[10:11]
	v_lshrrev_b32_e32 v34, 3, v33
	v_sub_u32_e32 v10, 29, v35
	v_and_b32_e32 v22, 7, v22
	v_cmp_gt_u32_e32 vcc, 8, v33
	v_cndmask_b32_e32 v10, v34, v10, vcc
	v_cndmask_b32_e32 v22, v25, v22, vcc
	v_lshlrev_b32_e32 v3, 16, v3
	v_bfrev_b32_e32 v23, 60
	v_lshlrev_b32_e32 v22, 20, v22
	v_and_b32_e32 v3, 0x80000000, v3
	v_lshl_add_u32 v10, v10, 23, v23
	v_or3_b32 v25, v3, v10, v22
.LBB2_4464:                             ;   in Loop: Header=BB2_3948 Depth=2
	s_or_b64 exec, exec, s[58:59]
.LBB2_4465:                             ;   in Loop: Header=BB2_3948 Depth=2
	s_or_b64 exec, exec, s[56:57]
.LBB2_4466:                             ;   in Loop: Header=BB2_3948 Depth=2
	s_or_b64 exec, exec, s[20:21]
	v_lshrrev_b16_e32 v10, 8, v12
	v_cmp_ne_u16_e32 vcc, 0, v10
	s_and_saveexec_b64 s[20:21], vcc
	s_cbranch_execz .LBB2_4472
; %bb.4467:                             ;   in Loop: Header=BB2_3948 Depth=2
	v_cmp_ne_u16_e32 vcc, s69, v10
	v_bfrev_b32_e32 v11, 1
	s_and_saveexec_b64 s[56:57], vcc
	s_cbranch_execz .LBB2_4471
; %bb.4468:                             ;   in Loop: Header=BB2_3948 Depth=2
	v_and_b32_e32 v3, 0x7f, v10
	v_cmp_ne_u32_e32 vcc, s68, v3
	v_mov_b32_e32 v11, 0x7f800001
	s_and_saveexec_b64 s[58:59], vcc
	s_cbranch_execz .LBB2_4470
; %bb.4469:                             ;   in Loop: Header=BB2_3948 Depth=2
	v_and_b32_e32 v22, 7, v10
	v_ffbh_u32_e32 v11, v22
	v_min_u32_e32 v33, 32, v11
	v_subrev_u32_e32 v11, 28, v33
	v_lshlrev_b64 v[10:11], v11, v[10:11]
	v_lshrrev_b32_e32 v23, 3, v3
	v_sub_u32_e32 v11, 29, v33
	v_and_b32_e32 v10, 7, v10
	v_cmp_gt_u32_e32 vcc, 8, v3
	v_cndmask_b32_e32 v3, v23, v11, vcc
	v_cndmask_b32_e32 v10, v22, v10, vcc
	v_lshlrev_b32_e32 v11, 16, v12
	v_bfrev_b32_e32 v22, 60
	v_lshlrev_b32_e32 v10, 20, v10
	v_and_b32_e32 v11, 0x80000000, v11
	v_lshl_add_u32 v3, v3, 23, v22
	v_or3_b32 v11, v11, v3, v10
.LBB2_4470:                             ;   in Loop: Header=BB2_3948 Depth=2
	s_or_b64 exec, exec, s[58:59]
.LBB2_4471:                             ;   in Loop: Header=BB2_3948 Depth=2
	s_or_b64 exec, exec, s[56:57]
.LBB2_4472:                             ;   in Loop: Header=BB2_3948 Depth=2
	s_or_b64 exec, exec, s[20:21]
	v_add_f32_e32 v10, v25, v11
	v_and_b32_sdwa v3, v10, s69 dst_sel:DWORD dst_unused:UNUSED_PAD src0_sel:BYTE_3 src1_sel:DWORD
	v_and_b32_e32 v22, 0x7f800000, v10
	v_mov_b32_e32 v23, v37
	v_and_b32_e32 v36, 0x7fffff, v10
	v_or_b32_e32 v11, 0x7e, v3
	v_cmp_ne_u64_e32 vcc, s[38:39], v[22:23]
	s_and_saveexec_b64 s[20:21], vcc
	s_xor_b64 s[56:57], exec, s[20:21]
	s_cbranch_execz .LBB2_4482
; %bb.4473:                             ;   in Loop: Header=BB2_3948 Depth=2
	v_and_b32_e32 v22, 0x7fffffff, v10
	v_mov_b32_e32 v23, v37
	v_cmp_gt_u64_e32 vcc, s[40:41], v[22:23]
	s_and_saveexec_b64 s[58:59], vcc
	s_cbranch_execz .LBB2_4481
; %bb.4474:                             ;   in Loop: Header=BB2_3948 Depth=2
	v_cmp_ne_u32_e32 vcc, 0, v10
	v_mov_b32_e32 v11, 0
	s_and_saveexec_b64 s[60:61], vcc
	s_cbranch_execz .LBB2_4480
; %bb.4475:                             ;   in Loop: Header=BB2_3948 Depth=2
	v_bfe_u32 v10, v10, 23, 8
	v_sub_u32_e32 v22, 0x79, v10
	v_cmp_gt_u32_e32 vcc, s71, v10
	v_add_u32_e32 v11, 0xffffff81, v10
	v_cndmask_b32_e32 v22, 0, v22, vcc
	v_cmp_eq_u32_e32 vcc, 0, v10
	v_mov_b32_e32 v10, 0xffffff82
	v_cndmask_b32_e32 v25, v11, v10, vcc
	v_mov_b32_e32 v10, 0x78
	v_or_b32_e32 v23, 0x800000, v36
	v_cndmask_b32_e32 v33, v22, v10, vcc
	v_cndmask_b32_e32 v36, v23, v36, vcc
	v_add_u32_e32 v10, 20, v33
	v_lshlrev_b64 v[10:11], v10, -1
	v_lshrrev_b64 v[38:39], v33, v[36:37]
	v_not_b32_e32 v11, v11
	v_not_b32_e32 v10, v10
	v_add_u32_e32 v22, 19, v33
	v_lshrrev_b32_e32 v34, 23, v38
	v_and_b32_e32 v11, 0, v11
	v_and_b32_e32 v10, v36, v10
	v_lshlrev_b64 v[22:23], v22, 1
	v_add3_u32 v34, v33, v25, v34
	v_bfe_u32 v25, v38, 20, 1
	v_add_u32_e32 v25, -1, v25
	v_cmp_eq_u64_e32 vcc, v[10:11], v[22:23]
	v_cndmask_b32_e32 v10, 0, v25, vcc
	v_add_u32_e32 v10, v10, v38
	v_and_b32_e32 v10, 0xfffff, v10
	v_add_co_u32_e32 v10, vcc, v10, v38
	v_add_u32_e32 v33, 6, v34
	v_addc_co_u32_e32 v11, vcc, 0, v39, vcc
	v_cmp_ne_u32_e32 vcc, 0, v33
                                        ; implicit-def: $vgpr25
	s_and_saveexec_b64 s[20:21], vcc
	s_xor_b64 s[20:21], exec, s[20:21]
; %bb.4476:                             ;   in Loop: Header=BB2_3948 Depth=2
	v_add_u32_e32 v22, 7, v34
	v_cmp_lt_u64_e32 vcc, s[44:45], v[10:11]
	v_cndmask_b32_e32 v25, v33, v22, vcc
	v_cndmask_b32_e64 v22, 0, 1, vcc
	v_lshrrev_b64 v[10:11], v22, v[10:11]
; %bb.4477:                             ;   in Loop: Header=BB2_3948 Depth=2
	s_andn2_saveexec_b64 s[20:21], s[20:21]
; %bb.4478:                             ;   in Loop: Header=BB2_3948 Depth=2
	v_bfe_u32 v25, v10, 23, 1
; %bb.4479:                             ;   in Loop: Header=BB2_3948 Depth=2
	s_or_b64 exec, exec, s[20:21]
	v_lshrrev_b64 v[10:11], 20, v[10:11]
	v_cmp_gt_i32_e32 vcc, 16, v25
	v_cndmask_b32_e32 v11, 0, v11, vcc
	v_cndmask_b32_e32 v10, 7, v10, vcc
	v_cmp_eq_u64_e64 s[20:21], 0, v[10:11]
	v_min_i32_e32 v11, 15, v25
	v_cmp_eq_u32_e32 vcc, 0, v25
	v_lshlrev_b32_e32 v11, 3, v11
	v_and_or_b32 v10, v10, 7, v11
	s_and_b64 s[20:21], vcc, s[20:21]
	v_cndmask_b32_e64 v10, v10, 0, s[20:21]
	v_or_b32_e32 v11, v10, v3
.LBB2_4480:                             ;   in Loop: Header=BB2_3948 Depth=2
	s_or_b64 exec, exec, s[60:61]
.LBB2_4481:                             ;   in Loop: Header=BB2_3948 Depth=2
	s_or_b64 exec, exec, s[58:59]
                                        ; implicit-def: $vgpr10
.LBB2_4482:                             ;   in Loop: Header=BB2_3948 Depth=2
	s_andn2_saveexec_b64 s[20:21], s[56:57]
; %bb.4483:                             ;   in Loop: Header=BB2_3948 Depth=2
	v_or_b32_sdwa v3, v10, s68 dst_sel:DWORD dst_unused:UNUSED_PAD src0_sel:BYTE_3 src1_sel:DWORD
	v_cmp_eq_u64_e32 vcc, 0, v[36:37]
	v_cndmask_b32_e32 v11, v3, v11, vcc
; %bb.4484:                             ;   in Loop: Header=BB2_3948 Depth=2
	s_or_b64 exec, exec, s[20:21]
	v_cmp_ne_u16_sdwa vcc, v2, v37 src0_sel:BYTE_0 src1_sel:DWORD
	v_mov_b32_e32 v3, 0
	v_mov_b32_e32 v10, 0
	s_and_saveexec_b64 s[20:21], vcc
	s_cbranch_execz .LBB2_4490
; %bb.4485:                             ;   in Loop: Header=BB2_3948 Depth=2
	v_cmp_ne_u16_sdwa vcc, v2, s69 src0_sel:BYTE_0 src1_sel:DWORD
	v_bfrev_b32_e32 v10, 1
	s_and_saveexec_b64 s[56:57], vcc
	s_cbranch_execz .LBB2_4489
; %bb.4486:                             ;   in Loop: Header=BB2_3948 Depth=2
	v_and_b32_e32 v25, 0x7f, v2
	v_cmp_ne_u32_e32 vcc, s68, v25
	v_mov_b32_e32 v10, 0x7f800001
	s_and_saveexec_b64 s[58:59], vcc
	s_cbranch_execz .LBB2_4488
; %bb.4487:                             ;   in Loop: Header=BB2_3948 Depth=2
	v_and_b32_e32 v10, 7, v2
	v_ffbh_u32_e32 v22, v10
	v_min_u32_e32 v34, 32, v22
	v_subrev_u32_e32 v22, 28, v34
	v_lshlrev_b64 v[22:23], v22, v[2:3]
	v_lshrrev_b32_e32 v33, 3, v25
	v_sub_u32_e32 v23, 29, v34
	v_and_b32_e32 v22, 7, v22
	v_cmp_gt_u32_e32 vcc, 8, v25
	v_cndmask_b32_e32 v23, v33, v23, vcc
	v_cndmask_b32_e32 v10, v10, v22, vcc
	v_lshlrev_b32_e32 v2, 24, v2
	v_bfrev_b32_e32 v22, 60
	v_lshlrev_b32_e32 v10, 20, v10
	v_and_b32_e32 v2, 0x80000000, v2
	v_lshl_add_u32 v22, v23, 23, v22
	v_or3_b32 v10, v2, v22, v10
.LBB2_4488:                             ;   in Loop: Header=BB2_3948 Depth=2
	s_or_b64 exec, exec, s[58:59]
.LBB2_4489:                             ;   in Loop: Header=BB2_3948 Depth=2
	s_or_b64 exec, exec, s[56:57]
.LBB2_4490:                             ;   in Loop: Header=BB2_3948 Depth=2
	s_or_b64 exec, exec, s[20:21]
	v_lshrrev_b32_e32 v2, 16, v12
	v_cmp_ne_u16_sdwa vcc, v2, v37 src0_sel:BYTE_0 src1_sel:DWORD
	s_and_saveexec_b64 s[20:21], vcc
	s_cbranch_execz .LBB2_4496
; %bb.4491:                             ;   in Loop: Header=BB2_3948 Depth=2
	v_cmp_ne_u16_sdwa vcc, v2, s69 src0_sel:BYTE_0 src1_sel:DWORD
	v_bfrev_b32_e32 v3, 1
	s_and_saveexec_b64 s[56:57], vcc
	s_cbranch_execz .LBB2_4495
; %bb.4492:                             ;   in Loop: Header=BB2_3948 Depth=2
	v_bfe_u32 v25, v12, 16, 7
	v_cmp_ne_u32_e32 vcc, s68, v25
	v_mov_b32_e32 v3, 0x7f800001
	s_and_saveexec_b64 s[58:59], vcc
	s_cbranch_execz .LBB2_4494
; %bb.4493:                             ;   in Loop: Header=BB2_3948 Depth=2
	v_and_b32_e32 v22, 7, v2
	v_ffbh_u32_e32 v3, v22
	v_min_u32_e32 v33, 32, v3
	v_subrev_u32_e32 v3, 28, v33
	v_lshlrev_b64 v[2:3], v3, v[2:3]
	v_lshrrev_b32_e32 v23, 3, v25
	v_sub_u32_e32 v3, 29, v33
	v_and_b32_e32 v2, 7, v2
	v_cmp_gt_u32_e32 vcc, 8, v25
	v_cndmask_b32_e32 v3, v23, v3, vcc
	v_cndmask_b32_e32 v2, v22, v2, vcc
	v_lshlrev_b32_e32 v22, 8, v12
	v_bfrev_b32_e32 v23, 60
	v_lshlrev_b32_e32 v2, 20, v2
	v_and_b32_e32 v22, 0x80000000, v22
	v_lshl_add_u32 v3, v3, 23, v23
	v_or3_b32 v3, v22, v3, v2
.LBB2_4494:                             ;   in Loop: Header=BB2_3948 Depth=2
	s_or_b64 exec, exec, s[58:59]
.LBB2_4495:                             ;   in Loop: Header=BB2_3948 Depth=2
	s_or_b64 exec, exec, s[56:57]
.LBB2_4496:                             ;   in Loop: Header=BB2_3948 Depth=2
	s_or_b64 exec, exec, s[20:21]
	v_add_f32_e32 v2, v10, v3
	v_and_b32_sdwa v10, v2, s69 dst_sel:DWORD dst_unused:UNUSED_PAD src0_sel:BYTE_3 src1_sel:DWORD
	v_and_b32_e32 v22, 0x7f800000, v2
	v_mov_b32_e32 v23, v37
	v_and_b32_e32 v36, 0x7fffff, v2
	v_or_b32_e32 v25, 0x7e, v10
	v_cmp_ne_u64_e32 vcc, s[38:39], v[22:23]
	s_and_saveexec_b64 s[20:21], vcc
	s_xor_b64 s[56:57], exec, s[20:21]
	s_cbranch_execz .LBB2_4506
; %bb.4497:                             ;   in Loop: Header=BB2_3948 Depth=2
	v_and_b32_e32 v22, 0x7fffffff, v2
	v_mov_b32_e32 v23, v37
	v_cmp_gt_u64_e32 vcc, s[40:41], v[22:23]
	s_and_saveexec_b64 s[58:59], vcc
	s_cbranch_execz .LBB2_4505
; %bb.4498:                             ;   in Loop: Header=BB2_3948 Depth=2
	v_cmp_ne_u32_e32 vcc, 0, v2
	v_mov_b32_e32 v25, 0
	s_and_saveexec_b64 s[60:61], vcc
	s_cbranch_execz .LBB2_4504
; %bb.4499:                             ;   in Loop: Header=BB2_3948 Depth=2
	v_bfe_u32 v2, v2, 23, 8
	v_sub_u32_e32 v22, 0x79, v2
	v_cmp_gt_u32_e32 vcc, s71, v2
	v_add_u32_e32 v3, 0xffffff81, v2
	v_cndmask_b32_e32 v22, 0, v22, vcc
	v_cmp_eq_u32_e32 vcc, 0, v2
	v_mov_b32_e32 v2, 0xffffff82
	v_cndmask_b32_e32 v25, v3, v2, vcc
	v_mov_b32_e32 v2, 0x78
	v_or_b32_e32 v23, 0x800000, v36
	v_cndmask_b32_e32 v33, v22, v2, vcc
	v_cndmask_b32_e32 v36, v23, v36, vcc
	v_add_u32_e32 v2, 20, v33
	v_lshlrev_b64 v[2:3], v2, -1
	v_lshrrev_b64 v[38:39], v33, v[36:37]
	v_not_b32_e32 v3, v3
	v_not_b32_e32 v2, v2
	v_add_u32_e32 v22, 19, v33
	v_lshrrev_b32_e32 v34, 23, v38
	v_and_b32_e32 v3, 0, v3
	v_and_b32_e32 v2, v36, v2
	v_lshlrev_b64 v[22:23], v22, 1
	v_add3_u32 v34, v33, v25, v34
	v_bfe_u32 v25, v38, 20, 1
	v_add_u32_e32 v25, -1, v25
	v_cmp_eq_u64_e32 vcc, v[2:3], v[22:23]
	v_cndmask_b32_e32 v2, 0, v25, vcc
	v_add_u32_e32 v2, v2, v38
	v_and_b32_e32 v2, 0xfffff, v2
	v_add_co_u32_e32 v2, vcc, v2, v38
	v_add_u32_e32 v33, 6, v34
	v_addc_co_u32_e32 v3, vcc, 0, v39, vcc
	v_cmp_ne_u32_e32 vcc, 0, v33
                                        ; implicit-def: $vgpr25
	s_and_saveexec_b64 s[20:21], vcc
	s_xor_b64 s[20:21], exec, s[20:21]
; %bb.4500:                             ;   in Loop: Header=BB2_3948 Depth=2
	v_add_u32_e32 v22, 7, v34
	v_cmp_lt_u64_e32 vcc, s[44:45], v[2:3]
	v_cndmask_b32_e32 v25, v33, v22, vcc
	v_cndmask_b32_e64 v22, 0, 1, vcc
	v_lshrrev_b64 v[2:3], v22, v[2:3]
; %bb.4501:                             ;   in Loop: Header=BB2_3948 Depth=2
	s_andn2_saveexec_b64 s[20:21], s[20:21]
; %bb.4502:                             ;   in Loop: Header=BB2_3948 Depth=2
	v_bfe_u32 v25, v2, 23, 1
; %bb.4503:                             ;   in Loop: Header=BB2_3948 Depth=2
	s_or_b64 exec, exec, s[20:21]
	v_lshrrev_b64 v[2:3], 20, v[2:3]
	v_cmp_gt_i32_e32 vcc, 16, v25
	v_cndmask_b32_e32 v3, 0, v3, vcc
	v_cndmask_b32_e32 v2, 7, v2, vcc
	v_cmp_eq_u64_e64 s[20:21], 0, v[2:3]
	v_min_i32_e32 v3, 15, v25
	v_cmp_eq_u32_e32 vcc, 0, v25
	v_lshlrev_b32_e32 v3, 3, v3
	v_and_or_b32 v2, v2, 7, v3
	s_and_b64 s[20:21], vcc, s[20:21]
	v_cndmask_b32_e64 v2, v2, 0, s[20:21]
	v_or_b32_e32 v25, v2, v10
.LBB2_4504:                             ;   in Loop: Header=BB2_3948 Depth=2
	s_or_b64 exec, exec, s[60:61]
.LBB2_4505:                             ;   in Loop: Header=BB2_3948 Depth=2
	s_or_b64 exec, exec, s[58:59]
                                        ; implicit-def: $vgpr2
.LBB2_4506:                             ;   in Loop: Header=BB2_3948 Depth=2
	s_andn2_saveexec_b64 s[20:21], s[56:57]
; %bb.4507:                             ;   in Loop: Header=BB2_3948 Depth=2
	v_or_b32_sdwa v2, v2, s68 dst_sel:DWORD dst_unused:UNUSED_PAD src0_sel:BYTE_3 src1_sel:DWORD
	v_cmp_eq_u64_e32 vcc, 0, v[36:37]
	v_cndmask_b32_e32 v25, v2, v25, vcc
; %bb.4508:                             ;   in Loop: Header=BB2_3948 Depth=2
	s_or_b64 exec, exec, s[20:21]
	v_lshlrev_b32_e32 v2, 8, v6
	v_and_b32_e32 v2, 0xff00, v2
	v_cmp_ne_u32_e32 vcc, 0, v2
	v_mov_b32_e32 v3, 0
	v_mov_b32_e32 v6, 0
	s_and_saveexec_b64 s[20:21], vcc
	s_cbranch_execz .LBB2_4514
; %bb.4509:                             ;   in Loop: Header=BB2_3948 Depth=2
	v_cmp_ne_u32_e32 vcc, s73, v2
	v_bfrev_b32_e32 v6, 1
	s_and_saveexec_b64 s[56:57], vcc
	s_cbranch_execz .LBB2_4513
; %bb.4510:                             ;   in Loop: Header=BB2_3948 Depth=2
	v_bfe_u32 v10, v2, 8, 7
	v_cmp_ne_u32_e32 vcc, s68, v10
	v_mov_b32_e32 v6, 0x7f800001
	s_and_saveexec_b64 s[58:59], vcc
	s_cbranch_execz .LBB2_4512
; %bb.4511:                             ;   in Loop: Header=BB2_3948 Depth=2
	v_lshrrev_b32_e32 v6, 8, v2
	v_and_b32_e32 v33, 7, v6
	v_ffbh_u32_e32 v22, v33
	v_min_u32_e32 v35, 32, v22
	v_subrev_u32_e32 v22, 28, v35
	v_lshlrev_b64 v[22:23], v22, v[6:7]
	v_lshrrev_b32_e32 v34, 3, v10
	v_sub_u32_e32 v6, 29, v35
	v_and_b32_e32 v22, 7, v22
	v_cmp_gt_u32_e32 vcc, 8, v10
	v_cndmask_b32_e32 v6, v34, v6, vcc
	v_cndmask_b32_e32 v10, v33, v22, vcc
	v_lshlrev_b32_e32 v2, 16, v2
	v_bfrev_b32_e32 v22, 60
	v_lshlrev_b32_e32 v10, 20, v10
	v_and_b32_e32 v2, 0x80000000, v2
	v_lshl_add_u32 v6, v6, 23, v22
	v_or3_b32 v6, v2, v6, v10
.LBB2_4512:                             ;   in Loop: Header=BB2_3948 Depth=2
	s_or_b64 exec, exec, s[58:59]
.LBB2_4513:                             ;   in Loop: Header=BB2_3948 Depth=2
	s_or_b64 exec, exec, s[56:57]
.LBB2_4514:                             ;   in Loop: Header=BB2_3948 Depth=2
	s_or_b64 exec, exec, s[20:21]
	v_cmp_lt_u32_e32 vcc, s43, v12
	s_and_saveexec_b64 s[20:21], vcc
	s_cbranch_execz .LBB2_4520
; %bb.4515:                             ;   in Loop: Header=BB2_3948 Depth=2
	v_lshrrev_b32_e32 v2, 24, v12
	v_cmp_ne_u32_e32 vcc, s69, v2
	v_bfrev_b32_e32 v3, 1
	s_and_saveexec_b64 s[56:57], vcc
	s_cbranch_execz .LBB2_4519
; %bb.4516:                             ;   in Loop: Header=BB2_3948 Depth=2
	v_bfe_u32 v10, v12, 24, 7
	v_cmp_ne_u32_e32 vcc, s68, v10
	v_mov_b32_e32 v3, 0x7f800001
	s_and_saveexec_b64 s[58:59], vcc
	s_cbranch_execz .LBB2_4518
; %bb.4517:                             ;   in Loop: Header=BB2_3948 Depth=2
	v_and_b32_e32 v3, 7, v2
	v_ffbh_u32_e32 v22, v3
	v_min_u32_e32 v34, 32, v22
	v_subrev_u32_e32 v22, 28, v34
	v_lshlrev_b64 v[22:23], v22, v[2:3]
	v_lshrrev_b32_e32 v33, 3, v10
	v_sub_u32_e32 v23, 29, v34
	v_and_b32_e32 v22, 7, v22
	v_cmp_gt_u32_e32 vcc, 8, v10
	v_cndmask_b32_e32 v10, v33, v23, vcc
	v_cndmask_b32_e32 v3, v3, v22, vcc
	v_lshlrev_b32_e32 v2, 24, v2
	v_bfrev_b32_e32 v22, 60
	v_lshlrev_b32_e32 v3, 20, v3
	v_and_b32_e32 v2, 0x80000000, v2
	v_lshl_add_u32 v10, v10, 23, v22
	v_or3_b32 v3, v2, v10, v3
.LBB2_4518:                             ;   in Loop: Header=BB2_3948 Depth=2
	s_or_b64 exec, exec, s[58:59]
.LBB2_4519:                             ;   in Loop: Header=BB2_3948 Depth=2
	s_or_b64 exec, exec, s[56:57]
.LBB2_4520:                             ;   in Loop: Header=BB2_3948 Depth=2
	s_or_b64 exec, exec, s[20:21]
	v_add_f32_e32 v2, v6, v3
	v_and_b32_sdwa v10, v2, s69 dst_sel:DWORD dst_unused:UNUSED_PAD src0_sel:BYTE_3 src1_sel:DWORD
	v_and_b32_e32 v22, 0x7f800000, v2
	v_mov_b32_e32 v23, v37
	v_and_b32_e32 v36, 0x7fffff, v2
	v_or_b32_e32 v6, 0x7e, v10
	v_cmp_ne_u64_e32 vcc, s[38:39], v[22:23]
	s_and_saveexec_b64 s[20:21], vcc
	s_xor_b64 s[56:57], exec, s[20:21]
	s_cbranch_execz .LBB2_4530
; %bb.4521:                             ;   in Loop: Header=BB2_3948 Depth=2
	v_and_b32_e32 v22, 0x7fffffff, v2
	v_mov_b32_e32 v23, v37
	v_cmp_gt_u64_e32 vcc, s[40:41], v[22:23]
	s_and_saveexec_b64 s[58:59], vcc
	s_cbranch_execz .LBB2_4529
; %bb.4522:                             ;   in Loop: Header=BB2_3948 Depth=2
	v_cmp_ne_u32_e32 vcc, 0, v2
	v_mov_b32_e32 v6, 0
	s_and_saveexec_b64 s[60:61], vcc
	s_cbranch_execz .LBB2_4528
; %bb.4523:                             ;   in Loop: Header=BB2_3948 Depth=2
	v_bfe_u32 v2, v2, 23, 8
	v_sub_u32_e32 v6, 0x79, v2
	v_cmp_gt_u32_e32 vcc, s71, v2
	v_add_u32_e32 v3, 0xffffff81, v2
	v_cndmask_b32_e32 v6, 0, v6, vcc
	v_cmp_eq_u32_e32 vcc, 0, v2
	v_mov_b32_e32 v2, 0xffffff82
	v_cndmask_b32_e32 v33, v3, v2, vcc
	v_mov_b32_e32 v2, 0x78
	v_or_b32_e32 v22, 0x800000, v36
	v_cndmask_b32_e32 v6, v6, v2, vcc
	v_cndmask_b32_e32 v36, v22, v36, vcc
	v_add_u32_e32 v2, 20, v6
	v_lshlrev_b64 v[2:3], v2, -1
	v_lshrrev_b64 v[38:39], v6, v[36:37]
	v_not_b32_e32 v3, v3
	v_not_b32_e32 v2, v2
	v_add_u32_e32 v22, 19, v6
	v_lshrrev_b32_e32 v34, 23, v38
	v_and_b32_e32 v3, 0, v3
	v_and_b32_e32 v2, v36, v2
	v_lshlrev_b64 v[22:23], v22, 1
	v_add3_u32 v34, v6, v33, v34
	v_bfe_u32 v6, v38, 20, 1
	v_add_u32_e32 v6, -1, v6
	v_cmp_eq_u64_e32 vcc, v[2:3], v[22:23]
	v_cndmask_b32_e32 v2, 0, v6, vcc
	v_add_u32_e32 v2, v2, v38
	v_and_b32_e32 v2, 0xfffff, v2
	v_add_co_u32_e32 v2, vcc, v2, v38
	v_add_u32_e32 v33, 6, v34
	v_addc_co_u32_e32 v3, vcc, 0, v39, vcc
	v_cmp_ne_u32_e32 vcc, 0, v33
                                        ; implicit-def: $vgpr6
	s_and_saveexec_b64 s[20:21], vcc
	s_xor_b64 s[20:21], exec, s[20:21]
; %bb.4524:                             ;   in Loop: Header=BB2_3948 Depth=2
	v_cmp_lt_u64_e32 vcc, s[44:45], v[2:3]
	v_add_u32_e32 v6, 7, v34
	v_cndmask_b32_e64 v22, 0, 1, vcc
	v_cndmask_b32_e32 v6, v33, v6, vcc
	v_lshrrev_b64 v[2:3], v22, v[2:3]
; %bb.4525:                             ;   in Loop: Header=BB2_3948 Depth=2
	s_andn2_saveexec_b64 s[20:21], s[20:21]
; %bb.4526:                             ;   in Loop: Header=BB2_3948 Depth=2
	v_bfe_u32 v6, v2, 23, 1
; %bb.4527:                             ;   in Loop: Header=BB2_3948 Depth=2
	s_or_b64 exec, exec, s[20:21]
	v_lshrrev_b64 v[2:3], 20, v[2:3]
	v_cmp_gt_i32_e32 vcc, 16, v6
	v_cndmask_b32_e32 v3, 0, v3, vcc
	v_cndmask_b32_e32 v2, 7, v2, vcc
	v_cmp_eq_u64_e64 s[20:21], 0, v[2:3]
	v_min_i32_e32 v3, 15, v6
	v_cmp_eq_u32_e32 vcc, 0, v6
	v_lshlrev_b32_e32 v3, 3, v3
	v_and_or_b32 v2, v2, 7, v3
	s_and_b64 s[20:21], vcc, s[20:21]
	v_cndmask_b32_e64 v2, v2, 0, s[20:21]
	v_or_b32_e32 v6, v2, v10
.LBB2_4528:                             ;   in Loop: Header=BB2_3948 Depth=2
	s_or_b64 exec, exec, s[60:61]
.LBB2_4529:                             ;   in Loop: Header=BB2_3948 Depth=2
	s_or_b64 exec, exec, s[58:59]
                                        ; implicit-def: $vgpr2
.LBB2_4530:                             ;   in Loop: Header=BB2_3948 Depth=2
	s_andn2_saveexec_b64 s[20:21], s[56:57]
; %bb.4531:                             ;   in Loop: Header=BB2_3948 Depth=2
	v_or_b32_sdwa v2, v2, s68 dst_sel:DWORD dst_unused:UNUSED_PAD src0_sel:BYTE_3 src1_sel:DWORD
	v_cmp_eq_u64_e32 vcc, 0, v[36:37]
	v_cndmask_b32_e32 v6, v2, v6, vcc
; %bb.4532:                             ;   in Loop: Header=BB2_3948 Depth=2
	s_or_b64 exec, exec, s[20:21]
	v_lshlrev_b32_e32 v9, 8, v9
	v_lshlrev_b32_e32 v2, 24, v30
	v_perm_b32 v3, v21, v5, s74
	v_or3_b32 v36, v3, v2, v9
	v_cmp_ne_u16_sdwa vcc, v5, v37 src0_sel:BYTE_0 src1_sel:DWORD
	v_mov_b32_e32 v3, 0
	v_mov_b32_e32 v2, 0
	s_and_saveexec_b64 s[20:21], vcc
	s_cbranch_execz .LBB2_4538
; %bb.4533:                             ;   in Loop: Header=BB2_3948 Depth=2
	v_cmp_ne_u16_sdwa vcc, v5, s69 src0_sel:BYTE_0 src1_sel:DWORD
	v_bfrev_b32_e32 v2, 1
	s_and_saveexec_b64 s[56:57], vcc
	s_cbranch_execz .LBB2_4537
; %bb.4534:                             ;   in Loop: Header=BB2_3948 Depth=2
	v_and_b32_e32 v10, 0x7f, v5
	v_cmp_ne_u32_e32 vcc, s68, v10
	v_mov_b32_e32 v2, 0x7f800001
	s_and_saveexec_b64 s[58:59], vcc
	s_cbranch_execz .LBB2_4536
; %bb.4535:                             ;   in Loop: Header=BB2_3948 Depth=2
	v_and_b32_e32 v2, 7, v5
	v_ffbh_u32_e32 v2, v2
	v_min_u32_e32 v2, 32, v2
	v_lshrrev_b32_e32 v5, 3, v10
	v_subrev_u32_e32 v21, 28, v2
	v_sub_u32_e32 v2, 29, v2
	v_cmp_gt_u32_e32 vcc, 8, v10
	v_cndmask_b32_e32 v2, v5, v2, vcc
	v_cndmask_b32_e32 v5, 0, v21, vcc
	v_lshlrev_b64 v[22:23], v5, v[36:37]
	v_lshlrev_b32_e32 v5, 20, v22
	v_lshlrev_b32_e32 v10, 24, v36
	v_bfrev_b32_e32 v21, 60
	v_and_b32_e32 v5, 0x700000, v5
	v_and_b32_e32 v10, 0x80000000, v10
	v_lshl_add_u32 v2, v2, 23, v21
	v_or3_b32 v2, v10, v2, v5
.LBB2_4536:                             ;   in Loop: Header=BB2_3948 Depth=2
	s_or_b64 exec, exec, s[58:59]
.LBB2_4537:                             ;   in Loop: Header=BB2_3948 Depth=2
	s_or_b64 exec, exec, s[56:57]
.LBB2_4538:                             ;   in Loop: Header=BB2_3948 Depth=2
	s_or_b64 exec, exec, s[20:21]
	v_cmp_ne_u16_sdwa vcc, v13, v37 src0_sel:BYTE_0 src1_sel:DWORD
	s_and_saveexec_b64 s[20:21], vcc
	s_cbranch_execz .LBB2_4544
; %bb.4539:                             ;   in Loop: Header=BB2_3948 Depth=2
	v_cmp_ne_u16_sdwa vcc, v13, s69 src0_sel:BYTE_0 src1_sel:DWORD
	v_bfrev_b32_e32 v3, 1
	s_and_saveexec_b64 s[56:57], vcc
	s_cbranch_execz .LBB2_4543
; %bb.4540:                             ;   in Loop: Header=BB2_3948 Depth=2
	v_and_b32_e32 v5, 0x7f, v13
	v_cmp_ne_u32_e32 vcc, s68, v5
	v_mov_b32_e32 v3, 0x7f800001
	s_and_saveexec_b64 s[58:59], vcc
	s_cbranch_execz .LBB2_4542
; %bb.4541:                             ;   in Loop: Header=BB2_3948 Depth=2
	v_and_b32_e32 v3, 7, v13
	v_ffbh_u32_e32 v3, v3
	v_min_u32_e32 v3, 32, v3
	v_subrev_u32_e32 v21, 28, v3
	v_cmp_gt_u32_e32 vcc, 8, v5
	v_mov_b32_e32 v22, v13
	v_mov_b32_e32 v23, v37
	v_lshrrev_b32_e32 v10, 3, v5
	v_cndmask_b32_e32 v5, 0, v21, vcc
	v_sub_u32_e32 v3, 29, v3
	v_lshlrev_b64 v[34:35], v5, v[22:23]
	v_cndmask_b32_e32 v3, v10, v3, vcc
	v_lshlrev_b32_e32 v5, 20, v34
	v_lshlrev_b32_e32 v10, 24, v22
	v_bfrev_b32_e32 v21, 60
	v_and_b32_e32 v5, 0x700000, v5
	v_and_b32_e32 v10, 0x80000000, v10
	v_lshl_add_u32 v3, v3, 23, v21
	v_or3_b32 v3, v10, v3, v5
.LBB2_4542:                             ;   in Loop: Header=BB2_3948 Depth=2
	s_or_b64 exec, exec, s[58:59]
.LBB2_4543:                             ;   in Loop: Header=BB2_3948 Depth=2
	s_or_b64 exec, exec, s[56:57]
.LBB2_4544:                             ;   in Loop: Header=BB2_3948 Depth=2
	s_or_b64 exec, exec, s[20:21]
	v_add_f32_e32 v21, v2, v3
	v_and_b32_sdwa v10, v21, s69 dst_sel:DWORD dst_unused:UNUSED_PAD src0_sel:BYTE_3 src1_sel:DWORD
	v_and_b32_e32 v22, 0x7f800000, v21
	v_mov_b32_e32 v23, v37
	v_and_b32_e32 v2, 0x7fffff, v21
	v_mov_b32_e32 v3, v37
	v_or_b32_e32 v5, 0x7e, v10
	v_cmp_ne_u64_e32 vcc, s[38:39], v[22:23]
	s_and_saveexec_b64 s[20:21], vcc
	s_xor_b64 s[56:57], exec, s[20:21]
	s_cbranch_execz .LBB2_4554
; %bb.4545:                             ;   in Loop: Header=BB2_3948 Depth=2
	v_and_b32_e32 v22, 0x7fffffff, v21
	v_mov_b32_e32 v23, v37
	v_cmp_gt_u64_e32 vcc, s[40:41], v[22:23]
	s_and_saveexec_b64 s[58:59], vcc
	s_cbranch_execz .LBB2_4553
; %bb.4546:                             ;   in Loop: Header=BB2_3948 Depth=2
	v_cmp_ne_u32_e32 vcc, 0, v21
	v_mov_b32_e32 v5, 0
	s_and_saveexec_b64 s[60:61], vcc
	s_cbranch_execz .LBB2_4552
; %bb.4547:                             ;   in Loop: Header=BB2_3948 Depth=2
	v_bfe_u32 v5, v21, 23, 8
	v_sub_u32_e32 v22, 0x79, v5
	v_cmp_gt_u32_e32 vcc, s71, v5
	v_add_u32_e32 v21, 0xffffff81, v5
	v_cndmask_b32_e32 v22, 0, v22, vcc
	v_cmp_eq_u32_e32 vcc, 0, v5
	v_mov_b32_e32 v5, 0xffffff82
	v_cndmask_b32_e32 v5, v21, v5, vcc
	v_mov_b32_e32 v21, 0x78
	v_cndmask_b32_e32 v21, v22, v21, vcc
	v_or_b32_e32 v23, 0x800000, v2
	v_add_u32_e32 v22, 20, v21
	v_cndmask_b32_e32 v2, v23, v2, vcc
	v_lshlrev_b64 v[22:23], v22, -1
	v_not_b32_e32 v22, v22
	v_and_b32_e32 v22, v2, v22
	v_add_u32_e32 v30, 19, v21
	v_lshrrev_b64 v[2:3], v21, v[2:3]
	v_not_b32_e32 v23, v23
	v_lshlrev_b64 v[34:35], v30, 1
	v_lshrrev_b32_e32 v30, 23, v2
	v_and_b32_e32 v23, 0, v23
	v_add3_u32 v30, v21, v5, v30
	v_bfe_u32 v5, v2, 20, 1
	v_add_u32_e32 v5, -1, v5
	v_cmp_eq_u64_e32 vcc, v[22:23], v[34:35]
	v_cndmask_b32_e32 v5, 0, v5, vcc
	v_add_u32_e32 v5, v5, v2
	v_and_b32_e32 v5, 0xfffff, v5
	v_add_co_u32_e32 v2, vcc, v5, v2
	v_add_u32_e32 v21, 6, v30
	v_addc_co_u32_e32 v3, vcc, 0, v3, vcc
	v_cmp_ne_u32_e32 vcc, 0, v21
                                        ; implicit-def: $vgpr5
	s_and_saveexec_b64 s[20:21], vcc
	s_xor_b64 s[20:21], exec, s[20:21]
; %bb.4548:                             ;   in Loop: Header=BB2_3948 Depth=2
	v_add_u32_e32 v5, 7, v30
	v_cmp_lt_u64_e32 vcc, s[44:45], v[2:3]
	v_cndmask_b32_e32 v5, v21, v5, vcc
	v_cndmask_b32_e64 v21, 0, 1, vcc
	v_lshrrev_b64 v[2:3], v21, v[2:3]
; %bb.4549:                             ;   in Loop: Header=BB2_3948 Depth=2
	s_andn2_saveexec_b64 s[20:21], s[20:21]
; %bb.4550:                             ;   in Loop: Header=BB2_3948 Depth=2
	v_bfe_u32 v5, v2, 23, 1
; %bb.4551:                             ;   in Loop: Header=BB2_3948 Depth=2
	s_or_b64 exec, exec, s[20:21]
	v_lshrrev_b64 v[2:3], 20, v[2:3]
	v_cmp_gt_i32_e32 vcc, 16, v5
	v_cndmask_b32_e32 v3, 0, v3, vcc
	v_cndmask_b32_e32 v2, 7, v2, vcc
	v_cmp_eq_u64_e64 s[20:21], 0, v[2:3]
	v_min_i32_e32 v3, 15, v5
	v_cmp_eq_u32_e32 vcc, 0, v5
	v_lshlrev_b32_e32 v3, 3, v3
	v_and_or_b32 v2, v2, 7, v3
	s_and_b64 s[20:21], vcc, s[20:21]
	v_cndmask_b32_e64 v2, v2, 0, s[20:21]
	v_or_b32_e32 v5, v2, v10
.LBB2_4552:                             ;   in Loop: Header=BB2_3948 Depth=2
	s_or_b64 exec, exec, s[60:61]
.LBB2_4553:                             ;   in Loop: Header=BB2_3948 Depth=2
	s_or_b64 exec, exec, s[58:59]
                                        ; implicit-def: $vgpr21
                                        ; implicit-def: $vgpr2_vgpr3
.LBB2_4554:                             ;   in Loop: Header=BB2_3948 Depth=2
	s_andn2_saveexec_b64 s[20:21], s[56:57]
; %bb.4555:                             ;   in Loop: Header=BB2_3948 Depth=2
	v_or_b32_sdwa v10, v21, s68 dst_sel:DWORD dst_unused:UNUSED_PAD src0_sel:BYTE_3 src1_sel:DWORD
	v_cmp_eq_u64_e32 vcc, 0, v[2:3]
	v_cndmask_b32_e32 v5, v10, v5, vcc
; %bb.4556:                             ;   in Loop: Header=BB2_3948 Depth=2
	s_or_b64 exec, exec, s[20:21]
	v_lshrrev_b16_e32 v2, 8, v9
	v_cmp_ne_u16_e32 vcc, 0, v2
	v_mov_b32_e32 v3, 0
	v_mov_b32_e32 v21, 0
	s_and_saveexec_b64 s[20:21], vcc
	s_cbranch_execz .LBB2_4562
; %bb.4557:                             ;   in Loop: Header=BB2_3948 Depth=2
	v_cmp_ne_u16_e32 vcc, s69, v2
	v_bfrev_b32_e32 v21, 1
	s_and_saveexec_b64 s[56:57], vcc
	s_cbranch_execz .LBB2_4561
; %bb.4558:                             ;   in Loop: Header=BB2_3948 Depth=2
	v_and_b32_e32 v10, 0x7f, v2
	v_cmp_ne_u32_e32 vcc, s68, v10
	v_mov_b32_e32 v21, 0x7f800001
	s_and_saveexec_b64 s[58:59], vcc
	s_cbranch_execz .LBB2_4560
; %bb.4559:                             ;   in Loop: Header=BB2_3948 Depth=2
	v_and_b32_e32 v21, 7, v2
	v_ffbh_u32_e32 v22, v21
	v_min_u32_e32 v33, 32, v22
	v_subrev_u32_e32 v22, 28, v33
	v_lshlrev_b64 v[22:23], v22, v[2:3]
	v_lshrrev_b32_e32 v30, 3, v10
	v_sub_u32_e32 v2, 29, v33
	v_and_b32_e32 v22, 7, v22
	v_cmp_gt_u32_e32 vcc, 8, v10
	v_cndmask_b32_e32 v2, v30, v2, vcc
	v_cndmask_b32_e32 v10, v21, v22, vcc
	v_lshlrev_b32_e32 v9, 16, v9
	v_bfrev_b32_e32 v21, 60
	v_lshlrev_b32_e32 v10, 20, v10
	v_and_b32_e32 v9, 0x80000000, v9
	v_lshl_add_u32 v2, v2, 23, v21
	v_or3_b32 v21, v9, v2, v10
.LBB2_4560:                             ;   in Loop: Header=BB2_3948 Depth=2
	s_or_b64 exec, exec, s[58:59]
.LBB2_4561:                             ;   in Loop: Header=BB2_3948 Depth=2
	s_or_b64 exec, exec, s[56:57]
.LBB2_4562:                             ;   in Loop: Header=BB2_3948 Depth=2
	s_or_b64 exec, exec, s[20:21]
	v_mov_b32_e32 v2, v13
	v_lshrrev_b16_e32 v10, 8, v2
	v_cmp_ne_u16_e32 vcc, 0, v10
	s_and_saveexec_b64 s[20:21], vcc
	s_cbranch_execz .LBB2_4568
; %bb.4563:                             ;   in Loop: Header=BB2_3948 Depth=2
	v_cmp_ne_u16_e32 vcc, s69, v10
	v_bfrev_b32_e32 v3, 1
	s_and_saveexec_b64 s[56:57], vcc
	s_cbranch_execz .LBB2_4567
; %bb.4564:                             ;   in Loop: Header=BB2_3948 Depth=2
	v_and_b32_e32 v9, 0x7f, v10
	v_cmp_ne_u32_e32 vcc, s68, v9
	v_mov_b32_e32 v3, 0x7f800001
	s_and_saveexec_b64 s[58:59], vcc
	s_cbranch_execz .LBB2_4566
; %bb.4565:                             ;   in Loop: Header=BB2_3948 Depth=2
	v_and_b32_e32 v3, 7, v10
	v_ffbh_u32_e32 v22, v3
	v_min_u32_e32 v33, 32, v22
	v_subrev_u32_e32 v22, 28, v33
	v_lshlrev_b64 v[22:23], v22, v[10:11]
	v_lshrrev_b32_e32 v30, 3, v9
	v_sub_u32_e32 v10, 29, v33
	v_and_b32_e32 v22, 7, v22
	v_cmp_gt_u32_e32 vcc, 8, v9
	v_cndmask_b32_e32 v9, v30, v10, vcc
	v_cndmask_b32_e32 v3, v3, v22, vcc
	v_lshlrev_b32_e32 v2, 16, v2
	v_bfrev_b32_e32 v10, 60
	v_lshlrev_b32_e32 v3, 20, v3
	v_and_b32_e32 v2, 0x80000000, v2
	v_lshl_add_u32 v9, v9, 23, v10
	v_or3_b32 v3, v2, v9, v3
.LBB2_4566:                             ;   in Loop: Header=BB2_3948 Depth=2
	s_or_b64 exec, exec, s[58:59]
.LBB2_4567:                             ;   in Loop: Header=BB2_3948 Depth=2
	s_or_b64 exec, exec, s[56:57]
.LBB2_4568:                             ;   in Loop: Header=BB2_3948 Depth=2
	s_or_b64 exec, exec, s[20:21]
	v_add_f32_e32 v21, v21, v3
	v_and_b32_sdwa v10, v21, s69 dst_sel:DWORD dst_unused:UNUSED_PAD src0_sel:BYTE_3 src1_sel:DWORD
	v_and_b32_e32 v22, 0x7f800000, v21
	v_mov_b32_e32 v23, v37
	v_and_b32_e32 v2, 0x7fffff, v21
	v_mov_b32_e32 v3, v37
	v_or_b32_e32 v9, 0x7e, v10
	v_cmp_ne_u64_e32 vcc, s[38:39], v[22:23]
	s_and_saveexec_b64 s[20:21], vcc
	s_xor_b64 s[56:57], exec, s[20:21]
	s_cbranch_execz .LBB2_4578
; %bb.4569:                             ;   in Loop: Header=BB2_3948 Depth=2
	v_and_b32_e32 v22, 0x7fffffff, v21
	v_mov_b32_e32 v23, v37
	v_cmp_gt_u64_e32 vcc, s[40:41], v[22:23]
	s_and_saveexec_b64 s[58:59], vcc
	s_cbranch_execz .LBB2_4577
; %bb.4570:                             ;   in Loop: Header=BB2_3948 Depth=2
	v_cmp_ne_u32_e32 vcc, 0, v21
	v_mov_b32_e32 v9, 0
	s_and_saveexec_b64 s[60:61], vcc
	s_cbranch_execz .LBB2_4576
; %bb.4571:                             ;   in Loop: Header=BB2_3948 Depth=2
	v_bfe_u32 v9, v21, 23, 8
	v_sub_u32_e32 v22, 0x79, v9
	v_cmp_gt_u32_e32 vcc, s71, v9
	v_add_u32_e32 v21, 0xffffff81, v9
	v_cndmask_b32_e32 v22, 0, v22, vcc
	v_cmp_eq_u32_e32 vcc, 0, v9
	v_mov_b32_e32 v9, 0xffffff82
	v_cndmask_b32_e32 v9, v21, v9, vcc
	v_mov_b32_e32 v21, 0x78
	v_cndmask_b32_e32 v21, v22, v21, vcc
	v_or_b32_e32 v23, 0x800000, v2
	v_add_u32_e32 v22, 20, v21
	v_cndmask_b32_e32 v2, v23, v2, vcc
	v_lshlrev_b64 v[22:23], v22, -1
	v_not_b32_e32 v22, v22
	v_and_b32_e32 v22, v2, v22
	v_add_u32_e32 v30, 19, v21
	v_lshrrev_b64 v[2:3], v21, v[2:3]
	v_not_b32_e32 v23, v23
	v_lshlrev_b64 v[34:35], v30, 1
	v_lshrrev_b32_e32 v30, 23, v2
	v_and_b32_e32 v23, 0, v23
	v_add3_u32 v30, v21, v9, v30
	v_bfe_u32 v9, v2, 20, 1
	v_add_u32_e32 v9, -1, v9
	v_cmp_eq_u64_e32 vcc, v[22:23], v[34:35]
	v_cndmask_b32_e32 v9, 0, v9, vcc
	v_add_u32_e32 v9, v9, v2
	v_and_b32_e32 v9, 0xfffff, v9
	v_add_co_u32_e32 v2, vcc, v9, v2
	v_add_u32_e32 v21, 6, v30
	v_addc_co_u32_e32 v3, vcc, 0, v3, vcc
	v_cmp_ne_u32_e32 vcc, 0, v21
                                        ; implicit-def: $vgpr9
	s_and_saveexec_b64 s[20:21], vcc
	s_xor_b64 s[20:21], exec, s[20:21]
; %bb.4572:                             ;   in Loop: Header=BB2_3948 Depth=2
	v_add_u32_e32 v9, 7, v30
	v_cmp_lt_u64_e32 vcc, s[44:45], v[2:3]
	v_cndmask_b32_e32 v9, v21, v9, vcc
	v_cndmask_b32_e64 v21, 0, 1, vcc
	v_lshrrev_b64 v[2:3], v21, v[2:3]
; %bb.4573:                             ;   in Loop: Header=BB2_3948 Depth=2
	s_andn2_saveexec_b64 s[20:21], s[20:21]
; %bb.4574:                             ;   in Loop: Header=BB2_3948 Depth=2
	v_bfe_u32 v9, v2, 23, 1
; %bb.4575:                             ;   in Loop: Header=BB2_3948 Depth=2
	s_or_b64 exec, exec, s[20:21]
	v_lshrrev_b64 v[2:3], 20, v[2:3]
	v_cmp_gt_i32_e32 vcc, 16, v9
	v_cndmask_b32_e32 v3, 0, v3, vcc
	v_cndmask_b32_e32 v2, 7, v2, vcc
	v_cmp_eq_u64_e64 s[20:21], 0, v[2:3]
	v_min_i32_e32 v3, 15, v9
	v_cmp_eq_u32_e32 vcc, 0, v9
	v_lshlrev_b32_e32 v3, 3, v3
	v_and_or_b32 v2, v2, 7, v3
	s_and_b64 s[20:21], vcc, s[20:21]
	v_cndmask_b32_e64 v2, v2, 0, s[20:21]
	v_or_b32_e32 v9, v2, v10
.LBB2_4576:                             ;   in Loop: Header=BB2_3948 Depth=2
	s_or_b64 exec, exec, s[60:61]
.LBB2_4577:                             ;   in Loop: Header=BB2_3948 Depth=2
	s_or_b64 exec, exec, s[58:59]
                                        ; implicit-def: $vgpr21
                                        ; implicit-def: $vgpr2_vgpr3
.LBB2_4578:                             ;   in Loop: Header=BB2_3948 Depth=2
	s_andn2_saveexec_b64 s[20:21], s[56:57]
; %bb.4579:                             ;   in Loop: Header=BB2_3948 Depth=2
	v_or_b32_sdwa v10, v21, s68 dst_sel:DWORD dst_unused:UNUSED_PAD src0_sel:BYTE_3 src1_sel:DWORD
	v_cmp_eq_u64_e32 vcc, 0, v[2:3]
	v_cndmask_b32_e32 v9, v10, v9, vcc
; %bb.4580:                             ;   in Loop: Header=BB2_3948 Depth=2
	s_or_b64 exec, exec, s[20:21]
	v_lshrrev_b32_e32 v2, 16, v36
	v_cmp_ne_u16_sdwa vcc, v2, v37 src0_sel:BYTE_0 src1_sel:DWORD
	v_mov_b32_e32 v3, 0
	v_mov_b32_e32 v10, 0
	s_and_saveexec_b64 s[20:21], vcc
	s_cbranch_execz .LBB2_4586
; %bb.4581:                             ;   in Loop: Header=BB2_3948 Depth=2
	v_cmp_ne_u16_sdwa vcc, v2, s69 src0_sel:BYTE_0 src1_sel:DWORD
	v_bfrev_b32_e32 v10, 1
	s_and_saveexec_b64 s[56:57], vcc
	s_cbranch_execz .LBB2_4585
; %bb.4582:                             ;   in Loop: Header=BB2_3948 Depth=2
	v_bfe_u32 v21, v36, 16, 7
	v_cmp_ne_u32_e32 vcc, s68, v21
	v_mov_b32_e32 v10, 0x7f800001
	s_and_saveexec_b64 s[58:59], vcc
	s_cbranch_execz .LBB2_4584
; %bb.4583:                             ;   in Loop: Header=BB2_3948 Depth=2
	v_and_b32_e32 v10, 7, v2
	v_ffbh_u32_e32 v22, v10
	v_min_u32_e32 v33, 32, v22
	v_subrev_u32_e32 v22, 28, v33
	v_lshlrev_b64 v[22:23], v22, v[2:3]
	v_lshrrev_b32_e32 v30, 3, v21
	v_sub_u32_e32 v23, 29, v33
	v_and_b32_e32 v22, 7, v22
	v_cmp_gt_u32_e32 vcc, 8, v21
	v_cndmask_b32_e32 v21, v30, v23, vcc
	v_cndmask_b32_e32 v10, v10, v22, vcc
	v_lshlrev_b32_e32 v2, 24, v2
	v_bfrev_b32_e32 v22, 60
	v_lshlrev_b32_e32 v10, 20, v10
	v_and_b32_e32 v2, 0x80000000, v2
	v_lshl_add_u32 v21, v21, 23, v22
	v_or3_b32 v10, v2, v21, v10
.LBB2_4584:                             ;   in Loop: Header=BB2_3948 Depth=2
	s_or_b64 exec, exec, s[58:59]
.LBB2_4585:                             ;   in Loop: Header=BB2_3948 Depth=2
	s_or_b64 exec, exec, s[56:57]
.LBB2_4586:                             ;   in Loop: Header=BB2_3948 Depth=2
	s_or_b64 exec, exec, s[20:21]
	v_lshrrev_b32_e32 v2, 16, v13
	v_cmp_ne_u16_sdwa vcc, v2, v37 src0_sel:BYTE_0 src1_sel:DWORD
	s_and_saveexec_b64 s[20:21], vcc
	s_cbranch_execz .LBB2_4592
; %bb.4587:                             ;   in Loop: Header=BB2_3948 Depth=2
	v_cmp_ne_u16_sdwa vcc, v2, s69 src0_sel:BYTE_0 src1_sel:DWORD
	v_bfrev_b32_e32 v3, 1
	s_and_saveexec_b64 s[56:57], vcc
	s_cbranch_execz .LBB2_4591
; %bb.4588:                             ;   in Loop: Header=BB2_3948 Depth=2
	v_bfe_u32 v21, v13, 16, 7
	v_cmp_ne_u32_e32 vcc, s68, v21
	v_mov_b32_e32 v3, 0x7f800001
	s_and_saveexec_b64 s[58:59], vcc
	s_cbranch_execz .LBB2_4590
; %bb.4589:                             ;   in Loop: Header=BB2_3948 Depth=2
	v_and_b32_e32 v22, 7, v2
	v_ffbh_u32_e32 v3, v22
	v_min_u32_e32 v30, 32, v3
	v_subrev_u32_e32 v3, 28, v30
	v_lshlrev_b64 v[2:3], v3, v[2:3]
	v_lshrrev_b32_e32 v23, 3, v21
	v_sub_u32_e32 v3, 29, v30
	v_and_b32_e32 v2, 7, v2
	v_cmp_gt_u32_e32 vcc, 8, v21
	v_cndmask_b32_e32 v3, v23, v3, vcc
	v_cndmask_b32_e32 v2, v22, v2, vcc
	v_lshlrev_b32_e32 v21, 8, v13
	v_bfrev_b32_e32 v22, 60
	v_lshlrev_b32_e32 v2, 20, v2
	v_and_b32_e32 v21, 0x80000000, v21
	v_lshl_add_u32 v3, v3, 23, v22
	v_or3_b32 v3, v21, v3, v2
.LBB2_4590:                             ;   in Loop: Header=BB2_3948 Depth=2
	s_or_b64 exec, exec, s[58:59]
.LBB2_4591:                             ;   in Loop: Header=BB2_3948 Depth=2
	s_or_b64 exec, exec, s[56:57]
.LBB2_4592:                             ;   in Loop: Header=BB2_3948 Depth=2
	s_or_b64 exec, exec, s[20:21]
	v_add_f32_e32 v30, v10, v3
	v_and_b32_sdwa v21, v30, s69 dst_sel:DWORD dst_unused:UNUSED_PAD src0_sel:BYTE_3 src1_sel:DWORD
	v_and_b32_e32 v22, 0x7f800000, v30
	v_mov_b32_e32 v23, v37
	v_and_b32_e32 v2, 0x7fffff, v30
	v_mov_b32_e32 v3, v37
	v_or_b32_e32 v10, 0x7e, v21
	v_cmp_ne_u64_e32 vcc, s[38:39], v[22:23]
	s_and_saveexec_b64 s[20:21], vcc
	s_xor_b64 s[56:57], exec, s[20:21]
	s_cbranch_execz .LBB2_4602
; %bb.4593:                             ;   in Loop: Header=BB2_3948 Depth=2
	v_and_b32_e32 v22, 0x7fffffff, v30
	v_mov_b32_e32 v23, v37
	v_cmp_gt_u64_e32 vcc, s[40:41], v[22:23]
	s_and_saveexec_b64 s[58:59], vcc
	s_cbranch_execz .LBB2_4601
; %bb.4594:                             ;   in Loop: Header=BB2_3948 Depth=2
	v_cmp_ne_u32_e32 vcc, 0, v30
	v_mov_b32_e32 v10, 0
	s_and_saveexec_b64 s[60:61], vcc
	s_cbranch_execz .LBB2_4600
; %bb.4595:                             ;   in Loop: Header=BB2_3948 Depth=2
	v_bfe_u32 v10, v30, 23, 8
	v_sub_u32_e32 v23, 0x79, v10
	v_cmp_gt_u32_e32 vcc, s71, v10
	v_add_u32_e32 v22, 0xffffff81, v10
	v_cndmask_b32_e32 v23, 0, v23, vcc
	v_cmp_eq_u32_e32 vcc, 0, v10
	v_mov_b32_e32 v10, 0xffffff82
	v_cndmask_b32_e32 v10, v22, v10, vcc
	v_mov_b32_e32 v22, 0x78
	v_cndmask_b32_e32 v33, v23, v22, vcc
	v_add_u32_e32 v22, 20, v33
	v_or_b32_e32 v30, 0x800000, v2
	v_lshlrev_b64 v[22:23], v22, -1
	v_cndmask_b32_e32 v2, v30, v2, vcc
	v_not_b32_e32 v22, v22
	v_and_b32_e32 v22, v2, v22
	v_add_u32_e32 v30, 19, v33
	v_lshrrev_b64 v[2:3], v33, v[2:3]
	v_not_b32_e32 v23, v23
	v_lshlrev_b64 v[34:35], v30, 1
	v_lshrrev_b32_e32 v30, 23, v2
	v_and_b32_e32 v23, 0, v23
	v_add3_u32 v33, v33, v10, v30
	v_bfe_u32 v10, v2, 20, 1
	v_add_u32_e32 v10, -1, v10
	v_cmp_eq_u64_e32 vcc, v[22:23], v[34:35]
	v_cndmask_b32_e32 v10, 0, v10, vcc
	v_add_u32_e32 v10, v10, v2
	v_and_b32_e32 v10, 0xfffff, v10
	v_add_co_u32_e32 v2, vcc, v10, v2
	v_add_u32_e32 v30, 6, v33
	v_addc_co_u32_e32 v3, vcc, 0, v3, vcc
	v_cmp_ne_u32_e32 vcc, 0, v30
                                        ; implicit-def: $vgpr10
	s_and_saveexec_b64 s[20:21], vcc
	s_xor_b64 s[20:21], exec, s[20:21]
; %bb.4596:                             ;   in Loop: Header=BB2_3948 Depth=2
	v_cmp_lt_u64_e32 vcc, s[44:45], v[2:3]
	v_add_u32_e32 v10, 7, v33
	v_cndmask_b32_e64 v22, 0, 1, vcc
	v_cndmask_b32_e32 v10, v30, v10, vcc
	v_lshrrev_b64 v[2:3], v22, v[2:3]
; %bb.4597:                             ;   in Loop: Header=BB2_3948 Depth=2
	s_andn2_saveexec_b64 s[20:21], s[20:21]
; %bb.4598:                             ;   in Loop: Header=BB2_3948 Depth=2
	v_bfe_u32 v10, v2, 23, 1
; %bb.4599:                             ;   in Loop: Header=BB2_3948 Depth=2
	s_or_b64 exec, exec, s[20:21]
	v_lshrrev_b64 v[2:3], 20, v[2:3]
	v_cmp_gt_i32_e32 vcc, 16, v10
	v_cndmask_b32_e32 v3, 0, v3, vcc
	v_cndmask_b32_e32 v2, 7, v2, vcc
	v_cmp_eq_u64_e64 s[20:21], 0, v[2:3]
	v_min_i32_e32 v3, 15, v10
	v_lshlrev_b32_e32 v3, 3, v3
	v_cmp_eq_u32_e32 vcc, 0, v10
	v_and_b32_e32 v3, 0xf8, v3
	v_and_or_b32 v2, v2, 7, v3
	s_and_b64 s[20:21], vcc, s[20:21]
	v_cndmask_b32_e64 v2, v2, 0, s[20:21]
	v_or_b32_e32 v10, v2, v21
.LBB2_4600:                             ;   in Loop: Header=BB2_3948 Depth=2
	s_or_b64 exec, exec, s[60:61]
.LBB2_4601:                             ;   in Loop: Header=BB2_3948 Depth=2
	s_or_b64 exec, exec, s[58:59]
                                        ; implicit-def: $vgpr30
                                        ; implicit-def: $vgpr2_vgpr3
.LBB2_4602:                             ;   in Loop: Header=BB2_3948 Depth=2
	s_andn2_saveexec_b64 s[20:21], s[56:57]
; %bb.4603:                             ;   in Loop: Header=BB2_3948 Depth=2
	v_or_b32_sdwa v21, v30, s68 dst_sel:DWORD dst_unused:UNUSED_PAD src0_sel:BYTE_3 src1_sel:DWORD
	v_cmp_eq_u64_e32 vcc, 0, v[2:3]
	v_cndmask_b32_e32 v10, v21, v10, vcc
; %bb.4604:                             ;   in Loop: Header=BB2_3948 Depth=2
	s_or_b64 exec, exec, s[20:21]
	v_cmp_lt_u32_e32 vcc, s43, v36
	v_mov_b32_e32 v3, 0
	v_mov_b32_e32 v21, 0
	s_and_saveexec_b64 s[20:21], vcc
	s_cbranch_execz .LBB2_4610
; %bb.4605:                             ;   in Loop: Header=BB2_3948 Depth=2
	v_lshrrev_b32_e32 v2, 24, v36
	v_cmp_ne_u32_sdwa vcc, v36, s69 src0_sel:BYTE_3 src1_sel:DWORD
	v_bfrev_b32_e32 v21, 1
	s_and_saveexec_b64 s[56:57], vcc
	s_cbranch_execz .LBB2_4609
; %bb.4606:                             ;   in Loop: Header=BB2_3948 Depth=2
	v_bfe_u32 v30, v36, 24, 7
	v_cmp_ne_u32_e32 vcc, s68, v30
	v_mov_b32_e32 v21, 0x7f800001
	s_and_saveexec_b64 s[58:59], vcc
	s_cbranch_execz .LBB2_4608
; %bb.4607:                             ;   in Loop: Header=BB2_3948 Depth=2
	v_and_b32_e32 v21, 7, v2
	v_ffbh_u32_e32 v22, v21
	v_min_u32_e32 v34, 32, v22
	v_subrev_u32_e32 v22, 28, v34
	v_lshlrev_b64 v[22:23], v22, v[2:3]
	v_and_b32_e32 v22, 7, v22
	v_cmp_gt_u32_e32 vcc, 8, v30
	v_lshrrev_b32_e32 v33, 3, v30
	v_sub_u32_e32 v2, 29, v34
	v_cndmask_b32_e32 v21, v21, v22, vcc
	v_mov_b32_e32 v22, 24
	v_cndmask_b32_e32 v2, v33, v2, vcc
	v_lshlrev_b32_sdwa v22, v22, v36 dst_sel:DWORD dst_unused:UNUSED_PAD src0_sel:DWORD src1_sel:BYTE_3
	v_bfrev_b32_e32 v23, 60
	v_lshlrev_b32_e32 v21, 20, v21
	v_and_b32_e32 v22, 0x80000000, v22
	v_lshl_add_u32 v2, v2, 23, v23
	v_or3_b32 v21, v22, v2, v21
.LBB2_4608:                             ;   in Loop: Header=BB2_3948 Depth=2
	s_or_b64 exec, exec, s[58:59]
.LBB2_4609:                             ;   in Loop: Header=BB2_3948 Depth=2
	s_or_b64 exec, exec, s[56:57]
.LBB2_4610:                             ;   in Loop: Header=BB2_3948 Depth=2
	s_or_b64 exec, exec, s[20:21]
	v_cmp_lt_u64_e32 vcc, s[42:43], v[12:13]
	s_and_saveexec_b64 s[20:21], vcc
	s_cbranch_execz .LBB2_4616
; %bb.4611:                             ;   in Loop: Header=BB2_3948 Depth=2
	v_lshrrev_b32_e32 v2, 24, v13
	v_cmp_ne_u32_e32 vcc, s69, v2
	v_bfrev_b32_e32 v3, 1
	s_and_saveexec_b64 s[56:57], vcc
	s_cbranch_execz .LBB2_4615
; %bb.4612:                             ;   in Loop: Header=BB2_3948 Depth=2
	v_bfe_u32 v12, v13, 24, 7
	v_cmp_ne_u32_e32 vcc, s68, v12
	v_mov_b32_e32 v3, 0x7f800001
	s_and_saveexec_b64 s[58:59], vcc
	s_cbranch_execz .LBB2_4614
; %bb.4613:                             ;   in Loop: Header=BB2_3948 Depth=2
	v_and_b32_e32 v3, 7, v2
	v_ffbh_u32_e32 v22, v3
	v_min_u32_e32 v30, 32, v22
	v_subrev_u32_e32 v22, 28, v30
	v_lshlrev_b64 v[22:23], v22, v[2:3]
	v_lshrrev_b32_e32 v13, 3, v12
	v_sub_u32_e32 v23, 29, v30
	v_and_b32_e32 v22, 7, v22
	v_cmp_gt_u32_e32 vcc, 8, v12
	v_cndmask_b32_e32 v12, v13, v23, vcc
	v_cndmask_b32_e32 v3, v3, v22, vcc
	v_lshlrev_b32_e32 v2, 24, v2
	v_bfrev_b32_e32 v13, 60
	v_lshlrev_b32_e32 v3, 20, v3
	v_and_b32_e32 v2, 0x80000000, v2
	v_lshl_add_u32 v12, v12, 23, v13
	v_or3_b32 v3, v2, v12, v3
.LBB2_4614:                             ;   in Loop: Header=BB2_3948 Depth=2
	s_or_b64 exec, exec, s[58:59]
.LBB2_4615:                             ;   in Loop: Header=BB2_3948 Depth=2
	s_or_b64 exec, exec, s[56:57]
.LBB2_4616:                             ;   in Loop: Header=BB2_3948 Depth=2
	s_or_b64 exec, exec, s[20:21]
	v_add_f32_e32 v3, v21, v3
	v_and_b32_sdwa v12, v3, s69 dst_sel:DWORD dst_unused:UNUSED_PAD src0_sel:BYTE_3 src1_sel:DWORD
	v_and_b32_e32 v22, 0x7f800000, v3
	v_mov_b32_e32 v23, v37
	v_and_b32_e32 v36, 0x7fffff, v3
	v_or_b32_e32 v2, 0x7e, v12
	v_cmp_ne_u64_e32 vcc, s[38:39], v[22:23]
	s_and_saveexec_b64 s[20:21], vcc
	s_xor_b64 s[56:57], exec, s[20:21]
	s_cbranch_execz .LBB2_4626
; %bb.4617:                             ;   in Loop: Header=BB2_3948 Depth=2
	v_and_b32_e32 v22, 0x7fffffff, v3
	v_mov_b32_e32 v23, v37
	v_cmp_gt_u64_e32 vcc, s[40:41], v[22:23]
	s_and_saveexec_b64 s[58:59], vcc
	s_cbranch_execz .LBB2_4625
; %bb.4618:                             ;   in Loop: Header=BB2_3948 Depth=2
	v_cmp_ne_u32_e32 vcc, 0, v3
	v_mov_b32_e32 v2, 0
	s_and_saveexec_b64 s[60:61], vcc
	s_cbranch_execz .LBB2_4624
; %bb.4619:                             ;   in Loop: Header=BB2_3948 Depth=2
	v_bfe_u32 v2, v3, 23, 8
	v_sub_u32_e32 v13, 0x79, v2
	v_cmp_gt_u32_e32 vcc, s71, v2
	v_add_u32_e32 v3, 0xffffff81, v2
	v_cndmask_b32_e32 v13, 0, v13, vcc
	v_cmp_eq_u32_e32 vcc, 0, v2
	v_mov_b32_e32 v2, 0xffffff82
	v_cndmask_b32_e32 v30, v3, v2, vcc
	v_mov_b32_e32 v2, 0x78
	v_or_b32_e32 v21, 0x800000, v36
	v_cndmask_b32_e32 v13, v13, v2, vcc
	v_cndmask_b32_e32 v36, v21, v36, vcc
	v_add_u32_e32 v2, 20, v13
	v_lshlrev_b64 v[2:3], v2, -1
	v_add_u32_e32 v21, 19, v13
	v_lshrrev_b64 v[34:35], v13, v[36:37]
	v_not_b32_e32 v3, v3
	v_not_b32_e32 v2, v2
	v_lshlrev_b64 v[22:23], v21, 1
	v_lshrrev_b32_e32 v21, 23, v34
	v_and_b32_e32 v3, 0, v3
	v_and_b32_e32 v2, v36, v2
	v_add3_u32 v30, v13, v30, v21
	v_bfe_u32 v13, v34, 20, 1
	v_add_u32_e32 v13, -1, v13
	v_cmp_eq_u64_e32 vcc, v[2:3], v[22:23]
	v_cndmask_b32_e32 v2, 0, v13, vcc
	v_add_u32_e32 v2, v2, v34
	v_and_b32_e32 v2, 0xfffff, v2
	v_add_co_u32_e32 v2, vcc, v2, v34
	v_add_u32_e32 v21, 6, v30
	v_addc_co_u32_e32 v3, vcc, 0, v35, vcc
	v_cmp_ne_u32_e32 vcc, 0, v21
                                        ; implicit-def: $vgpr13
	s_and_saveexec_b64 s[20:21], vcc
	s_xor_b64 s[20:21], exec, s[20:21]
; %bb.4620:                             ;   in Loop: Header=BB2_3948 Depth=2
	v_add_u32_e32 v13, 7, v30
	v_cmp_lt_u64_e32 vcc, s[44:45], v[2:3]
	v_cndmask_b32_e32 v13, v21, v13, vcc
	v_cndmask_b32_e64 v21, 0, 1, vcc
	v_lshrrev_b64 v[2:3], v21, v[2:3]
; %bb.4621:                             ;   in Loop: Header=BB2_3948 Depth=2
	s_andn2_saveexec_b64 s[20:21], s[20:21]
; %bb.4622:                             ;   in Loop: Header=BB2_3948 Depth=2
	v_bfe_u32 v13, v2, 23, 1
; %bb.4623:                             ;   in Loop: Header=BB2_3948 Depth=2
	s_or_b64 exec, exec, s[20:21]
	v_lshrrev_b64 v[2:3], 20, v[2:3]
	v_cmp_gt_i32_e32 vcc, 16, v13
	v_cndmask_b32_e32 v3, 0, v3, vcc
	v_cndmask_b32_e32 v2, 7, v2, vcc
	v_cmp_eq_u64_e64 s[20:21], 0, v[2:3]
	v_min_i32_e32 v3, 15, v13
	v_lshlrev_b32_e32 v3, 3, v3
	v_cmp_eq_u32_e32 vcc, 0, v13
	v_and_b32_e32 v3, 0xf8, v3
	v_and_or_b32 v2, v2, 7, v3
	s_and_b64 s[20:21], vcc, s[20:21]
	v_cndmask_b32_e64 v2, v2, 0, s[20:21]
	v_or_b32_e32 v2, v2, v12
.LBB2_4624:                             ;   in Loop: Header=BB2_3948 Depth=2
	s_or_b64 exec, exec, s[60:61]
.LBB2_4625:                             ;   in Loop: Header=BB2_3948 Depth=2
	s_or_b64 exec, exec, s[58:59]
                                        ; implicit-def: $vgpr3
.LBB2_4626:                             ;   in Loop: Header=BB2_3948 Depth=2
	s_andn2_saveexec_b64 s[20:21], s[56:57]
	s_cbranch_execz .LBB2_3947
; %bb.4627:                             ;   in Loop: Header=BB2_3948 Depth=2
	v_or_b32_sdwa v3, v3, s68 dst_sel:DWORD dst_unused:UNUSED_PAD src0_sel:BYTE_3 src1_sel:DWORD
	v_cmp_eq_u64_e32 vcc, 0, v[36:37]
	v_cndmask_b32_e32 v2, v3, v2, vcc
	s_branch .LBB2_3947
.LBB2_4628:                             ;   in Loop: Header=BB2_2518 Depth=1
	s_or_b64 exec, exec, s[54:55]
	v_mov_b32_e32 v31, v51
	v_accvgpr_read_b32 v34, a19
	v_mov_b32_e32 v38, v58
	v_mov_b32_e32 v35, v57
	;; [unrolled: 1-line block ×3, first 2 shown]
.LBB2_4629:                             ;   in Loop: Header=BB2_2518 Depth=1
	s_or_b64 exec, exec, s[52:53]
	v_and_b32_e32 v3, 15, v39
	v_cndmask_b32_e64 v5, v19, v3, s[18:19]
	v_cmp_ne_u32_e32 vcc, 0, v5
	s_mov_b64 s[20:21], 0
	v_mov_b32_e32 v4, 0
                                        ; implicit-def: $vgpr6
                                        ; implicit-def: $vgpr2
	s_and_saveexec_b64 s[52:53], vcc
	s_cbranch_execz .LBB2_4631
; %bb.4630:                             ;   in Loop: Header=BB2_2518 Depth=1
	v_sub_u32_e32 v3, v19, v3
	v_and_b32_e32 v2, 0x3ffffc00, v39
	v_cndmask_b32_e64 v3, 0, v3, s[18:19]
	v_cmp_lt_i32_e32 vcc, 0, v1
	v_add_u32_e32 v4, v3, v2
	v_cndmask_b32_e32 v2, 0, v50, vcc
	v_sub_u32_e32 v1, v2, v1
	v_lshl_add_u32 v6, v1, 6, v0
	v_ashrrev_i32_e32 v0, 31, v6
	v_lshrrev_b32_e32 v0, 26, v0
	v_add_u32_e32 v0, v6, v0
	s_mov_b64 s[20:21], exec
	v_ashrrev_i32_e32 v2, 6, v0
.LBB2_4631:                             ;   in Loop: Header=BB2_2518 Depth=1
	s_or_b64 exec, exec, s[52:53]
	s_and_b64 s[18:19], s[20:21], exec
	v_bfrev_b32_e32 v50, 60
.LBB2_4632:                             ;   in Loop: Header=BB2_2518 Depth=1
	s_or_b64 exec, exec, s[50:51]
	v_accvgpr_read_b32 v30, a26
	v_accvgpr_read_b32 v32, a32
	;; [unrolled: 1-line block ×3, first 2 shown]
	s_and_saveexec_b64 s[20:21], s[18:19]
	s_cbranch_execz .LBB2_4901
.LBB2_4633:                             ;   in Loop: Header=BB2_2518 Depth=1
	v_ashrrev_i32_e32 v0, 31, v5
	v_add_u32_sdwa v0, v5, v0 dst_sel:DWORD dst_unused:UNUSED_PAD src0_sel:DWORD src1_sel:BYTE_3
	v_ashrrev_i32_e32 v7, 8, v0
	v_sub_u32_e32 v0, v7, v2
	v_ashrrev_i32_e32 v1, 31, v6
	v_cmp_lt_i32_e32 vcc, 0, v0
	v_lshrrev_b32_e32 v1, 26, v1
	s_and_saveexec_b64 s[50:51], vcc
	s_cbranch_execz .LBB2_4842
; %bb.4634:                             ;   in Loop: Header=BB2_2518 Depth=1
	s_trap 2
	ds_read_b128 v[8:11], v0
	ds_read_b64 v[12:13], v0
	v_add_u32_e32 v3, v6, v1
	v_and_b32_e32 v3, 0xffffffc0, v3
	v_sub_u32_e32 v3, v6, v3
	v_lshlrev_b32_e32 v2, 8, v2
	v_add3_u32 v14, v4, v3, v2
	v_ashrrev_i32_e32 v15, 31, v14
	s_waitcnt lgkmcnt(0)
	v_add_co_u32_e32 v2, vcc, v8, v14
	v_addc_co_u32_e32 v3, vcc, v9, v15, vcc
	v_add_co_u32_e32 v10, vcc, v10, v14
	v_addc_co_u32_e32 v11, vcc, v11, v15, vcc
	s_waitcnt lgkmcnt(0)
	v_add_co_u32_e32 v12, vcc, v12, v14
	v_addc_co_u32_e32 v13, vcc, v13, v15, vcc
	s_mov_b64 s[52:53], 0
	s_branch .LBB2_4636
.LBB2_4635:                             ;   in Loop: Header=BB2_4636 Depth=2
	s_or_b64 exec, exec, s[18:19]
	v_add_co_u32_e32 v2, vcc, v2, v34
	v_addc_co_u32_e32 v3, vcc, v3, v46, vcc
	v_add_co_u32_e32 v10, vcc, v10, v34
	v_addc_co_u32_e32 v11, vcc, v11, v46, vcc
	v_sub_u32_e32 v0, v0, v30
	v_cmp_gt_i32_e32 vcc, 1, v0
	flat_store_byte v[12:13], v9 glc slc
	flat_store_byte v[12:13], v18 offset:64 glc slc
	flat_store_byte v[12:13], v17 offset:128 glc slc
	;; [unrolled: 1-line block ×3, first 2 shown]
	s_or_b64 s[52:53], vcc, s[52:53]
	v_add_co_u32_e32 v12, vcc, v12, v34
	v_addc_co_u32_e32 v13, vcc, v13, v46, vcc
	s_andn2_b64 exec, exec, s[52:53]
	s_cbranch_execz .LBB2_4841
.LBB2_4636:                             ;   Parent Loop BB2_2518 Depth=1
                                        ; =>  This Inner Loop Header: Depth=2
	s_trap 2
	ds_read_b64 v[14:15], v0
	s_waitcnt lgkmcnt(0)
	v_cmp_eq_u16_sdwa vcc, v14, v37 src0_sel:BYTE_0 src1_sel:DWORD
	v_readfirstlane_b32 s18, v14
	v_readfirstlane_b32 s19, v15
	s_and_b64 vcc, exec, vcc
	s_cbranch_vccnz .LBB2_4640
; %bb.4637:                             ;   in Loop: Header=BB2_4636 Depth=2
	v_cmp_eq_u32_sdwa vcc, v14, s69 src0_sel:BYTE_0 src1_sel:DWORD
	s_and_b64 vcc, exec, vcc
	s_brev_b32 s60, 1
	s_cbranch_vccnz .LBB2_4641
; %bb.4638:                             ;   in Loop: Header=BB2_4636 Depth=2
	s_and_b32 vcc_lo, s18, 0x7f
	s_cmpk_eq_i32 vcc_lo, 0x7f
	s_mov_b32 s60, 0x7f800001
	s_cbranch_scc1 .LBB2_4641
; %bb.4639:                             ;   in Loop: Header=BB2_4636 Depth=2
	s_and_b32 vcc_hi, s18, 7
	s_flbit_i32_b32 vcc_hi, vcc_hi
	s_min_u32 vcc_hi, vcc_hi, 32
	s_lshr_b32 s54, vcc_lo, 3
	s_sub_i32 s55, vcc_hi, 28
	s_sub_i32 vcc_hi, 29, vcc_hi
	s_cmp_lt_u32 vcc_lo, 8
	s_cselect_b32 vcc_lo, s55, 0
	s_cselect_b32 s54, vcc_hi, s54
	s_lshl_b64 vcc, s[18:19], vcc_lo
	s_lshl_b32 s19, vcc_lo, 20
	s_lshl_b32 s18, s18, 24
	s_lshl_b32 vcc_lo, s54, 23
	s_and_b32 s18, s18, 0x80000000
	s_add_i32 vcc_lo, vcc_lo, 0x3c000000
	s_and_b32 s19, s19, 0x700000
	s_or_b32 s18, s18, vcc_lo
	s_or_b32 s60, s18, s19
	s_branch .LBB2_4641
.LBB2_4640:                             ;   in Loop: Header=BB2_4636 Depth=2
	s_mov_b32 s60, 0
.LBB2_4641:                             ;   in Loop: Header=BB2_4636 Depth=2
	flat_load_ubyte v8, v[2:3] glc slc
	v_mov_b32_e32 v9, 0
	s_waitcnt vmcnt(0) lgkmcnt(0)
	v_cmp_ne_u16_e32 vcc, 0, v8
	s_and_saveexec_b64 s[18:19], vcc
	s_cbranch_execz .LBB2_4647
; %bb.4642:                             ;   in Loop: Header=BB2_4636 Depth=2
	v_cmp_ne_u16_e32 vcc, s69, v8
	v_bfrev_b32_e32 v9, 1
	s_and_saveexec_b64 s[54:55], vcc
	s_cbranch_execz .LBB2_4646
; %bb.4643:                             ;   in Loop: Header=BB2_4636 Depth=2
	v_and_b32_e32 v14, 0xffff, v8
	v_and_b32_e32 v15, 0x7f, v14
	v_cmp_ne_u32_e32 vcc, s68, v15
	v_mov_b32_e32 v9, 0x7f800001
	s_and_saveexec_b64 s[56:57], vcc
	s_cbranch_execz .LBB2_4645
; %bb.4644:                             ;   in Loop: Header=BB2_4636 Depth=2
	v_and_b32_e32 v9, 7, v14
	v_ffbh_u32_e32 v16, v9
	v_min_u32_e32 v19, 32, v16
	v_subrev_u32_e32 v16, 28, v19
	v_lshlrev_b64 v[16:17], v16, v[14:15]
	v_lshrrev_b32_e32 v18, 3, v15
	v_sub_u32_e32 v14, 29, v19
	v_and_b32_e32 v16, 7, v16
	v_cmp_gt_u32_e32 vcc, 8, v15
	v_cndmask_b32_e32 v14, v18, v14, vcc
	v_cndmask_b32_e32 v9, v9, v16, vcc
	v_lshlrev_b32_e32 v8, 24, v8
	v_lshlrev_b32_e32 v9, 20, v9
	v_and_b32_e32 v8, 0x80000000, v8
	v_lshl_add_u32 v14, v14, 23, v50
	v_or3_b32 v9, v8, v14, v9
.LBB2_4645:                             ;   in Loop: Header=BB2_4636 Depth=2
	s_or_b64 exec, exec, s[56:57]
.LBB2_4646:                             ;   in Loop: Header=BB2_4636 Depth=2
	s_or_b64 exec, exec, s[54:55]
.LBB2_4647:                             ;   in Loop: Header=BB2_4636 Depth=2
	s_or_b64 exec, exec, s[18:19]
	v_mul_f32_e32 v14, s60, v9
	v_and_b32_sdwa v8, v14, s69 dst_sel:DWORD dst_unused:UNUSED_PAD src0_sel:BYTE_3 src1_sel:DWORD
	v_and_b32_e32 v16, 0x7f800000, v14
	v_mov_b32_e32 v17, v37
	v_and_b32_e32 v36, 0x7fffff, v14
	v_or_b32_e32 v9, 0x7e, v8
	v_cmp_ne_u64_e32 vcc, s[38:39], v[16:17]
	s_and_saveexec_b64 s[18:19], vcc
	s_xor_b64 s[54:55], exec, s[18:19]
	s_cbranch_execz .LBB2_4661
; %bb.4648:                             ;   in Loop: Header=BB2_4636 Depth=2
	v_and_b32_e32 v16, 0x7fffffff, v14
	v_mov_b32_e32 v17, v37
	v_cmp_gt_u64_e32 vcc, s[40:41], v[16:17]
	s_and_saveexec_b64 s[18:19], vcc
	s_xor_b64 s[56:57], exec, s[18:19]
	s_cbranch_execz .LBB2_4660
; %bb.4649:                             ;   in Loop: Header=BB2_4636 Depth=2
	v_cmp_ne_u32_e32 vcc, 0, v14
	v_mov_b32_e32 v9, 0
	s_and_saveexec_b64 s[58:59], vcc
	s_cbranch_execz .LBB2_4659
; %bb.4650:                             ;   in Loop: Header=BB2_4636 Depth=2
	v_bfe_u32 v9, v14, 23, 8
	v_sub_u32_e32 v15, 0x79, v9
	v_cmp_gt_u32_e32 vcc, s71, v9
	v_add_u32_e32 v14, 0xffffff81, v9
	v_cndmask_b32_e32 v15, 0, v15, vcc
	v_cmp_eq_u32_e32 vcc, 0, v9
	v_mov_b32_e32 v9, 0xffffff82
	v_cndmask_b32_e32 v9, v14, v9, vcc
	v_mov_b32_e32 v14, 0x78
	v_or_b32_e32 v16, 0x800000, v36
	v_cndmask_b32_e32 v17, v15, v14, vcc
	v_cndmask_b32_e32 v36, v16, v36, vcc
	v_add_u32_e32 v14, 20, v17
	v_lshlrev_b64 v[14:15], v14, -1
	v_add_u32_e32 v16, 19, v17
	v_lshrrev_b64 v[20:21], v17, v[36:37]
	v_not_b32_e32 v15, v15
	v_not_b32_e32 v14, v14
	v_lshlrev_b64 v[18:19], v16, 1
	v_lshrrev_b32_e32 v16, 23, v20
	v_and_b32_e32 v15, 0, v15
	v_and_b32_e32 v14, v36, v14
	v_add3_u32 v17, v17, v9, v16
	v_bfe_u32 v16, v20, 20, 1
	v_add_u32_e32 v16, -1, v16
	v_cmp_eq_u64_e32 vcc, v[14:15], v[18:19]
	v_cndmask_b32_e32 v14, 0, v16, vcc
	v_add_u32_e32 v14, v14, v20
	v_and_b32_e32 v14, 0xfffff, v14
	v_add_co_u32_e32 v14, vcc, v14, v20
	v_add_u32_e32 v9, 6, v17
	v_addc_co_u32_e32 v15, vcc, 0, v21, vcc
	v_cmp_ne_u32_e32 vcc, 0, v9
                                        ; implicit-def: $vgpr16
	s_and_saveexec_b64 s[18:19], vcc
	s_xor_b64 s[18:19], exec, s[18:19]
; %bb.4651:                             ;   in Loop: Header=BB2_4636 Depth=2
	v_add_u32_e32 v16, 7, v17
	v_cmp_lt_u64_e32 vcc, s[44:45], v[14:15]
	v_cndmask_b32_e32 v16, v9, v16, vcc
	v_cndmask_b32_e64 v9, 0, 1, vcc
	v_lshrrev_b64 v[14:15], v9, v[14:15]
; %bb.4652:                             ;   in Loop: Header=BB2_4636 Depth=2
	s_andn2_saveexec_b64 s[18:19], s[18:19]
; %bb.4653:                             ;   in Loop: Header=BB2_4636 Depth=2
	v_bfe_u32 v16, v14, 23, 1
; %bb.4654:                             ;   in Loop: Header=BB2_4636 Depth=2
	s_or_b64 exec, exec, s[18:19]
	v_lshrrev_b64 v[14:15], 20, v[14:15]
	v_cmp_gt_i32_e32 vcc, 16, v16
	v_cndmask_b32_e32 v15, 0, v15, vcc
	v_cndmask_b32_e32 v14, 7, v14, vcc
	v_cmp_ne_u32_e32 vcc, 0, v16
	v_cmp_ne_u64_e64 s[18:19], 0, v[14:15]
	s_or_b64 s[18:19], vcc, s[18:19]
                                        ; implicit-def: $vgpr9
	s_and_saveexec_b64 vcc, s[18:19]
	s_xor_b64 s[18:19], exec, vcc
; %bb.4655:                             ;   in Loop: Header=BB2_4636 Depth=2
	v_min_i32_e32 v9, 15, v16
	v_lshl_or_b32 v8, v9, 3, v8
	v_and_or_b32 v9, v14, 7, v8
                                        ; implicit-def: $vgpr8
; %bb.4656:                             ;   in Loop: Header=BB2_4636 Depth=2
	s_andn2_saveexec_b64 s[18:19], s[18:19]
; %bb.4657:                             ;   in Loop: Header=BB2_4636 Depth=2
	v_mov_b32_e32 v9, v8
; %bb.4658:                             ;   in Loop: Header=BB2_4636 Depth=2
	s_or_b64 exec, exec, s[18:19]
.LBB2_4659:                             ;   in Loop: Header=BB2_4636 Depth=2
	s_or_b64 exec, exec, s[58:59]
.LBB2_4660:                             ;   in Loop: Header=BB2_4636 Depth=2
	s_andn2_saveexec_b64 s[18:19], s[56:57]
	s_or_b64 exec, exec, s[18:19]
                                        ; implicit-def: $vgpr14
.LBB2_4661:                             ;   in Loop: Header=BB2_4636 Depth=2
	s_andn2_saveexec_b64 s[18:19], s[54:55]
; %bb.4662:                             ;   in Loop: Header=BB2_4636 Depth=2
	v_or_b32_sdwa v8, v14, s68 dst_sel:DWORD dst_unused:UNUSED_PAD src0_sel:BYTE_3 src1_sel:DWORD
	v_cmp_eq_u64_e32 vcc, 0, v[36:37]
	v_cndmask_b32_e32 v9, v8, v9, vcc
; %bb.4663:                             ;   in Loop: Header=BB2_4636 Depth=2
	s_or_b64 exec, exec, s[18:19]
	flat_load_ubyte v8, v[2:3] offset:64 glc slc
	v_mov_b32_e32 v15, 0
	s_waitcnt vmcnt(0) lgkmcnt(0)
	v_cmp_ne_u16_e32 vcc, 0, v8
	s_and_saveexec_b64 s[18:19], vcc
	s_cbranch_execz .LBB2_4669
; %bb.4664:                             ;   in Loop: Header=BB2_4636 Depth=2
	v_cmp_ne_u16_e32 vcc, s69, v8
	v_bfrev_b32_e32 v15, 1
	s_and_saveexec_b64 s[54:55], vcc
	s_cbranch_execz .LBB2_4668
; %bb.4665:                             ;   in Loop: Header=BB2_4636 Depth=2
	v_and_b32_e32 v14, 0xffff, v8
	v_and_b32_e32 v16, 0x7f, v14
	v_cmp_ne_u32_e32 vcc, s68, v16
	v_mov_b32_e32 v15, 0x7f800001
	s_and_saveexec_b64 s[56:57], vcc
	s_cbranch_execz .LBB2_4667
; %bb.4666:                             ;   in Loop: Header=BB2_4636 Depth=2
	v_and_b32_e32 v17, 7, v14
	v_ffbh_u32_e32 v15, v17
	v_min_u32_e32 v19, 32, v15
	v_subrev_u32_e32 v15, 28, v19
	v_lshlrev_b64 v[14:15], v15, v[14:15]
	v_lshrrev_b32_e32 v18, 3, v16
	v_sub_u32_e32 v15, 29, v19
	v_and_b32_e32 v14, 7, v14
	v_cmp_gt_u32_e32 vcc, 8, v16
	v_cndmask_b32_e32 v15, v18, v15, vcc
	v_cndmask_b32_e32 v14, v17, v14, vcc
	v_lshlrev_b32_e32 v8, 24, v8
	v_lshlrev_b32_e32 v14, 20, v14
	v_and_b32_e32 v8, 0x80000000, v8
	v_lshl_add_u32 v15, v15, 23, v50
	v_or3_b32 v15, v8, v15, v14
.LBB2_4667:                             ;   in Loop: Header=BB2_4636 Depth=2
	s_or_b64 exec, exec, s[56:57]
.LBB2_4668:                             ;   in Loop: Header=BB2_4636 Depth=2
	s_or_b64 exec, exec, s[54:55]
.LBB2_4669:                             ;   in Loop: Header=BB2_4636 Depth=2
	s_or_b64 exec, exec, s[18:19]
	v_mul_f32_e32 v14, s60, v15
	v_and_b32_sdwa v8, v14, s69 dst_sel:DWORD dst_unused:UNUSED_PAD src0_sel:BYTE_3 src1_sel:DWORD
	v_and_b32_e32 v16, 0x7f800000, v14
	v_mov_b32_e32 v17, v37
	v_and_b32_e32 v36, 0x7fffff, v14
	v_or_b32_e32 v18, 0x7e, v8
	v_cmp_ne_u64_e32 vcc, s[38:39], v[16:17]
	s_and_saveexec_b64 s[18:19], vcc
	s_xor_b64 s[54:55], exec, s[18:19]
	s_cbranch_execz .LBB2_4683
; %bb.4670:                             ;   in Loop: Header=BB2_4636 Depth=2
	v_and_b32_e32 v16, 0x7fffffff, v14
	v_mov_b32_e32 v17, v37
	v_cmp_gt_u64_e32 vcc, s[40:41], v[16:17]
	s_and_saveexec_b64 s[18:19], vcc
	s_xor_b64 s[56:57], exec, s[18:19]
	s_cbranch_execz .LBB2_4682
; %bb.4671:                             ;   in Loop: Header=BB2_4636 Depth=2
	v_cmp_ne_u32_e32 vcc, 0, v14
	v_mov_b32_e32 v18, 0
	s_and_saveexec_b64 s[58:59], vcc
	s_cbranch_execz .LBB2_4681
; %bb.4672:                             ;   in Loop: Header=BB2_4636 Depth=2
	v_bfe_u32 v14, v14, 23, 8
	v_sub_u32_e32 v16, 0x79, v14
	v_cmp_gt_u32_e32 vcc, s71, v14
	v_add_u32_e32 v15, 0xffffff81, v14
	v_cndmask_b32_e32 v16, 0, v16, vcc
	v_cmp_eq_u32_e32 vcc, 0, v14
	v_mov_b32_e32 v14, 0xffffff82
	v_cndmask_b32_e32 v18, v15, v14, vcc
	v_mov_b32_e32 v14, 0x78
	v_or_b32_e32 v17, 0x800000, v36
	v_cndmask_b32_e32 v16, v16, v14, vcc
	v_cndmask_b32_e32 v36, v17, v36, vcc
	v_add_u32_e32 v14, 20, v16
	v_lshlrev_b64 v[14:15], v14, -1
	v_add_u32_e32 v17, 19, v16
	v_lshrrev_b64 v[22:23], v16, v[36:37]
	v_not_b32_e32 v15, v15
	v_not_b32_e32 v14, v14
	v_lshlrev_b64 v[20:21], v17, 1
	v_lshrrev_b32_e32 v17, 23, v22
	v_and_b32_e32 v15, 0, v15
	v_and_b32_e32 v14, v36, v14
	v_add3_u32 v18, v16, v18, v17
	v_bfe_u32 v16, v22, 20, 1
	v_add_u32_e32 v16, -1, v16
	v_cmp_eq_u64_e32 vcc, v[14:15], v[20:21]
	v_cndmask_b32_e32 v14, 0, v16, vcc
	v_add_u32_e32 v14, v14, v22
	v_and_b32_e32 v14, 0xfffff, v14
	v_add_co_u32_e32 v14, vcc, v14, v22
	v_add_u32_e32 v17, 6, v18
	v_addc_co_u32_e32 v15, vcc, 0, v23, vcc
	v_cmp_ne_u32_e32 vcc, 0, v17
                                        ; implicit-def: $vgpr16
	s_and_saveexec_b64 s[18:19], vcc
	s_xor_b64 s[18:19], exec, s[18:19]
; %bb.4673:                             ;   in Loop: Header=BB2_4636 Depth=2
	v_add_u32_e32 v16, 7, v18
	v_cmp_lt_u64_e32 vcc, s[44:45], v[14:15]
	v_cndmask_b32_e32 v16, v17, v16, vcc
	v_cndmask_b32_e64 v17, 0, 1, vcc
	v_lshrrev_b64 v[14:15], v17, v[14:15]
; %bb.4674:                             ;   in Loop: Header=BB2_4636 Depth=2
	s_andn2_saveexec_b64 s[18:19], s[18:19]
; %bb.4675:                             ;   in Loop: Header=BB2_4636 Depth=2
	v_bfe_u32 v16, v14, 23, 1
; %bb.4676:                             ;   in Loop: Header=BB2_4636 Depth=2
	s_or_b64 exec, exec, s[18:19]
	v_lshrrev_b64 v[14:15], 20, v[14:15]
	v_cmp_gt_i32_e32 vcc, 16, v16
	v_cndmask_b32_e32 v15, 0, v15, vcc
	v_cndmask_b32_e32 v14, 7, v14, vcc
	v_cmp_ne_u32_e32 vcc, 0, v16
	v_cmp_ne_u64_e64 s[18:19], 0, v[14:15]
	s_or_b64 s[18:19], vcc, s[18:19]
                                        ; implicit-def: $vgpr18
	s_and_saveexec_b64 vcc, s[18:19]
	s_xor_b64 s[18:19], exec, vcc
; %bb.4677:                             ;   in Loop: Header=BB2_4636 Depth=2
	v_min_i32_e32 v15, 15, v16
	v_lshl_or_b32 v8, v15, 3, v8
	v_and_or_b32 v18, v14, 7, v8
                                        ; implicit-def: $vgpr8
; %bb.4678:                             ;   in Loop: Header=BB2_4636 Depth=2
	s_andn2_saveexec_b64 s[18:19], s[18:19]
; %bb.4679:                             ;   in Loop: Header=BB2_4636 Depth=2
	v_mov_b32_e32 v18, v8
; %bb.4680:                             ;   in Loop: Header=BB2_4636 Depth=2
	s_or_b64 exec, exec, s[18:19]
.LBB2_4681:                             ;   in Loop: Header=BB2_4636 Depth=2
	s_or_b64 exec, exec, s[58:59]
.LBB2_4682:                             ;   in Loop: Header=BB2_4636 Depth=2
	s_andn2_saveexec_b64 s[18:19], s[56:57]
	s_or_b64 exec, exec, s[18:19]
                                        ; implicit-def: $vgpr14
.LBB2_4683:                             ;   in Loop: Header=BB2_4636 Depth=2
	s_andn2_saveexec_b64 s[18:19], s[54:55]
; %bb.4684:                             ;   in Loop: Header=BB2_4636 Depth=2
	v_or_b32_sdwa v8, v14, s68 dst_sel:DWORD dst_unused:UNUSED_PAD src0_sel:BYTE_3 src1_sel:DWORD
	v_cmp_eq_u64_e32 vcc, 0, v[36:37]
	v_cndmask_b32_e32 v18, v8, v18, vcc
; %bb.4685:                             ;   in Loop: Header=BB2_4636 Depth=2
	s_or_b64 exec, exec, s[18:19]
	flat_load_ubyte v8, v[2:3] offset:128 glc slc
	v_mov_b32_e32 v15, 0
	s_waitcnt vmcnt(0) lgkmcnt(0)
	v_cmp_ne_u16_e32 vcc, 0, v8
	s_and_saveexec_b64 s[18:19], vcc
	s_cbranch_execz .LBB2_4691
; %bb.4686:                             ;   in Loop: Header=BB2_4636 Depth=2
	v_cmp_ne_u16_e32 vcc, s69, v8
	v_bfrev_b32_e32 v15, 1
	s_and_saveexec_b64 s[54:55], vcc
	s_cbranch_execz .LBB2_4690
; %bb.4687:                             ;   in Loop: Header=BB2_4636 Depth=2
	v_and_b32_e32 v14, 0xffff, v8
	v_and_b32_e32 v16, 0x7f, v14
	v_cmp_ne_u32_e32 vcc, s68, v16
	v_mov_b32_e32 v15, 0x7f800001
	s_and_saveexec_b64 s[56:57], vcc
	s_cbranch_execz .LBB2_4689
; %bb.4688:                             ;   in Loop: Header=BB2_4636 Depth=2
	v_and_b32_e32 v17, 7, v14
	v_ffbh_u32_e32 v15, v17
	v_min_u32_e32 v20, 32, v15
	v_subrev_u32_e32 v15, 28, v20
	v_lshlrev_b64 v[14:15], v15, v[14:15]
	v_lshrrev_b32_e32 v19, 3, v16
	v_sub_u32_e32 v15, 29, v20
	v_and_b32_e32 v14, 7, v14
	v_cmp_gt_u32_e32 vcc, 8, v16
	v_cndmask_b32_e32 v15, v19, v15, vcc
	v_cndmask_b32_e32 v14, v17, v14, vcc
	v_lshlrev_b32_e32 v8, 24, v8
	v_lshlrev_b32_e32 v14, 20, v14
	v_and_b32_e32 v8, 0x80000000, v8
	v_lshl_add_u32 v15, v15, 23, v50
	v_or3_b32 v15, v8, v15, v14
.LBB2_4689:                             ;   in Loop: Header=BB2_4636 Depth=2
	s_or_b64 exec, exec, s[56:57]
.LBB2_4690:                             ;   in Loop: Header=BB2_4636 Depth=2
	s_or_b64 exec, exec, s[54:55]
.LBB2_4691:                             ;   in Loop: Header=BB2_4636 Depth=2
	s_or_b64 exec, exec, s[18:19]
	v_mul_f32_e32 v14, s60, v15
	v_and_b32_sdwa v8, v14, s69 dst_sel:DWORD dst_unused:UNUSED_PAD src0_sel:BYTE_3 src1_sel:DWORD
	v_and_b32_e32 v20, 0x7f800000, v14
	v_mov_b32_e32 v21, v37
	v_and_b32_e32 v36, 0x7fffff, v14
	v_or_b32_e32 v17, 0x7e, v8
	v_cmp_ne_u64_e32 vcc, s[38:39], v[20:21]
	s_and_saveexec_b64 s[18:19], vcc
	s_xor_b64 s[54:55], exec, s[18:19]
	s_cbranch_execz .LBB2_4705
; %bb.4692:                             ;   in Loop: Header=BB2_4636 Depth=2
	v_and_b32_e32 v20, 0x7fffffff, v14
	v_mov_b32_e32 v21, v37
	v_cmp_gt_u64_e32 vcc, s[40:41], v[20:21]
	s_and_saveexec_b64 s[18:19], vcc
	s_xor_b64 s[56:57], exec, s[18:19]
	s_cbranch_execz .LBB2_4704
; %bb.4693:                             ;   in Loop: Header=BB2_4636 Depth=2
	v_cmp_ne_u32_e32 vcc, 0, v14
	v_mov_b32_e32 v17, 0
	s_and_saveexec_b64 s[58:59], vcc
	s_cbranch_execz .LBB2_4703
; %bb.4694:                             ;   in Loop: Header=BB2_4636 Depth=2
	v_bfe_u32 v14, v14, 23, 8
	v_sub_u32_e32 v16, 0x79, v14
	v_cmp_gt_u32_e32 vcc, s71, v14
	v_add_u32_e32 v15, 0xffffff81, v14
	v_cndmask_b32_e32 v16, 0, v16, vcc
	v_cmp_eq_u32_e32 vcc, 0, v14
	v_mov_b32_e32 v14, 0xffffff82
	v_cndmask_b32_e32 v19, v15, v14, vcc
	v_mov_b32_e32 v14, 0x78
	v_or_b32_e32 v17, 0x800000, v36
	v_cndmask_b32_e32 v16, v16, v14, vcc
	v_cndmask_b32_e32 v36, v17, v36, vcc
	v_add_u32_e32 v14, 20, v16
	v_lshlrev_b64 v[14:15], v14, -1
	v_add_u32_e32 v17, 19, v16
	v_lshrrev_b64 v[22:23], v16, v[36:37]
	v_not_b32_e32 v15, v15
	v_not_b32_e32 v14, v14
	v_lshlrev_b64 v[20:21], v17, 1
	v_lshrrev_b32_e32 v17, 23, v22
	v_and_b32_e32 v15, 0, v15
	v_and_b32_e32 v14, v36, v14
	v_add3_u32 v19, v16, v19, v17
	v_bfe_u32 v16, v22, 20, 1
	v_add_u32_e32 v16, -1, v16
	v_cmp_eq_u64_e32 vcc, v[14:15], v[20:21]
	v_cndmask_b32_e32 v14, 0, v16, vcc
	v_add_u32_e32 v14, v14, v22
	v_and_b32_e32 v14, 0xfffff, v14
	v_add_co_u32_e32 v14, vcc, v14, v22
	v_add_u32_e32 v17, 6, v19
	v_addc_co_u32_e32 v15, vcc, 0, v23, vcc
	v_cmp_ne_u32_e32 vcc, 0, v17
                                        ; implicit-def: $vgpr16
	s_and_saveexec_b64 s[18:19], vcc
	s_xor_b64 s[18:19], exec, s[18:19]
; %bb.4695:                             ;   in Loop: Header=BB2_4636 Depth=2
	v_add_u32_e32 v16, 7, v19
	v_cmp_lt_u64_e32 vcc, s[44:45], v[14:15]
	v_cndmask_b32_e32 v16, v17, v16, vcc
	v_cndmask_b32_e64 v17, 0, 1, vcc
	v_lshrrev_b64 v[14:15], v17, v[14:15]
; %bb.4696:                             ;   in Loop: Header=BB2_4636 Depth=2
	s_andn2_saveexec_b64 s[18:19], s[18:19]
; %bb.4697:                             ;   in Loop: Header=BB2_4636 Depth=2
	v_bfe_u32 v16, v14, 23, 1
; %bb.4698:                             ;   in Loop: Header=BB2_4636 Depth=2
	s_or_b64 exec, exec, s[18:19]
	v_lshrrev_b64 v[14:15], 20, v[14:15]
	v_cmp_gt_i32_e32 vcc, 16, v16
	v_cndmask_b32_e32 v15, 0, v15, vcc
	v_cndmask_b32_e32 v14, 7, v14, vcc
	v_cmp_ne_u32_e32 vcc, 0, v16
	v_cmp_ne_u64_e64 s[18:19], 0, v[14:15]
	s_or_b64 s[18:19], vcc, s[18:19]
                                        ; implicit-def: $vgpr17
	s_and_saveexec_b64 vcc, s[18:19]
	s_xor_b64 s[18:19], exec, vcc
; %bb.4699:                             ;   in Loop: Header=BB2_4636 Depth=2
	v_min_i32_e32 v15, 15, v16
	v_lshl_or_b32 v8, v15, 3, v8
	v_and_or_b32 v17, v14, 7, v8
                                        ; implicit-def: $vgpr8
; %bb.4700:                             ;   in Loop: Header=BB2_4636 Depth=2
	s_andn2_saveexec_b64 s[18:19], s[18:19]
; %bb.4701:                             ;   in Loop: Header=BB2_4636 Depth=2
	v_mov_b32_e32 v17, v8
; %bb.4702:                             ;   in Loop: Header=BB2_4636 Depth=2
	s_or_b64 exec, exec, s[18:19]
.LBB2_4703:                             ;   in Loop: Header=BB2_4636 Depth=2
	s_or_b64 exec, exec, s[58:59]
.LBB2_4704:                             ;   in Loop: Header=BB2_4636 Depth=2
	s_andn2_saveexec_b64 s[18:19], s[56:57]
	s_or_b64 exec, exec, s[18:19]
                                        ; implicit-def: $vgpr14
.LBB2_4705:                             ;   in Loop: Header=BB2_4636 Depth=2
	s_andn2_saveexec_b64 s[18:19], s[54:55]
; %bb.4706:                             ;   in Loop: Header=BB2_4636 Depth=2
	v_or_b32_sdwa v8, v14, s68 dst_sel:DWORD dst_unused:UNUSED_PAD src0_sel:BYTE_3 src1_sel:DWORD
	v_cmp_eq_u64_e32 vcc, 0, v[36:37]
	v_cndmask_b32_e32 v17, v8, v17, vcc
; %bb.4707:                             ;   in Loop: Header=BB2_4636 Depth=2
	s_or_b64 exec, exec, s[18:19]
	flat_load_ubyte v8, v[2:3] offset:192 glc slc
	v_mov_b32_e32 v15, 0
	s_waitcnt vmcnt(0) lgkmcnt(0)
	v_cmp_ne_u16_e32 vcc, 0, v8
	s_and_saveexec_b64 s[18:19], vcc
	s_cbranch_execz .LBB2_4713
; %bb.4708:                             ;   in Loop: Header=BB2_4636 Depth=2
	v_cmp_ne_u16_e32 vcc, s69, v8
	v_bfrev_b32_e32 v15, 1
	s_and_saveexec_b64 s[54:55], vcc
	s_cbranch_execz .LBB2_4712
; %bb.4709:                             ;   in Loop: Header=BB2_4636 Depth=2
	v_and_b32_e32 v14, 0xffff, v8
	v_and_b32_e32 v16, 0x7f, v14
	v_cmp_ne_u32_e32 vcc, s68, v16
	v_mov_b32_e32 v15, 0x7f800001
	s_and_saveexec_b64 s[56:57], vcc
	s_cbranch_execz .LBB2_4711
; %bb.4710:                             ;   in Loop: Header=BB2_4636 Depth=2
	v_and_b32_e32 v19, 7, v14
	v_ffbh_u32_e32 v15, v19
	v_min_u32_e32 v21, 32, v15
	v_subrev_u32_e32 v15, 28, v21
	v_lshlrev_b64 v[14:15], v15, v[14:15]
	v_lshrrev_b32_e32 v20, 3, v16
	v_sub_u32_e32 v15, 29, v21
	v_and_b32_e32 v14, 7, v14
	v_cmp_gt_u32_e32 vcc, 8, v16
	v_cndmask_b32_e32 v15, v20, v15, vcc
	v_cndmask_b32_e32 v14, v19, v14, vcc
	v_lshlrev_b32_e32 v8, 24, v8
	v_lshlrev_b32_e32 v14, 20, v14
	v_and_b32_e32 v8, 0x80000000, v8
	v_lshl_add_u32 v15, v15, 23, v50
	v_or3_b32 v15, v8, v15, v14
.LBB2_4711:                             ;   in Loop: Header=BB2_4636 Depth=2
	s_or_b64 exec, exec, s[56:57]
.LBB2_4712:                             ;   in Loop: Header=BB2_4636 Depth=2
	s_or_b64 exec, exec, s[54:55]
.LBB2_4713:                             ;   in Loop: Header=BB2_4636 Depth=2
	s_or_b64 exec, exec, s[18:19]
	v_mul_f32_e32 v14, s60, v15
	v_and_b32_sdwa v16, v14, s69 dst_sel:DWORD dst_unused:UNUSED_PAD src0_sel:BYTE_3 src1_sel:DWORD
	v_and_b32_e32 v20, 0x7f800000, v14
	v_mov_b32_e32 v21, v37
	v_and_b32_e32 v36, 0x7fffff, v14
	v_or_b32_e32 v8, 0x7e, v16
	v_cmp_ne_u64_e32 vcc, s[38:39], v[20:21]
	s_and_saveexec_b64 s[18:19], vcc
	s_xor_b64 s[54:55], exec, s[18:19]
	s_cbranch_execz .LBB2_4727
; %bb.4714:                             ;   in Loop: Header=BB2_4636 Depth=2
	v_and_b32_e32 v20, 0x7fffffff, v14
	v_mov_b32_e32 v21, v37
	v_cmp_gt_u64_e32 vcc, s[40:41], v[20:21]
	s_and_saveexec_b64 s[18:19], vcc
	s_xor_b64 s[56:57], exec, s[18:19]
	s_cbranch_execz .LBB2_4726
; %bb.4715:                             ;   in Loop: Header=BB2_4636 Depth=2
	v_cmp_ne_u32_e32 vcc, 0, v14
	v_mov_b32_e32 v8, 0
	s_and_saveexec_b64 s[58:59], vcc
	s_cbranch_execz .LBB2_4725
; %bb.4716:                             ;   in Loop: Header=BB2_4636 Depth=2
	v_bfe_u32 v8, v14, 23, 8
	v_sub_u32_e32 v15, 0x79, v8
	v_cmp_gt_u32_e32 vcc, s71, v8
	v_add_u32_e32 v14, 0xffffff81, v8
	v_cndmask_b32_e32 v15, 0, v15, vcc
	v_cmp_eq_u32_e32 vcc, 0, v8
	v_mov_b32_e32 v8, 0xffffff82
	v_cndmask_b32_e32 v8, v14, v8, vcc
	v_mov_b32_e32 v14, 0x78
	v_or_b32_e32 v19, 0x800000, v36
	v_cndmask_b32_e32 v20, v15, v14, vcc
	v_cndmask_b32_e32 v36, v19, v36, vcc
	v_add_u32_e32 v14, 20, v20
	v_lshlrev_b64 v[14:15], v14, -1
	v_add_u32_e32 v19, 19, v20
	v_lshrrev_b64 v[24:25], v20, v[36:37]
	v_not_b32_e32 v15, v15
	v_not_b32_e32 v14, v14
	v_lshlrev_b64 v[22:23], v19, 1
	v_lshrrev_b32_e32 v19, 23, v24
	v_and_b32_e32 v15, 0, v15
	v_and_b32_e32 v14, v36, v14
	v_add3_u32 v20, v20, v8, v19
	v_bfe_u32 v19, v24, 20, 1
	v_add_u32_e32 v19, -1, v19
	v_cmp_eq_u64_e32 vcc, v[14:15], v[22:23]
	v_cndmask_b32_e32 v14, 0, v19, vcc
	v_add_u32_e32 v14, v14, v24
	v_and_b32_e32 v14, 0xfffff, v14
	v_add_co_u32_e32 v14, vcc, v14, v24
	v_add_u32_e32 v8, 6, v20
	v_addc_co_u32_e32 v15, vcc, 0, v25, vcc
	v_cmp_ne_u32_e32 vcc, 0, v8
                                        ; implicit-def: $vgpr19
	s_and_saveexec_b64 s[18:19], vcc
	s_xor_b64 s[18:19], exec, s[18:19]
; %bb.4717:                             ;   in Loop: Header=BB2_4636 Depth=2
	v_add_u32_e32 v19, 7, v20
	v_cmp_lt_u64_e32 vcc, s[44:45], v[14:15]
	v_cndmask_b32_e32 v19, v8, v19, vcc
	v_cndmask_b32_e64 v8, 0, 1, vcc
	v_lshrrev_b64 v[14:15], v8, v[14:15]
; %bb.4718:                             ;   in Loop: Header=BB2_4636 Depth=2
	s_andn2_saveexec_b64 s[18:19], s[18:19]
; %bb.4719:                             ;   in Loop: Header=BB2_4636 Depth=2
	v_bfe_u32 v19, v14, 23, 1
; %bb.4720:                             ;   in Loop: Header=BB2_4636 Depth=2
	s_or_b64 exec, exec, s[18:19]
	v_lshrrev_b64 v[14:15], 20, v[14:15]
	v_cmp_gt_i32_e32 vcc, 16, v19
	v_cndmask_b32_e32 v15, 0, v15, vcc
	v_cndmask_b32_e32 v14, 7, v14, vcc
	v_cmp_ne_u32_e32 vcc, 0, v19
	v_cmp_ne_u64_e64 s[18:19], 0, v[14:15]
	s_or_b64 s[18:19], vcc, s[18:19]
                                        ; implicit-def: $vgpr8
	s_and_saveexec_b64 vcc, s[18:19]
	s_xor_b64 s[18:19], exec, vcc
; %bb.4721:                             ;   in Loop: Header=BB2_4636 Depth=2
	v_min_i32_e32 v8, 15, v19
	v_lshl_or_b32 v8, v8, 3, v16
	v_and_or_b32 v8, v14, 7, v8
                                        ; implicit-def: $vgpr16
; %bb.4722:                             ;   in Loop: Header=BB2_4636 Depth=2
	s_andn2_saveexec_b64 s[18:19], s[18:19]
; %bb.4723:                             ;   in Loop: Header=BB2_4636 Depth=2
	v_mov_b32_e32 v8, v16
; %bb.4724:                             ;   in Loop: Header=BB2_4636 Depth=2
	s_or_b64 exec, exec, s[18:19]
.LBB2_4725:                             ;   in Loop: Header=BB2_4636 Depth=2
	s_or_b64 exec, exec, s[58:59]
.LBB2_4726:                             ;   in Loop: Header=BB2_4636 Depth=2
	s_andn2_saveexec_b64 s[18:19], s[56:57]
	s_or_b64 exec, exec, s[18:19]
                                        ; implicit-def: $vgpr14
.LBB2_4727:                             ;   in Loop: Header=BB2_4636 Depth=2
	s_andn2_saveexec_b64 s[18:19], s[54:55]
; %bb.4728:                             ;   in Loop: Header=BB2_4636 Depth=2
	v_or_b32_sdwa v14, v14, s68 dst_sel:DWORD dst_unused:UNUSED_PAD src0_sel:BYTE_3 src1_sel:DWORD
	v_cmp_eq_u64_e32 vcc, 0, v[36:37]
	v_cndmask_b32_e32 v8, v14, v8, vcc
; %bb.4729:                             ;   in Loop: Header=BB2_4636 Depth=2
	s_or_b64 exec, exec, s[18:19]
	flat_load_ubyte v15, v[10:11] glc slc
	flat_load_ubyte v20, v[10:11] offset:64 glc slc
	flat_load_ubyte v19, v[10:11] offset:128 glc slc
	;; [unrolled: 1-line block ×3, first 2 shown]
	v_and_b32_e32 v14, 0xff, v9
	v_cmp_ne_u16_e32 vcc, 0, v14
	v_mov_b32_e32 v21, 0
	v_mov_b32_e32 v24, 0
	s_and_saveexec_b64 s[18:19], vcc
	s_cbranch_execz .LBB2_4735
; %bb.4730:                             ;   in Loop: Header=BB2_4636 Depth=2
	v_cmp_ne_u16_e32 vcc, s69, v14
	v_bfrev_b32_e32 v24, 1
	s_and_saveexec_b64 s[54:55], vcc
	s_cbranch_execz .LBB2_4734
; %bb.4731:                             ;   in Loop: Header=BB2_4636 Depth=2
	v_and_b32_e32 v25, 0x7f, v9
	v_cmp_ne_u32_e32 vcc, s68, v25
	v_mov_b32_e32 v24, 0x7f800001
	s_and_saveexec_b64 s[56:57], vcc
	s_cbranch_execz .LBB2_4733
; %bb.4732:                             ;   in Loop: Header=BB2_4636 Depth=2
	v_and_b32_e32 v24, 7, v14
	v_ffbh_u32_e32 v22, v24
	v_min_u32_e32 v27, 32, v22
	v_subrev_u32_e32 v22, 28, v27
	s_waitcnt vmcnt(0) lgkmcnt(0)
	v_lshlrev_b64 v[22:23], v22, v[14:15]
	v_lshrrev_b32_e32 v26, 3, v25
	v_sub_u32_e32 v14, 29, v27
	v_and_b32_e32 v22, 7, v22
	v_cmp_gt_u32_e32 vcc, 8, v25
	v_cndmask_b32_e32 v14, v26, v14, vcc
	v_cndmask_b32_e32 v22, v24, v22, vcc
	v_lshlrev_b32_e32 v9, 24, v9
	v_lshlrev_b32_e32 v22, 20, v22
	v_and_b32_e32 v9, 0x80000000, v9
	v_lshl_add_u32 v14, v14, 23, v50
	v_or3_b32 v24, v9, v14, v22
.LBB2_4733:                             ;   in Loop: Header=BB2_4636 Depth=2
	s_or_b64 exec, exec, s[56:57]
.LBB2_4734:                             ;   in Loop: Header=BB2_4636 Depth=2
	s_or_b64 exec, exec, s[54:55]
.LBB2_4735:                             ;   in Loop: Header=BB2_4636 Depth=2
	s_or_b64 exec, exec, s[18:19]
	s_waitcnt vmcnt(0) lgkmcnt(0)
	v_and_b32_e32 v14, 0xff, v15
	v_cmp_ne_u16_e32 vcc, 0, v14
	s_and_saveexec_b64 s[18:19], vcc
	s_cbranch_execz .LBB2_4741
; %bb.4736:                             ;   in Loop: Header=BB2_4636 Depth=2
	v_cmp_ne_u16_e32 vcc, s69, v14
	v_bfrev_b32_e32 v21, 1
	s_and_saveexec_b64 s[54:55], vcc
	s_cbranch_execz .LBB2_4740
; %bb.4737:                             ;   in Loop: Header=BB2_4636 Depth=2
	v_and_b32_e32 v9, 0x7f, v15
	v_cmp_ne_u32_e32 vcc, s68, v9
	v_mov_b32_e32 v21, 0x7f800001
	s_and_saveexec_b64 s[56:57], vcc
	s_cbranch_execz .LBB2_4739
; %bb.4738:                             ;   in Loop: Header=BB2_4636 Depth=2
	v_and_b32_e32 v21, 7, v14
	v_ffbh_u32_e32 v22, v21
	v_min_u32_e32 v26, 32, v22
	v_subrev_u32_e32 v22, 28, v26
	v_lshlrev_b64 v[22:23], v22, v[14:15]
	v_lshrrev_b32_e32 v25, 3, v9
	v_sub_u32_e32 v14, 29, v26
	v_and_b32_e32 v22, 7, v22
	v_cmp_gt_u32_e32 vcc, 8, v9
	v_cndmask_b32_e32 v9, v25, v14, vcc
	v_cndmask_b32_e32 v14, v21, v22, vcc
	v_lshlrev_b32_e32 v15, 24, v15
	v_lshlrev_b32_e32 v14, 20, v14
	v_and_b32_e32 v15, 0x80000000, v15
	v_lshl_add_u32 v9, v9, 23, v50
	v_or3_b32 v21, v15, v9, v14
.LBB2_4739:                             ;   in Loop: Header=BB2_4636 Depth=2
	s_or_b64 exec, exec, s[56:57]
.LBB2_4740:                             ;   in Loop: Header=BB2_4636 Depth=2
	s_or_b64 exec, exec, s[54:55]
.LBB2_4741:                             ;   in Loop: Header=BB2_4636 Depth=2
	s_or_b64 exec, exec, s[18:19]
	v_add_f32_e32 v14, v24, v21
	v_and_b32_sdwa v21, v14, s69 dst_sel:DWORD dst_unused:UNUSED_PAD src0_sel:BYTE_3 src1_sel:DWORD
	v_and_b32_e32 v22, 0x7f800000, v14
	v_mov_b32_e32 v23, v37
	v_and_b32_e32 v36, 0x7fffff, v14
	v_or_b32_e32 v9, 0x7e, v21
	v_cmp_ne_u64_e32 vcc, s[38:39], v[22:23]
	s_and_saveexec_b64 s[18:19], vcc
	s_xor_b64 s[54:55], exec, s[18:19]
	s_cbranch_execz .LBB2_4755
; %bb.4742:                             ;   in Loop: Header=BB2_4636 Depth=2
	v_and_b32_e32 v22, 0x7fffffff, v14
	v_mov_b32_e32 v23, v37
	v_cmp_gt_u64_e32 vcc, s[40:41], v[22:23]
	s_and_saveexec_b64 s[18:19], vcc
	s_xor_b64 s[56:57], exec, s[18:19]
	s_cbranch_execz .LBB2_4754
; %bb.4743:                             ;   in Loop: Header=BB2_4636 Depth=2
	v_cmp_ne_u32_e32 vcc, 0, v14
	v_mov_b32_e32 v9, 0
	s_and_saveexec_b64 s[58:59], vcc
	s_cbranch_execz .LBB2_4753
; %bb.4744:                             ;   in Loop: Header=BB2_4636 Depth=2
	v_bfe_u32 v9, v14, 23, 8
	v_sub_u32_e32 v15, 0x79, v9
	v_cmp_gt_u32_e32 vcc, s71, v9
	v_add_u32_e32 v14, 0xffffff81, v9
	v_cndmask_b32_e32 v15, 0, v15, vcc
	v_cmp_eq_u32_e32 vcc, 0, v9
	v_mov_b32_e32 v9, 0xffffff82
	v_cndmask_b32_e32 v9, v14, v9, vcc
	v_mov_b32_e32 v14, 0x78
	v_or_b32_e32 v22, 0x800000, v36
	v_cndmask_b32_e32 v24, v15, v14, vcc
	v_cndmask_b32_e32 v36, v22, v36, vcc
	v_add_u32_e32 v14, 20, v24
	v_lshlrev_b64 v[14:15], v14, -1
	v_lshrrev_b64 v[26:27], v24, v[36:37]
	v_not_b32_e32 v15, v15
	v_not_b32_e32 v14, v14
	v_add_u32_e32 v22, 19, v24
	v_lshrrev_b32_e32 v25, 23, v26
	v_and_b32_e32 v15, 0, v15
	v_and_b32_e32 v14, v36, v14
	v_lshlrev_b64 v[22:23], v22, 1
	v_add3_u32 v25, v24, v9, v25
	v_bfe_u32 v24, v26, 20, 1
	v_add_u32_e32 v24, -1, v24
	v_cmp_eq_u64_e32 vcc, v[14:15], v[22:23]
	v_cndmask_b32_e32 v14, 0, v24, vcc
	v_add_u32_e32 v14, v14, v26
	v_and_b32_e32 v14, 0xfffff, v14
	v_add_co_u32_e32 v14, vcc, v14, v26
	v_add_u32_e32 v9, 6, v25
	v_addc_co_u32_e32 v15, vcc, 0, v27, vcc
	v_cmp_ne_u32_e32 vcc, 0, v9
                                        ; implicit-def: $vgpr24
	s_and_saveexec_b64 s[18:19], vcc
	s_xor_b64 s[18:19], exec, s[18:19]
; %bb.4745:                             ;   in Loop: Header=BB2_4636 Depth=2
	v_add_u32_e32 v22, 7, v25
	v_cmp_lt_u64_e32 vcc, s[44:45], v[14:15]
	v_cndmask_b32_e32 v24, v9, v22, vcc
	v_cndmask_b32_e64 v9, 0, 1, vcc
	v_lshrrev_b64 v[14:15], v9, v[14:15]
; %bb.4746:                             ;   in Loop: Header=BB2_4636 Depth=2
	s_andn2_saveexec_b64 s[18:19], s[18:19]
; %bb.4747:                             ;   in Loop: Header=BB2_4636 Depth=2
	v_bfe_u32 v24, v14, 23, 1
; %bb.4748:                             ;   in Loop: Header=BB2_4636 Depth=2
	s_or_b64 exec, exec, s[18:19]
	v_lshrrev_b64 v[14:15], 20, v[14:15]
	v_cmp_gt_i32_e32 vcc, 16, v24
	v_cndmask_b32_e32 v15, 0, v15, vcc
	v_cndmask_b32_e32 v14, 7, v14, vcc
	v_cmp_ne_u32_e32 vcc, 0, v24
	v_cmp_ne_u64_e64 s[18:19], 0, v[14:15]
	s_or_b64 s[18:19], vcc, s[18:19]
                                        ; implicit-def: $vgpr9
	s_and_saveexec_b64 vcc, s[18:19]
	s_xor_b64 s[18:19], exec, vcc
; %bb.4749:                             ;   in Loop: Header=BB2_4636 Depth=2
	v_min_i32_e32 v9, 15, v24
	v_lshl_or_b32 v9, v9, 3, v21
	v_and_or_b32 v9, v14, 7, v9
                                        ; implicit-def: $vgpr21
; %bb.4750:                             ;   in Loop: Header=BB2_4636 Depth=2
	s_andn2_saveexec_b64 s[18:19], s[18:19]
; %bb.4751:                             ;   in Loop: Header=BB2_4636 Depth=2
	v_mov_b32_e32 v9, v21
; %bb.4752:                             ;   in Loop: Header=BB2_4636 Depth=2
	s_or_b64 exec, exec, s[18:19]
.LBB2_4753:                             ;   in Loop: Header=BB2_4636 Depth=2
	s_or_b64 exec, exec, s[58:59]
.LBB2_4754:                             ;   in Loop: Header=BB2_4636 Depth=2
	s_andn2_saveexec_b64 s[18:19], s[56:57]
	s_or_b64 exec, exec, s[18:19]
                                        ; implicit-def: $vgpr14
.LBB2_4755:                             ;   in Loop: Header=BB2_4636 Depth=2
	s_andn2_saveexec_b64 s[18:19], s[54:55]
; %bb.4756:                             ;   in Loop: Header=BB2_4636 Depth=2
	v_or_b32_sdwa v14, v14, s68 dst_sel:DWORD dst_unused:UNUSED_PAD src0_sel:BYTE_3 src1_sel:DWORD
	v_cmp_eq_u64_e32 vcc, 0, v[36:37]
	v_cndmask_b32_e32 v9, v14, v9, vcc
; %bb.4757:                             ;   in Loop: Header=BB2_4636 Depth=2
	s_or_b64 exec, exec, s[18:19]
	v_and_b32_e32 v14, 0xff, v18
	v_cmp_ne_u16_e32 vcc, 0, v14
	v_mov_b32_e32 v15, 0
	v_mov_b32_e32 v21, 0
	s_and_saveexec_b64 s[18:19], vcc
	s_cbranch_execz .LBB2_4763
; %bb.4758:                             ;   in Loop: Header=BB2_4636 Depth=2
	v_cmp_ne_u16_e32 vcc, s69, v14
	v_bfrev_b32_e32 v21, 1
	s_and_saveexec_b64 s[54:55], vcc
	s_cbranch_execz .LBB2_4762
; %bb.4759:                             ;   in Loop: Header=BB2_4636 Depth=2
	v_and_b32_e32 v24, 0x7f, v18
	v_cmp_ne_u32_e32 vcc, s68, v24
	v_mov_b32_e32 v21, 0x7f800001
	s_and_saveexec_b64 s[56:57], vcc
	s_cbranch_execz .LBB2_4761
; %bb.4760:                             ;   in Loop: Header=BB2_4636 Depth=2
	v_and_b32_e32 v21, 7, v14
	v_ffbh_u32_e32 v22, v21
	v_min_u32_e32 v26, 32, v22
	v_subrev_u32_e32 v22, 28, v26
	v_lshlrev_b64 v[22:23], v22, v[14:15]
	v_lshrrev_b32_e32 v25, 3, v24
	v_sub_u32_e32 v14, 29, v26
	v_and_b32_e32 v22, 7, v22
	v_cmp_gt_u32_e32 vcc, 8, v24
	v_cndmask_b32_e32 v14, v25, v14, vcc
	v_cndmask_b32_e32 v21, v21, v22, vcc
	v_lshlrev_b32_e32 v18, 24, v18
	v_lshlrev_b32_e32 v21, 20, v21
	v_and_b32_e32 v18, 0x80000000, v18
	v_lshl_add_u32 v14, v14, 23, v50
	v_or3_b32 v21, v18, v14, v21
.LBB2_4761:                             ;   in Loop: Header=BB2_4636 Depth=2
	s_or_b64 exec, exec, s[56:57]
.LBB2_4762:                             ;   in Loop: Header=BB2_4636 Depth=2
	s_or_b64 exec, exec, s[54:55]
.LBB2_4763:                             ;   in Loop: Header=BB2_4636 Depth=2
	s_or_b64 exec, exec, s[18:19]
	v_and_b32_e32 v14, 0xff, v20
	v_cmp_ne_u16_e32 vcc, 0, v14
	s_and_saveexec_b64 s[18:19], vcc
	s_cbranch_execz .LBB2_4769
; %bb.4764:                             ;   in Loop: Header=BB2_4636 Depth=2
	v_cmp_ne_u16_e32 vcc, s69, v14
	v_bfrev_b32_e32 v15, 1
	s_and_saveexec_b64 s[54:55], vcc
	s_cbranch_execz .LBB2_4768
; %bb.4765:                             ;   in Loop: Header=BB2_4636 Depth=2
	v_and_b32_e32 v18, 0x7f, v20
	v_cmp_ne_u32_e32 vcc, s68, v18
	v_mov_b32_e32 v15, 0x7f800001
	s_and_saveexec_b64 s[56:57], vcc
	s_cbranch_execz .LBB2_4767
; %bb.4766:                             ;   in Loop: Header=BB2_4636 Depth=2
	v_and_b32_e32 v22, 7, v14
	v_ffbh_u32_e32 v15, v22
	v_min_u32_e32 v24, 32, v15
	v_subrev_u32_e32 v15, 28, v24
	v_lshlrev_b64 v[14:15], v15, v[14:15]
	v_lshrrev_b32_e32 v23, 3, v18
	v_sub_u32_e32 v15, 29, v24
	v_and_b32_e32 v14, 7, v14
	v_cmp_gt_u32_e32 vcc, 8, v18
	v_cndmask_b32_e32 v15, v23, v15, vcc
	v_cndmask_b32_e32 v14, v22, v14, vcc
	v_lshlrev_b32_e32 v18, 24, v20
	v_lshlrev_b32_e32 v14, 20, v14
	v_and_b32_e32 v18, 0x80000000, v18
	v_lshl_add_u32 v15, v15, 23, v50
	v_or3_b32 v15, v18, v15, v14
.LBB2_4767:                             ;   in Loop: Header=BB2_4636 Depth=2
	s_or_b64 exec, exec, s[56:57]
.LBB2_4768:                             ;   in Loop: Header=BB2_4636 Depth=2
	s_or_b64 exec, exec, s[54:55]
.LBB2_4769:                             ;   in Loop: Header=BB2_4636 Depth=2
	s_or_b64 exec, exec, s[18:19]
	v_add_f32_e32 v14, v21, v15
	v_and_b32_sdwa v20, v14, s69 dst_sel:DWORD dst_unused:UNUSED_PAD src0_sel:BYTE_3 src1_sel:DWORD
	v_and_b32_e32 v22, 0x7f800000, v14
	v_mov_b32_e32 v23, v37
	v_and_b32_e32 v36, 0x7fffff, v14
	v_or_b32_e32 v18, 0x7e, v20
	v_cmp_ne_u64_e32 vcc, s[38:39], v[22:23]
	s_and_saveexec_b64 s[18:19], vcc
	s_xor_b64 s[54:55], exec, s[18:19]
	s_cbranch_execz .LBB2_4783
; %bb.4770:                             ;   in Loop: Header=BB2_4636 Depth=2
	v_and_b32_e32 v22, 0x7fffffff, v14
	v_mov_b32_e32 v23, v37
	v_cmp_gt_u64_e32 vcc, s[40:41], v[22:23]
	s_and_saveexec_b64 s[18:19], vcc
	s_xor_b64 s[56:57], exec, s[18:19]
	s_cbranch_execz .LBB2_4782
; %bb.4771:                             ;   in Loop: Header=BB2_4636 Depth=2
	v_cmp_ne_u32_e32 vcc, 0, v14
	v_mov_b32_e32 v18, 0
	s_and_saveexec_b64 s[58:59], vcc
	s_cbranch_execz .LBB2_4781
; %bb.4772:                             ;   in Loop: Header=BB2_4636 Depth=2
	v_bfe_u32 v14, v14, 23, 8
	v_sub_u32_e32 v18, 0x79, v14
	v_cmp_gt_u32_e32 vcc, s71, v14
	v_add_u32_e32 v15, 0xffffff81, v14
	v_cndmask_b32_e32 v18, 0, v18, vcc
	v_cmp_eq_u32_e32 vcc, 0, v14
	v_mov_b32_e32 v14, 0xffffff82
	v_cndmask_b32_e32 v24, v15, v14, vcc
	v_mov_b32_e32 v14, 0x78
	v_or_b32_e32 v21, 0x800000, v36
	v_cndmask_b32_e32 v18, v18, v14, vcc
	v_cndmask_b32_e32 v36, v21, v36, vcc
	v_add_u32_e32 v14, 20, v18
	v_lshlrev_b64 v[14:15], v14, -1
	v_add_u32_e32 v21, 19, v18
	v_lshrrev_b64 v[26:27], v18, v[36:37]
	v_not_b32_e32 v15, v15
	v_not_b32_e32 v14, v14
	v_lshlrev_b64 v[22:23], v21, 1
	v_lshrrev_b32_e32 v21, 23, v26
	v_and_b32_e32 v15, 0, v15
	v_and_b32_e32 v14, v36, v14
	v_add3_u32 v24, v18, v24, v21
	v_bfe_u32 v21, v26, 20, 1
	v_add_u32_e32 v21, -1, v21
	v_cmp_eq_u64_e32 vcc, v[14:15], v[22:23]
	v_cndmask_b32_e32 v14, 0, v21, vcc
	v_add_u32_e32 v14, v14, v26
	v_and_b32_e32 v14, 0xfffff, v14
	v_add_co_u32_e32 v14, vcc, v14, v26
	v_add_u32_e32 v18, 6, v24
	v_addc_co_u32_e32 v15, vcc, 0, v27, vcc
	v_cmp_ne_u32_e32 vcc, 0, v18
                                        ; implicit-def: $vgpr21
	s_and_saveexec_b64 s[18:19], vcc
	s_xor_b64 s[18:19], exec, s[18:19]
; %bb.4773:                             ;   in Loop: Header=BB2_4636 Depth=2
	v_add_u32_e32 v21, 7, v24
	v_cmp_lt_u64_e32 vcc, s[44:45], v[14:15]
	v_cndmask_b32_e32 v21, v18, v21, vcc
	v_cndmask_b32_e64 v18, 0, 1, vcc
	v_lshrrev_b64 v[14:15], v18, v[14:15]
; %bb.4774:                             ;   in Loop: Header=BB2_4636 Depth=2
	s_andn2_saveexec_b64 s[18:19], s[18:19]
; %bb.4775:                             ;   in Loop: Header=BB2_4636 Depth=2
	v_bfe_u32 v21, v14, 23, 1
; %bb.4776:                             ;   in Loop: Header=BB2_4636 Depth=2
	s_or_b64 exec, exec, s[18:19]
	v_lshrrev_b64 v[14:15], 20, v[14:15]
	v_cmp_gt_i32_e32 vcc, 16, v21
	v_cndmask_b32_e32 v15, 0, v15, vcc
	v_cndmask_b32_e32 v14, 7, v14, vcc
	v_cmp_ne_u32_e32 vcc, 0, v21
	v_cmp_ne_u64_e64 s[18:19], 0, v[14:15]
	s_or_b64 s[18:19], vcc, s[18:19]
                                        ; implicit-def: $vgpr18
	s_and_saveexec_b64 vcc, s[18:19]
	s_xor_b64 s[18:19], exec, vcc
; %bb.4777:                             ;   in Loop: Header=BB2_4636 Depth=2
	v_min_i32_e32 v15, 15, v21
	v_lshl_or_b32 v15, v15, 3, v20
	v_and_or_b32 v18, v14, 7, v15
                                        ; implicit-def: $vgpr20
; %bb.4778:                             ;   in Loop: Header=BB2_4636 Depth=2
	s_andn2_saveexec_b64 s[18:19], s[18:19]
; %bb.4779:                             ;   in Loop: Header=BB2_4636 Depth=2
	v_mov_b32_e32 v18, v20
; %bb.4780:                             ;   in Loop: Header=BB2_4636 Depth=2
	s_or_b64 exec, exec, s[18:19]
.LBB2_4781:                             ;   in Loop: Header=BB2_4636 Depth=2
	s_or_b64 exec, exec, s[58:59]
.LBB2_4782:                             ;   in Loop: Header=BB2_4636 Depth=2
	s_andn2_saveexec_b64 s[18:19], s[56:57]
	s_or_b64 exec, exec, s[18:19]
                                        ; implicit-def: $vgpr14
.LBB2_4783:                             ;   in Loop: Header=BB2_4636 Depth=2
	s_andn2_saveexec_b64 s[18:19], s[54:55]
; %bb.4784:                             ;   in Loop: Header=BB2_4636 Depth=2
	v_or_b32_sdwa v14, v14, s68 dst_sel:DWORD dst_unused:UNUSED_PAD src0_sel:BYTE_3 src1_sel:DWORD
	v_cmp_eq_u64_e32 vcc, 0, v[36:37]
	v_cndmask_b32_e32 v18, v14, v18, vcc
; %bb.4785:                             ;   in Loop: Header=BB2_4636 Depth=2
	s_or_b64 exec, exec, s[18:19]
	v_and_b32_e32 v14, 0xff, v17
	v_cmp_ne_u16_e32 vcc, 0, v14
	v_mov_b32_e32 v15, 0
	v_mov_b32_e32 v20, 0
	s_and_saveexec_b64 s[18:19], vcc
	s_cbranch_execz .LBB2_4791
; %bb.4786:                             ;   in Loop: Header=BB2_4636 Depth=2
	v_cmp_ne_u16_e32 vcc, s69, v14
	v_bfrev_b32_e32 v20, 1
	s_and_saveexec_b64 s[54:55], vcc
	s_cbranch_execz .LBB2_4790
; %bb.4787:                             ;   in Loop: Header=BB2_4636 Depth=2
	v_and_b32_e32 v21, 0x7f, v17
	v_cmp_ne_u32_e32 vcc, s68, v21
	v_mov_b32_e32 v20, 0x7f800001
	s_and_saveexec_b64 s[56:57], vcc
	s_cbranch_execz .LBB2_4789
; %bb.4788:                             ;   in Loop: Header=BB2_4636 Depth=2
	v_and_b32_e32 v20, 7, v14
	v_ffbh_u32_e32 v22, v20
	v_min_u32_e32 v25, 32, v22
	v_subrev_u32_e32 v22, 28, v25
	v_lshlrev_b64 v[22:23], v22, v[14:15]
	v_lshrrev_b32_e32 v24, 3, v21
	v_sub_u32_e32 v14, 29, v25
	v_and_b32_e32 v22, 7, v22
	v_cmp_gt_u32_e32 vcc, 8, v21
	v_cndmask_b32_e32 v14, v24, v14, vcc
	v_cndmask_b32_e32 v20, v20, v22, vcc
	v_lshlrev_b32_e32 v17, 24, v17
	v_lshlrev_b32_e32 v20, 20, v20
	v_and_b32_e32 v17, 0x80000000, v17
	v_lshl_add_u32 v14, v14, 23, v50
	v_or3_b32 v20, v17, v14, v20
.LBB2_4789:                             ;   in Loop: Header=BB2_4636 Depth=2
	s_or_b64 exec, exec, s[56:57]
.LBB2_4790:                             ;   in Loop: Header=BB2_4636 Depth=2
	s_or_b64 exec, exec, s[54:55]
.LBB2_4791:                             ;   in Loop: Header=BB2_4636 Depth=2
	s_or_b64 exec, exec, s[18:19]
	v_and_b32_e32 v14, 0xff, v19
	v_cmp_ne_u16_e32 vcc, 0, v14
	s_and_saveexec_b64 s[18:19], vcc
	s_cbranch_execz .LBB2_4797
; %bb.4792:                             ;   in Loop: Header=BB2_4636 Depth=2
	v_cmp_ne_u16_e32 vcc, s69, v14
	v_bfrev_b32_e32 v15, 1
	s_and_saveexec_b64 s[54:55], vcc
	s_cbranch_execz .LBB2_4796
; %bb.4793:                             ;   in Loop: Header=BB2_4636 Depth=2
	v_and_b32_e32 v17, 0x7f, v19
	v_cmp_ne_u32_e32 vcc, s68, v17
	v_mov_b32_e32 v15, 0x7f800001
	s_and_saveexec_b64 s[56:57], vcc
	s_cbranch_execz .LBB2_4795
; %bb.4794:                             ;   in Loop: Header=BB2_4636 Depth=2
	v_and_b32_e32 v21, 7, v14
	v_ffbh_u32_e32 v15, v21
	v_min_u32_e32 v23, 32, v15
	v_subrev_u32_e32 v15, 28, v23
	v_lshlrev_b64 v[14:15], v15, v[14:15]
	v_lshrrev_b32_e32 v22, 3, v17
	v_sub_u32_e32 v15, 29, v23
	v_and_b32_e32 v14, 7, v14
	v_cmp_gt_u32_e32 vcc, 8, v17
	v_cndmask_b32_e32 v15, v22, v15, vcc
	v_cndmask_b32_e32 v14, v21, v14, vcc
	v_lshlrev_b32_e32 v17, 24, v19
	v_lshlrev_b32_e32 v14, 20, v14
	v_and_b32_e32 v17, 0x80000000, v17
	v_lshl_add_u32 v15, v15, 23, v50
	v_or3_b32 v15, v17, v15, v14
.LBB2_4795:                             ;   in Loop: Header=BB2_4636 Depth=2
	s_or_b64 exec, exec, s[56:57]
.LBB2_4796:                             ;   in Loop: Header=BB2_4636 Depth=2
	s_or_b64 exec, exec, s[54:55]
.LBB2_4797:                             ;   in Loop: Header=BB2_4636 Depth=2
	s_or_b64 exec, exec, s[18:19]
	v_add_f32_e32 v14, v20, v15
	v_and_b32_sdwa v19, v14, s69 dst_sel:DWORD dst_unused:UNUSED_PAD src0_sel:BYTE_3 src1_sel:DWORD
	v_and_b32_e32 v20, 0x7f800000, v14
	v_mov_b32_e32 v21, v37
	v_and_b32_e32 v36, 0x7fffff, v14
	v_or_b32_e32 v17, 0x7e, v19
	v_cmp_ne_u64_e32 vcc, s[38:39], v[20:21]
	s_and_saveexec_b64 s[18:19], vcc
	s_xor_b64 s[54:55], exec, s[18:19]
	s_cbranch_execz .LBB2_4811
; %bb.4798:                             ;   in Loop: Header=BB2_4636 Depth=2
	v_and_b32_e32 v20, 0x7fffffff, v14
	v_mov_b32_e32 v21, v37
	v_cmp_gt_u64_e32 vcc, s[40:41], v[20:21]
	s_and_saveexec_b64 s[18:19], vcc
	s_xor_b64 s[56:57], exec, s[18:19]
	s_cbranch_execz .LBB2_4810
; %bb.4799:                             ;   in Loop: Header=BB2_4636 Depth=2
	v_cmp_ne_u32_e32 vcc, 0, v14
	v_mov_b32_e32 v17, 0
	s_and_saveexec_b64 s[58:59], vcc
	s_cbranch_execz .LBB2_4809
; %bb.4800:                             ;   in Loop: Header=BB2_4636 Depth=2
	v_bfe_u32 v14, v14, 23, 8
	v_sub_u32_e32 v17, 0x79, v14
	v_cmp_gt_u32_e32 vcc, s71, v14
	v_add_u32_e32 v15, 0xffffff81, v14
	v_cndmask_b32_e32 v17, 0, v17, vcc
	v_cmp_eq_u32_e32 vcc, 0, v14
	v_mov_b32_e32 v14, 0xffffff82
	v_cndmask_b32_e32 v21, v15, v14, vcc
	v_mov_b32_e32 v14, 0x78
	v_or_b32_e32 v20, 0x800000, v36
	v_cndmask_b32_e32 v17, v17, v14, vcc
	v_cndmask_b32_e32 v36, v20, v36, vcc
	v_add_u32_e32 v14, 20, v17
	v_lshlrev_b64 v[14:15], v14, -1
	v_add_u32_e32 v20, 19, v17
	v_lshrrev_b64 v[24:25], v17, v[36:37]
	v_not_b32_e32 v15, v15
	v_not_b32_e32 v14, v14
	v_lshlrev_b64 v[22:23], v20, 1
	v_lshrrev_b32_e32 v20, 23, v24
	v_and_b32_e32 v15, 0, v15
	v_and_b32_e32 v14, v36, v14
	v_add3_u32 v21, v17, v21, v20
	v_bfe_u32 v20, v24, 20, 1
	v_add_u32_e32 v20, -1, v20
	v_cmp_eq_u64_e32 vcc, v[14:15], v[22:23]
	v_cndmask_b32_e32 v14, 0, v20, vcc
	v_add_u32_e32 v14, v14, v24
	v_and_b32_e32 v14, 0xfffff, v14
	v_add_co_u32_e32 v14, vcc, v14, v24
	v_add_u32_e32 v17, 6, v21
	v_addc_co_u32_e32 v15, vcc, 0, v25, vcc
	v_cmp_ne_u32_e32 vcc, 0, v17
                                        ; implicit-def: $vgpr20
	s_and_saveexec_b64 s[18:19], vcc
	s_xor_b64 s[18:19], exec, s[18:19]
; %bb.4801:                             ;   in Loop: Header=BB2_4636 Depth=2
	v_add_u32_e32 v20, 7, v21
	v_cmp_lt_u64_e32 vcc, s[44:45], v[14:15]
	v_cndmask_b32_e32 v20, v17, v20, vcc
	v_cndmask_b32_e64 v17, 0, 1, vcc
	v_lshrrev_b64 v[14:15], v17, v[14:15]
; %bb.4802:                             ;   in Loop: Header=BB2_4636 Depth=2
	s_andn2_saveexec_b64 s[18:19], s[18:19]
; %bb.4803:                             ;   in Loop: Header=BB2_4636 Depth=2
	v_bfe_u32 v20, v14, 23, 1
; %bb.4804:                             ;   in Loop: Header=BB2_4636 Depth=2
	s_or_b64 exec, exec, s[18:19]
	v_lshrrev_b64 v[14:15], 20, v[14:15]
	v_cmp_gt_i32_e32 vcc, 16, v20
	v_cndmask_b32_e32 v15, 0, v15, vcc
	v_cndmask_b32_e32 v14, 7, v14, vcc
	v_cmp_ne_u32_e32 vcc, 0, v20
	v_cmp_ne_u64_e64 s[18:19], 0, v[14:15]
	s_or_b64 s[18:19], vcc, s[18:19]
                                        ; implicit-def: $vgpr17
	s_and_saveexec_b64 vcc, s[18:19]
	s_xor_b64 s[18:19], exec, vcc
; %bb.4805:                             ;   in Loop: Header=BB2_4636 Depth=2
	v_min_i32_e32 v15, 15, v20
	v_lshl_or_b32 v15, v15, 3, v19
	v_and_or_b32 v17, v14, 7, v15
                                        ; implicit-def: $vgpr19
; %bb.4806:                             ;   in Loop: Header=BB2_4636 Depth=2
	s_andn2_saveexec_b64 s[18:19], s[18:19]
; %bb.4807:                             ;   in Loop: Header=BB2_4636 Depth=2
	v_mov_b32_e32 v17, v19
; %bb.4808:                             ;   in Loop: Header=BB2_4636 Depth=2
	s_or_b64 exec, exec, s[18:19]
.LBB2_4809:                             ;   in Loop: Header=BB2_4636 Depth=2
	s_or_b64 exec, exec, s[58:59]
.LBB2_4810:                             ;   in Loop: Header=BB2_4636 Depth=2
	s_andn2_saveexec_b64 s[18:19], s[56:57]
	s_or_b64 exec, exec, s[18:19]
                                        ; implicit-def: $vgpr14
.LBB2_4811:                             ;   in Loop: Header=BB2_4636 Depth=2
	s_andn2_saveexec_b64 s[18:19], s[54:55]
; %bb.4812:                             ;   in Loop: Header=BB2_4636 Depth=2
	v_or_b32_sdwa v14, v14, s68 dst_sel:DWORD dst_unused:UNUSED_PAD src0_sel:BYTE_3 src1_sel:DWORD
	v_cmp_eq_u64_e32 vcc, 0, v[36:37]
	v_cndmask_b32_e32 v17, v14, v17, vcc
; %bb.4813:                             ;   in Loop: Header=BB2_4636 Depth=2
	s_or_b64 exec, exec, s[18:19]
	v_and_b32_e32 v14, 0xff, v8
	v_cmp_ne_u16_e32 vcc, 0, v14
	v_mov_b32_e32 v15, 0
	v_mov_b32_e32 v19, 0
	s_and_saveexec_b64 s[18:19], vcc
	s_cbranch_execz .LBB2_4819
; %bb.4814:                             ;   in Loop: Header=BB2_4636 Depth=2
	v_cmp_ne_u16_e32 vcc, s69, v14
	v_bfrev_b32_e32 v19, 1
	s_and_saveexec_b64 s[54:55], vcc
	s_cbranch_execz .LBB2_4818
; %bb.4815:                             ;   in Loop: Header=BB2_4636 Depth=2
	v_and_b32_e32 v20, 0x7f, v8
	v_cmp_ne_u32_e32 vcc, s68, v20
	v_mov_b32_e32 v19, 0x7f800001
	s_and_saveexec_b64 s[56:57], vcc
	s_cbranch_execz .LBB2_4817
; %bb.4816:                             ;   in Loop: Header=BB2_4636 Depth=2
	v_and_b32_e32 v19, 7, v14
	v_ffbh_u32_e32 v22, v19
	v_min_u32_e32 v24, 32, v22
	v_subrev_u32_e32 v22, 28, v24
	v_lshlrev_b64 v[22:23], v22, v[14:15]
	v_lshrrev_b32_e32 v21, 3, v20
	v_sub_u32_e32 v14, 29, v24
	v_and_b32_e32 v22, 7, v22
	v_cmp_gt_u32_e32 vcc, 8, v20
	v_cndmask_b32_e32 v14, v21, v14, vcc
	v_cndmask_b32_e32 v19, v19, v22, vcc
	v_lshlrev_b32_e32 v8, 24, v8
	v_lshlrev_b32_e32 v19, 20, v19
	v_and_b32_e32 v8, 0x80000000, v8
	v_lshl_add_u32 v14, v14, 23, v50
	v_or3_b32 v19, v8, v14, v19
.LBB2_4817:                             ;   in Loop: Header=BB2_4636 Depth=2
	s_or_b64 exec, exec, s[56:57]
.LBB2_4818:                             ;   in Loop: Header=BB2_4636 Depth=2
	s_or_b64 exec, exec, s[54:55]
.LBB2_4819:                             ;   in Loop: Header=BB2_4636 Depth=2
	s_or_b64 exec, exec, s[18:19]
	v_and_b32_e32 v14, 0xff, v16
	v_cmp_ne_u16_e32 vcc, 0, v14
	s_and_saveexec_b64 s[18:19], vcc
	s_cbranch_execz .LBB2_4825
; %bb.4820:                             ;   in Loop: Header=BB2_4636 Depth=2
	v_cmp_ne_u16_e32 vcc, s69, v14
	v_bfrev_b32_e32 v15, 1
	s_and_saveexec_b64 s[54:55], vcc
	s_cbranch_execz .LBB2_4824
; %bb.4821:                             ;   in Loop: Header=BB2_4636 Depth=2
	v_and_b32_e32 v8, 0x7f, v16
	v_cmp_ne_u32_e32 vcc, s68, v8
	v_mov_b32_e32 v15, 0x7f800001
	s_and_saveexec_b64 s[56:57], vcc
	s_cbranch_execz .LBB2_4823
; %bb.4822:                             ;   in Loop: Header=BB2_4636 Depth=2
	v_and_b32_e32 v20, 7, v14
	v_ffbh_u32_e32 v15, v20
	v_min_u32_e32 v22, 32, v15
	v_subrev_u32_e32 v15, 28, v22
	v_lshlrev_b64 v[14:15], v15, v[14:15]
	v_lshrrev_b32_e32 v21, 3, v8
	v_sub_u32_e32 v15, 29, v22
	v_and_b32_e32 v14, 7, v14
	v_cmp_gt_u32_e32 vcc, 8, v8
	v_cndmask_b32_e32 v8, v21, v15, vcc
	v_cndmask_b32_e32 v14, v20, v14, vcc
	v_lshlrev_b32_e32 v15, 24, v16
	v_lshlrev_b32_e32 v14, 20, v14
	v_and_b32_e32 v15, 0x80000000, v15
	v_lshl_add_u32 v8, v8, 23, v50
	v_or3_b32 v15, v15, v8, v14
.LBB2_4823:                             ;   in Loop: Header=BB2_4636 Depth=2
	s_or_b64 exec, exec, s[56:57]
.LBB2_4824:                             ;   in Loop: Header=BB2_4636 Depth=2
	s_or_b64 exec, exec, s[54:55]
.LBB2_4825:                             ;   in Loop: Header=BB2_4636 Depth=2
	s_or_b64 exec, exec, s[18:19]
	v_add_f32_e32 v14, v19, v15
	v_and_b32_sdwa v8, v14, s69 dst_sel:DWORD dst_unused:UNUSED_PAD src0_sel:BYTE_3 src1_sel:DWORD
	v_and_b32_e32 v20, 0x7f800000, v14
	v_mov_b32_e32 v21, v37
	v_and_b32_e32 v36, 0x7fffff, v14
	v_or_b32_e32 v15, 0x7e, v8
	v_cmp_ne_u64_e32 vcc, s[38:39], v[20:21]
	s_and_saveexec_b64 s[18:19], vcc
	s_xor_b64 s[54:55], exec, s[18:19]
	s_cbranch_execz .LBB2_4839
; %bb.4826:                             ;   in Loop: Header=BB2_4636 Depth=2
	v_and_b32_e32 v20, 0x7fffffff, v14
	v_mov_b32_e32 v21, v37
	v_cmp_gt_u64_e32 vcc, s[40:41], v[20:21]
	s_and_saveexec_b64 s[18:19], vcc
	s_xor_b64 s[56:57], exec, s[18:19]
	s_cbranch_execz .LBB2_4838
; %bb.4827:                             ;   in Loop: Header=BB2_4636 Depth=2
	v_cmp_ne_u32_e32 vcc, 0, v14
	v_mov_b32_e32 v15, 0
	s_and_saveexec_b64 s[58:59], vcc
	s_cbranch_execz .LBB2_4837
; %bb.4828:                             ;   in Loop: Header=BB2_4636 Depth=2
	v_bfe_u32 v14, v14, 23, 8
	v_sub_u32_e32 v16, 0x79, v14
	v_cmp_gt_u32_e32 vcc, s71, v14
	v_add_u32_e32 v15, 0xffffff81, v14
	v_cndmask_b32_e32 v16, 0, v16, vcc
	v_cmp_eq_u32_e32 vcc, 0, v14
	v_mov_b32_e32 v14, 0xffffff82
	v_cndmask_b32_e32 v20, v15, v14, vcc
	v_mov_b32_e32 v14, 0x78
	v_or_b32_e32 v19, 0x800000, v36
	v_cndmask_b32_e32 v16, v16, v14, vcc
	v_cndmask_b32_e32 v36, v19, v36, vcc
	v_add_u32_e32 v14, 20, v16
	v_lshlrev_b64 v[14:15], v14, -1
	v_add_u32_e32 v19, 19, v16
	v_lshrrev_b64 v[24:25], v16, v[36:37]
	v_not_b32_e32 v15, v15
	v_not_b32_e32 v14, v14
	v_lshlrev_b64 v[22:23], v19, 1
	v_lshrrev_b32_e32 v19, 23, v24
	v_and_b32_e32 v15, 0, v15
	v_and_b32_e32 v14, v36, v14
	v_add3_u32 v20, v16, v20, v19
	v_bfe_u32 v16, v24, 20, 1
	v_add_u32_e32 v16, -1, v16
	v_cmp_eq_u64_e32 vcc, v[14:15], v[22:23]
	v_cndmask_b32_e32 v14, 0, v16, vcc
	v_add_u32_e32 v14, v14, v24
	v_and_b32_e32 v14, 0xfffff, v14
	v_add_co_u32_e32 v14, vcc, v14, v24
	v_add_u32_e32 v19, 6, v20
	v_addc_co_u32_e32 v15, vcc, 0, v25, vcc
	v_cmp_ne_u32_e32 vcc, 0, v19
                                        ; implicit-def: $vgpr16
	s_and_saveexec_b64 s[18:19], vcc
	s_xor_b64 s[18:19], exec, s[18:19]
; %bb.4829:                             ;   in Loop: Header=BB2_4636 Depth=2
	v_add_u32_e32 v16, 7, v20
	v_cmp_lt_u64_e32 vcc, s[44:45], v[14:15]
	v_cndmask_b32_e32 v16, v19, v16, vcc
	v_cndmask_b32_e64 v19, 0, 1, vcc
	v_lshrrev_b64 v[14:15], v19, v[14:15]
; %bb.4830:                             ;   in Loop: Header=BB2_4636 Depth=2
	s_andn2_saveexec_b64 s[18:19], s[18:19]
; %bb.4831:                             ;   in Loop: Header=BB2_4636 Depth=2
	v_bfe_u32 v16, v14, 23, 1
; %bb.4832:                             ;   in Loop: Header=BB2_4636 Depth=2
	s_or_b64 exec, exec, s[18:19]
	v_lshrrev_b64 v[14:15], 20, v[14:15]
	v_cmp_gt_i32_e32 vcc, 16, v16
	v_cndmask_b32_e32 v15, 0, v15, vcc
	v_cndmask_b32_e32 v14, 7, v14, vcc
	v_cmp_ne_u32_e32 vcc, 0, v16
	v_cmp_ne_u64_e64 s[18:19], 0, v[14:15]
	s_or_b64 s[18:19], vcc, s[18:19]
                                        ; implicit-def: $vgpr15
	s_and_saveexec_b64 vcc, s[18:19]
	s_xor_b64 s[18:19], exec, vcc
; %bb.4833:                             ;   in Loop: Header=BB2_4636 Depth=2
	v_min_i32_e32 v15, 15, v16
	v_lshl_or_b32 v8, v15, 3, v8
	v_and_or_b32 v15, v14, 7, v8
                                        ; implicit-def: $vgpr8
; %bb.4834:                             ;   in Loop: Header=BB2_4636 Depth=2
	s_andn2_saveexec_b64 s[18:19], s[18:19]
; %bb.4835:                             ;   in Loop: Header=BB2_4636 Depth=2
	v_mov_b32_e32 v15, v8
; %bb.4836:                             ;   in Loop: Header=BB2_4636 Depth=2
	s_or_b64 exec, exec, s[18:19]
.LBB2_4837:                             ;   in Loop: Header=BB2_4636 Depth=2
	s_or_b64 exec, exec, s[58:59]
.LBB2_4838:                             ;   in Loop: Header=BB2_4636 Depth=2
	s_andn2_saveexec_b64 s[18:19], s[56:57]
	s_or_b64 exec, exec, s[18:19]
                                        ; implicit-def: $vgpr14
.LBB2_4839:                             ;   in Loop: Header=BB2_4636 Depth=2
	s_andn2_saveexec_b64 s[18:19], s[54:55]
	s_cbranch_execz .LBB2_4635
; %bb.4840:                             ;   in Loop: Header=BB2_4636 Depth=2
	v_or_b32_sdwa v8, v14, s68 dst_sel:DWORD dst_unused:UNUSED_PAD src0_sel:BYTE_3 src1_sel:DWORD
	v_cmp_eq_u64_e32 vcc, 0, v[36:37]
	v_cndmask_b32_e32 v15, v8, v15, vcc
	s_branch .LBB2_4635
.LBB2_4841:                             ;   in Loop: Header=BB2_2518 Depth=1
	s_or_b64 exec, exec, s[52:53]
.LBB2_4842:                             ;   in Loop: Header=BB2_2518 Depth=1
	s_or_b64 exec, exec, s[50:51]
	v_lshlrev_b32_e32 v2, 8, v7
	v_cmp_ne_u32_e32 vcc, v5, v2
	s_and_b64 exec, exec, vcc
	s_cbranch_execz .LBB2_4901
; %bb.4843:                             ;   in Loop: Header=BB2_2518 Depth=1
	v_add_u32_e32 v1, v6, v1
	v_and_b32_e32 v1, 0xffffffc0, v1
	v_sub_u32_e32 v1, v6, v1
	v_lshlrev_b32_e32 v0, 6, v0
	v_sub_u32_e32 v0, v1, v0
	v_add_u32_e32 v1, v2, v0
	v_sub_u32_e32 v0, v5, v1
	v_cmp_lt_i32_e32 vcc, 0, v0
	s_and_b64 exec, exec, vcc
	s_cbranch_execz .LBB2_4901
; %bb.4844:                             ;   in Loop: Header=BB2_2518 Depth=1
	s_trap 2
	ds_read_b128 v[6:9], v0
	v_add_u32_e32 v1, v1, v4
	ds_read_b64 v[4:5], v0
	v_ashrrev_i32_e32 v13, 31, v1
	s_mov_b64 s[50:51], 0
	s_waitcnt lgkmcnt(0)
	v_add_co_u32_e32 v2, vcc, v6, v1
	v_addc_co_u32_e32 v3, vcc, v7, v13, vcc
	v_add_co_u32_e32 v10, vcc, v8, v1
	v_addc_co_u32_e32 v11, vcc, v9, v13, vcc
	v_add_co_u32_e32 v12, vcc, v4, v1
	v_addc_co_u32_e32 v13, vcc, v5, v13, vcc
	s_branch .LBB2_4846
.LBB2_4845:                             ;   in Loop: Header=BB2_4846 Depth=2
	s_or_b64 exec, exec, s[18:19]
	v_add_co_u32_e32 v2, vcc, v2, v56
	v_addc_co_u32_e32 v3, vcc, v3, v47, vcc
	v_add_co_u32_e32 v10, vcc, v10, v56
	v_addc_co_u32_e32 v11, vcc, v11, v47, vcc
	v_sub_u32_e32 v0, v0, v56
	v_cmp_gt_i32_e32 vcc, 1, v0
	flat_store_byte v[12:13], v4 glc slc
	s_or_b64 s[50:51], vcc, s[50:51]
	v_add_co_u32_e32 v12, vcc, v12, v56
	v_addc_co_u32_e32 v13, vcc, v13, v47, vcc
	s_andn2_b64 exec, exec, s[50:51]
	s_cbranch_execz .LBB2_4901
.LBB2_4846:                             ;   Parent Loop BB2_2518 Depth=1
                                        ; =>  This Inner Loop Header: Depth=2
	s_trap 2
	ds_read_b64 v[14:15], v0
	s_waitcnt lgkmcnt(0)
	v_cmp_eq_u16_sdwa vcc, v14, v37 src0_sel:BYTE_0 src1_sel:DWORD
	v_readfirstlane_b32 s18, v14
	v_readfirstlane_b32 s19, v15
	s_and_b64 vcc, exec, vcc
	s_cbranch_vccnz .LBB2_4850
; %bb.4847:                             ;   in Loop: Header=BB2_4846 Depth=2
	v_cmp_eq_u32_sdwa vcc, v14, s69 src0_sel:BYTE_0 src1_sel:DWORD
	s_and_b64 vcc, exec, vcc
	s_brev_b32 s56, 1
	s_cbranch_vccnz .LBB2_4851
; %bb.4848:                             ;   in Loop: Header=BB2_4846 Depth=2
	s_and_b32 vcc_lo, s18, 0x7f
	s_cmpk_eq_i32 vcc_lo, 0x7f
	s_mov_b32 s56, 0x7f800001
	s_cbranch_scc1 .LBB2_4851
; %bb.4849:                             ;   in Loop: Header=BB2_4846 Depth=2
	s_and_b32 vcc_hi, s18, 7
	s_flbit_i32_b32 vcc_hi, vcc_hi
	s_min_u32 vcc_hi, vcc_hi, 32
	s_lshr_b32 s52, vcc_lo, 3
	s_sub_i32 s53, vcc_hi, 28
	s_sub_i32 vcc_hi, 29, vcc_hi
	s_cmp_lt_u32 vcc_lo, 8
	s_cselect_b32 vcc_lo, s53, 0
	s_cselect_b32 s52, vcc_hi, s52
	s_lshl_b64 vcc, s[18:19], vcc_lo
	s_lshl_b32 s19, vcc_lo, 20
	s_lshl_b32 s18, s18, 24
	s_lshl_b32 vcc_lo, s52, 23
	s_and_b32 s18, s18, 0x80000000
	s_add_i32 vcc_lo, vcc_lo, 0x3c000000
	s_and_b32 s19, s19, 0x700000
	s_or_b32 s18, s18, vcc_lo
	s_or_b32 s56, s18, s19
	s_branch .LBB2_4851
.LBB2_4850:                             ;   in Loop: Header=BB2_4846 Depth=2
	s_mov_b32 s56, 0
.LBB2_4851:                             ;   in Loop: Header=BB2_4846 Depth=2
	flat_load_ubyte v1, v[2:3] glc slc
	v_mov_b32_e32 v4, 0
	s_waitcnt vmcnt(0) lgkmcnt(0)
	v_cmp_ne_u16_e32 vcc, 0, v1
	s_and_saveexec_b64 s[18:19], vcc
	s_cbranch_execz .LBB2_4857
; %bb.4852:                             ;   in Loop: Header=BB2_4846 Depth=2
	v_cmp_ne_u16_e32 vcc, s69, v1
	v_bfrev_b32_e32 v4, 1
	s_and_saveexec_b64 s[52:53], vcc
	s_cbranch_execz .LBB2_4856
; %bb.4853:                             ;   in Loop: Header=BB2_4846 Depth=2
	v_and_b32_e32 v14, 0xffff, v1
	v_and_b32_e32 v5, 0x7f, v14
	v_cmp_ne_u32_e32 vcc, s68, v5
	v_mov_b32_e32 v4, 0x7f800001
	s_and_saveexec_b64 s[54:55], vcc
	s_cbranch_execz .LBB2_4855
; %bb.4854:                             ;   in Loop: Header=BB2_4846 Depth=2
	v_and_b32_e32 v4, 7, v14
	v_ffbh_u32_e32 v6, v4
	v_min_u32_e32 v9, 32, v6
	v_subrev_u32_e32 v6, 28, v9
	v_lshlrev_b64 v[6:7], v6, v[14:15]
	v_lshrrev_b32_e32 v8, 3, v5
	v_sub_u32_e32 v7, 29, v9
	v_and_b32_e32 v6, 7, v6
	v_cmp_gt_u32_e32 vcc, 8, v5
	v_cndmask_b32_e32 v5, v8, v7, vcc
	v_cndmask_b32_e32 v4, v4, v6, vcc
	v_lshlrev_b32_e32 v1, 24, v1
	v_lshlrev_b32_e32 v4, 20, v4
	v_and_b32_e32 v1, 0x80000000, v1
	v_lshl_add_u32 v5, v5, 23, v50
	v_or3_b32 v4, v1, v5, v4
.LBB2_4855:                             ;   in Loop: Header=BB2_4846 Depth=2
	s_or_b64 exec, exec, s[54:55]
.LBB2_4856:                             ;   in Loop: Header=BB2_4846 Depth=2
	s_or_b64 exec, exec, s[52:53]
.LBB2_4857:                             ;   in Loop: Header=BB2_4846 Depth=2
	s_or_b64 exec, exec, s[18:19]
	v_mul_f32_e32 v5, s56, v4
	v_and_b32_sdwa v4, v5, s69 dst_sel:DWORD dst_unused:UNUSED_PAD src0_sel:BYTE_3 src1_sel:DWORD
	v_and_b32_e32 v6, 0x7f800000, v5
	v_mov_b32_e32 v7, v37
	v_and_b32_e32 v36, 0x7fffff, v5
	v_or_b32_e32 v1, 0x7e, v4
	v_cmp_ne_u64_e32 vcc, s[38:39], v[6:7]
	s_and_saveexec_b64 s[18:19], vcc
	s_xor_b64 s[52:53], exec, s[18:19]
	s_cbranch_execz .LBB2_4871
; %bb.4858:                             ;   in Loop: Header=BB2_4846 Depth=2
	v_and_b32_e32 v6, 0x7fffffff, v5
	v_mov_b32_e32 v7, v37
	v_cmp_gt_u64_e32 vcc, s[40:41], v[6:7]
	s_and_saveexec_b64 s[18:19], vcc
	s_xor_b64 s[54:55], exec, s[18:19]
	s_cbranch_execz .LBB2_4870
; %bb.4859:                             ;   in Loop: Header=BB2_4846 Depth=2
	v_cmp_ne_u32_e32 vcc, 0, v5
	v_mov_b32_e32 v1, 0
	s_and_saveexec_b64 s[56:57], vcc
	s_cbranch_execz .LBB2_4869
; %bb.4860:                             ;   in Loop: Header=BB2_4846 Depth=2
	v_bfe_u32 v1, v5, 23, 8
	v_sub_u32_e32 v6, 0x79, v1
	v_cmp_gt_u32_e32 vcc, s71, v1
	v_add_u32_e32 v5, 0xffffff81, v1
	v_cndmask_b32_e32 v6, 0, v6, vcc
	v_cmp_eq_u32_e32 vcc, 0, v1
	v_mov_b32_e32 v1, 0xffffff82
	v_cndmask_b32_e32 v1, v5, v1, vcc
	v_mov_b32_e32 v5, 0x78
	v_cndmask_b32_e32 v5, v6, v5, vcc
	v_or_b32_e32 v7, 0x800000, v36
	v_add_u32_e32 v6, 20, v5
	v_cndmask_b32_e32 v36, v7, v36, vcc
	v_lshlrev_b64 v[6:7], v6, -1
	v_not_b32_e32 v6, v6
	v_and_b32_e32 v8, v36, v6
	v_add_u32_e32 v6, 19, v5
	v_lshrrev_b64 v[16:17], v5, v[36:37]
	v_not_b32_e32 v7, v7
	v_lshlrev_b64 v[14:15], v6, 1
	v_lshrrev_b32_e32 v6, 23, v16
	v_and_b32_e32 v9, 0, v7
	v_add3_u32 v6, v5, v1, v6
	v_bfe_u32 v5, v16, 20, 1
	v_add_u32_e32 v5, -1, v5
	v_cmp_eq_u64_e32 vcc, v[8:9], v[14:15]
	v_cndmask_b32_e32 v5, 0, v5, vcc
	v_add_u32_e32 v5, v5, v16
	v_and_b32_e32 v5, 0xfffff, v5
	v_add_co_u32_e32 v14, vcc, v5, v16
	v_add_u32_e32 v1, 6, v6
	v_addc_co_u32_e32 v15, vcc, 0, v17, vcc
	v_cmp_ne_u32_e32 vcc, 0, v1
                                        ; implicit-def: $vgpr5
	s_and_saveexec_b64 s[18:19], vcc
	s_xor_b64 s[18:19], exec, s[18:19]
; %bb.4861:                             ;   in Loop: Header=BB2_4846 Depth=2
	v_add_u32_e32 v5, 7, v6
	v_cmp_lt_u64_e32 vcc, s[44:45], v[14:15]
	v_cndmask_b32_e32 v5, v1, v5, vcc
	v_cndmask_b32_e64 v1, 0, 1, vcc
	v_lshrrev_b64 v[14:15], v1, v[14:15]
; %bb.4862:                             ;   in Loop: Header=BB2_4846 Depth=2
	s_andn2_saveexec_b64 s[18:19], s[18:19]
; %bb.4863:                             ;   in Loop: Header=BB2_4846 Depth=2
	v_bfe_u32 v5, v14, 23, 1
; %bb.4864:                             ;   in Loop: Header=BB2_4846 Depth=2
	s_or_b64 exec, exec, s[18:19]
	v_lshrrev_b64 v[6:7], 20, v[14:15]
	v_cmp_gt_i32_e32 vcc, 16, v5
	v_cndmask_b32_e32 v15, 0, v7, vcc
	v_cndmask_b32_e32 v14, 7, v6, vcc
	v_cmp_ne_u32_e32 vcc, 0, v5
	v_cmp_ne_u64_e64 s[18:19], 0, v[14:15]
	s_or_b64 s[18:19], vcc, s[18:19]
                                        ; implicit-def: $vgpr1
	s_and_saveexec_b64 vcc, s[18:19]
	s_xor_b64 s[18:19], exec, vcc
; %bb.4865:                             ;   in Loop: Header=BB2_4846 Depth=2
	v_min_i32_e32 v1, 15, v5
	v_lshl_or_b32 v1, v1, 3, v4
	v_and_or_b32 v1, v14, 7, v1
                                        ; implicit-def: $vgpr4
; %bb.4866:                             ;   in Loop: Header=BB2_4846 Depth=2
	s_andn2_saveexec_b64 s[18:19], s[18:19]
; %bb.4867:                             ;   in Loop: Header=BB2_4846 Depth=2
	v_mov_b32_e32 v1, v4
; %bb.4868:                             ;   in Loop: Header=BB2_4846 Depth=2
	s_or_b64 exec, exec, s[18:19]
.LBB2_4869:                             ;   in Loop: Header=BB2_4846 Depth=2
	s_or_b64 exec, exec, s[56:57]
.LBB2_4870:                             ;   in Loop: Header=BB2_4846 Depth=2
	s_andn2_saveexec_b64 s[18:19], s[54:55]
	s_or_b64 exec, exec, s[18:19]
                                        ; implicit-def: $vgpr5
.LBB2_4871:                             ;   in Loop: Header=BB2_4846 Depth=2
	s_andn2_saveexec_b64 s[18:19], s[52:53]
; %bb.4872:                             ;   in Loop: Header=BB2_4846 Depth=2
	v_or_b32_sdwa v4, v5, s68 dst_sel:DWORD dst_unused:UNUSED_PAD src0_sel:BYTE_3 src1_sel:DWORD
	v_cmp_eq_u64_e32 vcc, 0, v[36:37]
	v_cndmask_b32_e32 v1, v4, v1, vcc
; %bb.4873:                             ;   in Loop: Header=BB2_4846 Depth=2
	s_or_b64 exec, exec, s[18:19]
	flat_load_ubyte v5, v[10:11] glc slc
	v_and_b32_e32 v14, 0xff, v1
	v_cmp_ne_u16_e32 vcc, 0, v14
	v_mov_b32_e32 v4, 0
	v_mov_b32_e32 v6, 0
	s_and_saveexec_b64 s[18:19], vcc
	s_cbranch_execz .LBB2_4879
; %bb.4874:                             ;   in Loop: Header=BB2_4846 Depth=2
	v_cmp_ne_u16_e32 vcc, s69, v14
	v_bfrev_b32_e32 v6, 1
	s_and_saveexec_b64 s[52:53], vcc
	s_cbranch_execz .LBB2_4878
; %bb.4875:                             ;   in Loop: Header=BB2_4846 Depth=2
	v_and_b32_e32 v7, 0x7f, v1
	v_cmp_ne_u32_e32 vcc, s68, v7
	v_mov_b32_e32 v6, 0x7f800001
	s_and_saveexec_b64 s[54:55], vcc
	s_cbranch_execz .LBB2_4877
; %bb.4876:                             ;   in Loop: Header=BB2_4846 Depth=2
	v_and_b32_e32 v6, 7, v14
	v_ffbh_u32_e32 v8, v6
	v_min_u32_e32 v16, 32, v8
	v_lshrrev_b32_e32 v15, 3, v7
	v_subrev_u32_e32 v8, 28, v16
	v_lshlrev_b64 v[8:9], v8, v[14:15]
	v_sub_u32_e32 v9, 29, v16
	v_and_b32_e32 v8, 7, v8
	v_cmp_gt_u32_e32 vcc, 8, v7
	v_cndmask_b32_e32 v7, v15, v9, vcc
	v_cndmask_b32_e32 v6, v6, v8, vcc
	v_lshlrev_b32_e32 v1, 24, v1
	v_lshlrev_b32_e32 v6, 20, v6
	v_and_b32_e32 v1, 0x80000000, v1
	v_lshl_add_u32 v7, v7, 23, v50
	v_or3_b32 v6, v1, v7, v6
.LBB2_4877:                             ;   in Loop: Header=BB2_4846 Depth=2
	s_or_b64 exec, exec, s[54:55]
.LBB2_4878:                             ;   in Loop: Header=BB2_4846 Depth=2
	s_or_b64 exec, exec, s[52:53]
.LBB2_4879:                             ;   in Loop: Header=BB2_4846 Depth=2
	s_or_b64 exec, exec, s[18:19]
	s_waitcnt vmcnt(0) lgkmcnt(0)
	v_and_b32_e32 v14, 0xff, v5
	v_cmp_ne_u16_e32 vcc, 0, v14
	s_and_saveexec_b64 s[18:19], vcc
	s_cbranch_execz .LBB2_4885
; %bb.4880:                             ;   in Loop: Header=BB2_4846 Depth=2
	v_cmp_ne_u16_e32 vcc, s69, v14
	v_bfrev_b32_e32 v4, 1
	s_and_saveexec_b64 s[52:53], vcc
	s_cbranch_execz .LBB2_4884
; %bb.4881:                             ;   in Loop: Header=BB2_4846 Depth=2
	v_and_b32_e32 v1, 0x7f, v5
	v_cmp_ne_u32_e32 vcc, s68, v1
	v_mov_b32_e32 v4, 0x7f800001
	s_and_saveexec_b64 s[54:55], vcc
	s_cbranch_execz .LBB2_4883
; %bb.4882:                             ;   in Loop: Header=BB2_4846 Depth=2
	v_and_b32_e32 v7, 7, v14
	v_lshlrev_b32_e32 v4, 24, v5
	v_and_b32_e32 v9, 0x80000000, v4
	v_ffbh_u32_e32 v4, v7
	v_min_u32_e32 v15, 32, v4
	v_subrev_u32_e32 v4, 28, v15
	v_lshlrev_b64 v[4:5], v4, v[14:15]
	v_lshrrev_b32_e32 v8, 3, v1
	v_sub_u32_e32 v5, 29, v15
	v_and_b32_e32 v4, 7, v4
	v_cmp_gt_u32_e32 vcc, 8, v1
	v_cndmask_b32_e32 v1, v8, v5, vcc
	v_cndmask_b32_e32 v4, v7, v4, vcc
	v_lshlrev_b32_e32 v4, 20, v4
	v_lshl_add_u32 v1, v1, 23, v50
	v_or3_b32 v4, v9, v1, v4
.LBB2_4883:                             ;   in Loop: Header=BB2_4846 Depth=2
	s_or_b64 exec, exec, s[54:55]
.LBB2_4884:                             ;   in Loop: Header=BB2_4846 Depth=2
	s_or_b64 exec, exec, s[52:53]
.LBB2_4885:                             ;   in Loop: Header=BB2_4846 Depth=2
	s_or_b64 exec, exec, s[18:19]
	v_add_f32_e32 v5, v6, v4
	v_and_b32_sdwa v1, v5, s69 dst_sel:DWORD dst_unused:UNUSED_PAD src0_sel:BYTE_3 src1_sel:DWORD
	v_and_b32_e32 v6, 0x7f800000, v5
	v_mov_b32_e32 v7, v37
	v_and_b32_e32 v36, 0x7fffff, v5
	v_or_b32_e32 v4, 0x7e, v1
	v_cmp_ne_u64_e32 vcc, s[38:39], v[6:7]
	s_and_saveexec_b64 s[18:19], vcc
	s_xor_b64 s[52:53], exec, s[18:19]
	s_cbranch_execz .LBB2_4899
; %bb.4886:                             ;   in Loop: Header=BB2_4846 Depth=2
	v_and_b32_e32 v6, 0x7fffffff, v5
	v_mov_b32_e32 v7, v37
	v_cmp_gt_u64_e32 vcc, s[40:41], v[6:7]
	s_and_saveexec_b64 s[18:19], vcc
	s_xor_b64 s[54:55], exec, s[18:19]
	s_cbranch_execz .LBB2_4898
; %bb.4887:                             ;   in Loop: Header=BB2_4846 Depth=2
	v_cmp_ne_u32_e32 vcc, 0, v5
	v_mov_b32_e32 v4, 0
	s_and_saveexec_b64 s[56:57], vcc
	s_cbranch_execz .LBB2_4897
; %bb.4888:                             ;   in Loop: Header=BB2_4846 Depth=2
	v_bfe_u32 v4, v5, 23, 8
	v_sub_u32_e32 v6, 0x79, v4
	v_cmp_gt_u32_e32 vcc, s71, v4
	v_add_u32_e32 v5, 0xffffff81, v4
	v_cndmask_b32_e32 v6, 0, v6, vcc
	v_cmp_eq_u32_e32 vcc, 0, v4
	v_mov_b32_e32 v4, 0xffffff82
	v_cndmask_b32_e32 v18, v5, v4, vcc
	v_mov_b32_e32 v4, 0x78
	v_cndmask_b32_e32 v6, v6, v4, vcc
	v_add_u32_e32 v4, 20, v6
	v_or_b32_e32 v7, 0x800000, v36
	v_lshlrev_b64 v[4:5], v4, -1
	v_cndmask_b32_e32 v36, v7, v36, vcc
	v_not_b32_e32 v4, v4
	v_not_b32_e32 v5, v5
	v_and_b32_e32 v8, v36, v4
	v_add_u32_e32 v4, 19, v6
	v_lshrrev_b64 v[16:17], v6, v[36:37]
	v_and_b32_e32 v9, 0, v5
	v_lshlrev_b64 v[14:15], v4, 1
	v_bfe_u32 v5, v16, 20, 1
	v_add_u32_e32 v5, -1, v5
	v_cmp_eq_u64_e32 vcc, v[8:9], v[14:15]
	v_cndmask_b32_e32 v5, 0, v5, vcc
	v_add_u32_e32 v5, v5, v16
	v_lshrrev_b32_e32 v4, 23, v16
	v_and_b32_e32 v5, 0xfffff, v5
	v_add3_u32 v6, v6, v18, v4
	v_add_co_u32_e32 v14, vcc, v5, v16
	v_add_u32_e32 v4, 6, v6
	v_addc_co_u32_e32 v15, vcc, 0, v17, vcc
	v_cmp_ne_u32_e32 vcc, 0, v4
                                        ; implicit-def: $vgpr5
	s_and_saveexec_b64 s[18:19], vcc
	s_xor_b64 s[18:19], exec, s[18:19]
; %bb.4889:                             ;   in Loop: Header=BB2_4846 Depth=2
	v_add_u32_e32 v5, 7, v6
	v_cmp_lt_u64_e32 vcc, s[44:45], v[14:15]
	v_cndmask_b32_e32 v5, v4, v5, vcc
	v_cndmask_b32_e64 v4, 0, 1, vcc
	v_lshrrev_b64 v[14:15], v4, v[14:15]
; %bb.4890:                             ;   in Loop: Header=BB2_4846 Depth=2
	s_andn2_saveexec_b64 s[18:19], s[18:19]
; %bb.4891:                             ;   in Loop: Header=BB2_4846 Depth=2
	v_bfe_u32 v5, v14, 23, 1
; %bb.4892:                             ;   in Loop: Header=BB2_4846 Depth=2
	s_or_b64 exec, exec, s[18:19]
	v_lshrrev_b64 v[6:7], 20, v[14:15]
	v_cmp_gt_i32_e32 vcc, 16, v5
	v_cndmask_b32_e32 v15, 0, v7, vcc
	v_cndmask_b32_e32 v14, 7, v6, vcc
	v_cmp_ne_u32_e32 vcc, 0, v5
	v_cmp_ne_u64_e64 s[18:19], 0, v[14:15]
	s_or_b64 s[18:19], vcc, s[18:19]
                                        ; implicit-def: $vgpr4
	s_and_saveexec_b64 vcc, s[18:19]
	s_xor_b64 s[18:19], exec, vcc
; %bb.4893:                             ;   in Loop: Header=BB2_4846 Depth=2
	v_min_i32_e32 v4, 15, v5
	v_lshl_or_b32 v1, v4, 3, v1
	v_and_or_b32 v4, v14, 7, v1
                                        ; implicit-def: $vgpr1
; %bb.4894:                             ;   in Loop: Header=BB2_4846 Depth=2
	s_andn2_saveexec_b64 s[18:19], s[18:19]
; %bb.4895:                             ;   in Loop: Header=BB2_4846 Depth=2
	v_mov_b32_e32 v4, v1
; %bb.4896:                             ;   in Loop: Header=BB2_4846 Depth=2
	s_or_b64 exec, exec, s[18:19]
.LBB2_4897:                             ;   in Loop: Header=BB2_4846 Depth=2
	s_or_b64 exec, exec, s[56:57]
.LBB2_4898:                             ;   in Loop: Header=BB2_4846 Depth=2
	s_andn2_saveexec_b64 s[18:19], s[54:55]
	s_or_b64 exec, exec, s[18:19]
                                        ; implicit-def: $vgpr5
.LBB2_4899:                             ;   in Loop: Header=BB2_4846 Depth=2
	s_andn2_saveexec_b64 s[18:19], s[52:53]
	s_cbranch_execz .LBB2_4845
; %bb.4900:                             ;   in Loop: Header=BB2_4846 Depth=2
	v_or_b32_sdwa v1, v5, s68 dst_sel:DWORD dst_unused:UNUSED_PAD src0_sel:BYTE_3 src1_sel:DWORD
	v_cmp_eq_u64_e32 vcc, 0, v[36:37]
	v_cndmask_b32_e32 v4, v1, v4, vcc
	s_branch .LBB2_4845
.LBB2_4901:                             ;   in Loop: Header=BB2_2518 Depth=1
	s_or_b64 exec, exec, s[20:21]
	v_cmp_ne_u32_e64 s[18:19], 0, v39
.LBB2_4902:                             ;   in Loop: Header=BB2_2518 Depth=1
	s_and_saveexec_b64 s[20:21], s[10:11]
	s_cbranch_execz .LBB2_4921
; %bb.4903:                             ;   in Loop: Header=BB2_2518 Depth=1
	s_and_saveexec_b64 vcc, s[30:31]
	s_xor_b64 s[50:51], exec, vcc
	s_cbranch_execz .LBB2_4918
; %bb.4904:                             ;   in Loop: Header=BB2_2518 Depth=1
	s_and_saveexec_b64 s[52:53], s[12:13]
	s_cbranch_execz .LBB2_4917
; %bb.4905:                             ;   in Loop: Header=BB2_2518 Depth=1
	s_mov_b64 s[56:57], exec
	v_mbcnt_lo_u32_b32 v0, s56, 0
	v_mbcnt_hi_u32_b32 v0, s57, v0
	v_cmp_eq_u32_e32 vcc, 0, v0
	s_waitcnt vmcnt(0) lgkmcnt(0)
	buffer_wbinvl1_vol
	s_and_saveexec_b64 s[54:55], vcc
	s_cbranch_execz .LBB2_4907
; %bb.4906:                             ;   in Loop: Header=BB2_2518 Depth=1
	s_bcnt1_i32_b64 vcc_lo, s[56:57]
	v_mov_b32_e32 v36, vcc_lo
	ds_add_u64 v0, v[36:37]
	s_trap 2
.LBB2_4907:                             ;   in Loop: Header=BB2_2518 Depth=1
	s_or_b64 exec, exec, s[54:55]
	s_trap 2
	ds_read_b64 v[0:1], v0
	v_accvgpr_read_b32 v2, a22
	v_accvgpr_read_b32 v3, a23
	v_add_co_u32_e32 v2, vcc, v2, v30
	v_addc_co_u32_e32 v3, vcc, 0, v3, vcc
	v_accvgpr_write_b32 a23, v3
	v_accvgpr_write_b32 a22, v2
	s_waitcnt lgkmcnt(0)
	v_cmp_lt_u64_e32 vcc, v[0:1], v[2:3]
	s_and_saveexec_b64 s[54:55], vcc
	s_cbranch_execz .LBB2_4916
; %bb.4908:                             ;   in Loop: Header=BB2_2518 Depth=1
	s_mov_b32 s75, 0
	s_mov_b64 s[56:57], 0
                                        ; implicit-def: $sgpr58_sgpr59
                                        ; implicit-def: $sgpr60_sgpr61
	s_branch .LBB2_4910
.LBB2_4909:                             ;   in Loop: Header=BB2_4910 Depth=2
	s_or_b64 exec, exec, s[64:65]
	s_and_b64 vcc, exec, vcc
	s_or_b64 s[56:57], vcc, s[56:57]
	s_andn2_b64 vcc, s[58:59], exec
	s_and_b64 s[58:59], s[60:61], exec
	s_or_b64 s[58:59], vcc, s[58:59]
	s_andn2_b64 exec, exec, s[56:57]
	s_cbranch_execz .LBB2_4914
.LBB2_4910:                             ;   Parent Loop BB2_2518 Depth=1
                                        ; =>  This Inner Loop Header: Depth=2
	s_add_i32 s75, s75, 1
	s_cmpk_lg_i32 s75, 0x2710
	s_cselect_b64 s[62:63], -1, 0
	s_and_b64 vcc, exec, s[62:63]
                                        ; implicit-def: $sgpr64_sgpr65
	s_cbranch_vccnz .LBB2_4912
; %bb.4911:                             ;   in Loop: Header=BB2_4910 Depth=2
	s_trap 2
	ds_read_b64 v[0:1], v0
	s_andn2_b64 s[62:63], s[62:63], exec
	s_mov_b32 s75, 0
	s_mov_b64 s[64:65], -1
	s_waitcnt lgkmcnt(0)
	flat_load_dword v0, v[0:1] glc
	s_waitcnt vmcnt(0) lgkmcnt(0)
	buffer_invl2
	buffer_wbinvl1_vol
	v_cmp_eq_u32_e32 vcc, 0, v0
	s_and_b64 vcc, vcc, exec
	s_or_b64 s[62:63], s[62:63], vcc
.LBB2_4912:                             ;   in Loop: Header=BB2_4910 Depth=2
	s_andn2_b64 s[60:61], s[60:61], exec
	s_and_b64 s[64:65], s[64:65], exec
	s_mov_b64 vcc, -1
	s_or_b64 s[60:61], s[60:61], s[64:65]
	s_and_saveexec_b64 s[64:65], s[62:63]
	s_cbranch_execz .LBB2_4909
; %bb.4913:                             ;   in Loop: Header=BB2_4910 Depth=2
	s_sleep 1
	s_trap 2
	ds_read_b64 v[0:1], v0
	v_accvgpr_read_b32 v2, a22
	v_accvgpr_read_b32 v3, a23
	s_andn2_b64 s[60:61], s[60:61], exec
	s_waitcnt lgkmcnt(0)
	v_cmp_ge_u64_e32 vcc, v[0:1], v[2:3]
	s_orn2_b64 vcc, vcc, exec
	s_branch .LBB2_4909
.LBB2_4914:                             ;   in Loop: Header=BB2_2518 Depth=1
	s_or_b64 exec, exec, s[56:57]
	s_and_saveexec_b64 vcc, s[58:59]
	s_xor_b64 vcc, exec, vcc
	s_cbranch_execz .LBB2_4916
; %bb.4915:                             ;   in Loop: Header=BB2_2518 Depth=1
	v_mov_b32_e32 v0, 1
	ds_write_b32 v0, v0
	s_trap 2
.LBB2_4916:                             ;   in Loop: Header=BB2_2518 Depth=1
	s_or_b64 exec, exec, s[54:55]
	;;#ASMSTART
	s_wakeup
	;;#ASMEND
.LBB2_4917:                             ;   in Loop: Header=BB2_2518 Depth=1
	s_or_b64 exec, exec, s[52:53]
.LBB2_4918:                             ;   in Loop: Header=BB2_2518 Depth=1
	s_andn2_saveexec_b64 vcc, s[50:51]
	s_cbranch_execz .LBB2_4920
; %bb.4919:                             ;   in Loop: Header=BB2_2518 Depth=1
	s_waitcnt vmcnt(0) lgkmcnt(0)
	buffer_wbinvl1_vol
	s_barrier
.LBB2_4920:                             ;   in Loop: Header=BB2_2518 Depth=1
	s_or_b64 exec, exec, vcc
.LBB2_4921:                             ;   in Loop: Header=BB2_2518 Depth=1
	s_or_b64 exec, exec, s[20:21]
	v_and_b32_e32 v0, 16, v59
	v_cmp_ne_u32_e32 vcc, 0, v0
	s_and_b64 s[20:21], vcc, s[18:19]
	s_and_saveexec_b64 s[18:19], s[20:21]
	s_cbranch_execz .LBB2_4923
; %bb.4922:                             ;   in Loop: Header=BB2_2518 Depth=1
	s_waitcnt vmcnt(0) lgkmcnt(0)
	buffer_wbinvl1_vol
.LBB2_4923:                             ;   in Loop: Header=BB2_2518 Depth=1
	s_or_b64 exec, exec, s[18:19]
	v_and_b32_e32 v0, 32, v59
	v_cmp_ne_u32_e32 vcc, 0, v0
	s_and_saveexec_b64 s[18:19], vcc
	s_cbranch_execz .LBB2_4925
; %bb.4924:                             ;   in Loop: Header=BB2_2518 Depth=1
	v_accvgpr_read_b32 v0, a12
	v_accvgpr_read_b32 v2, a14
	;; [unrolled: 1-line block ×3, first 2 shown]
	v_add_co_u32_e32 v2, vcc, 1, v2
	v_addc_co_u32_e32 v3, vcc, 0, v3, vcc
	v_accvgpr_read_b32 v1, a13
	v_accvgpr_write_b32 a15, v3
	v_accvgpr_write_b32 a14, v2
	;; [unrolled: 1-line block ×4, first 2 shown]
	v_accvgpr_read_b32 v0, a16
	v_accvgpr_read_b32 v1, a17
	flat_store_dwordx2 v[0:1], v[2:3]
.LBB2_4925:                             ;   in Loop: Header=BB2_2518 Depth=1
	s_or_b64 exec, exec, s[18:19]
	v_mov_b32_e32 v0, v35
.LBB2_4926:                             ;   in Loop: Header=BB2_2518 Depth=1
	s_or_b64 exec, exec, s[48:49]
	s_and_saveexec_b64 s[20:21], s[46:47]
	s_cbranch_execz .LBB2_2517
; %bb.4927:                             ;   in Loop: Header=BB2_2518 Depth=1
	v_and_b32_e32 v1, 4, v59
	v_cmp_ne_u32_e32 vcc, 0, v1
	s_mov_b64 s[46:47], -1
	s_and_saveexec_b64 s[18:19], vcc
	s_cbranch_execnz .LBB2_4930
; %bb.4928:                             ;   in Loop: Header=BB2_2518 Depth=1
	s_or_b64 exec, exec, s[18:19]
	s_xor_b64 s[18:19], s[46:47], -1
	s_and_saveexec_b64 s[46:47], s[18:19]
	s_cbranch_execnz .LBB2_4941
.LBB2_4929:                             ;   in Loop: Header=BB2_2518 Depth=1
	s_or_b64 exec, exec, s[46:47]
	s_and_saveexec_b64 s[18:19], s[10:11]
	s_cbranch_execnz .LBB2_4950
	s_branch .LBB2_4968
.LBB2_4930:                             ;   in Loop: Header=BB2_2518 Depth=1
	v_accvgpr_read_b32 v2, a12
	v_accvgpr_read_b32 v4, a14
	;; [unrolled: 1-line block ×4, first 2 shown]
	v_add_co_u32_e32 v2, vcc, 1, v4
	v_addc_co_u32_e32 v3, vcc, 0, v5, vcc
	v_cmp_lt_u64_e32 vcc, v[28:29], v[2:3]
	v_mov_b32_e32 v1, 1
	s_and_saveexec_b64 s[46:47], vcc
	s_cbranch_execz .LBB2_4940
; %bb.4931:                             ;   in Loop: Header=BB2_2518 Depth=1
	s_mov_b64 s[48:49], 0
	v_mov_b32_e32 v1, 0
                                        ; implicit-def: $sgpr50_sgpr51
	s_branch .LBB2_4935
.LBB2_4932:                             ;   in Loop: Header=BB2_4935 Depth=2
	s_or_b64 exec, exec, s[58:59]
	v_mov_b32_e32 v4, 0
	s_orn2_b64 s[56:57], s[56:57], exec
.LBB2_4933:                             ;   in Loop: Header=BB2_4935 Depth=2
	s_or_b64 exec, exec, s[54:55]
	s_andn2_b64 vcc, s[50:51], exec
	s_and_b64 s[50:51], s[56:57], exec
	s_or_b64 s[50:51], vcc, s[50:51]
	v_mov_b32_e32 v1, v4
.LBB2_4934:                             ;   in Loop: Header=BB2_4935 Depth=2
	s_or_b64 exec, exec, s[52:53]
	s_waitcnt vmcnt(0) lgkmcnt(0)
	v_cmp_ge_u64_e32 vcc, v[28:29], v[2:3]
	s_xor_b64 s[52:53], s[50:51], -1
	s_or_b64 vcc, s[52:53], vcc
	s_and_b64 vcc, exec, vcc
	s_or_b64 s[48:49], vcc, s[48:49]
	s_andn2_b64 exec, exec, s[48:49]
	s_cbranch_execz .LBB2_4939
.LBB2_4935:                             ;   Parent Loop BB2_2518 Depth=1
                                        ; =>  This Inner Loop Header: Depth=2
	v_accvgpr_read_b32 v4, a16
	v_accvgpr_read_b32 v5, a17
	s_sleep 1
	flat_load_dwordx2 v[28:29], v[4:5] glc
	v_and_b32_e32 v4, 64, v59
	v_cmp_eq_u32_e32 vcc, 0, v4
	s_andn2_b64 s[50:51], s[50:51], exec
	s_and_saveexec_b64 s[52:53], vcc
	s_cbranch_execz .LBB2_4934
; %bb.4936:                             ;   in Loop: Header=BB2_4935 Depth=2
	v_add_u32_e32 v4, 1, v1
	v_cmp_lt_i32_e32 vcc, s67, v1
	s_mov_b64 s[56:57], -1
	s_and_saveexec_b64 s[54:55], vcc
	s_cbranch_execz .LBB2_4933
; %bb.4937:                             ;   in Loop: Header=BB2_4935 Depth=2
	s_trap 2
	ds_read_b64 v[4:5], v0
	s_waitcnt vmcnt(0) lgkmcnt(0)
	flat_load_dword v1, v[4:5] glc
	s_waitcnt vmcnt(0) lgkmcnt(0)
	buffer_invl2
	buffer_wbinvl1_vol
	v_cmp_ne_u32_e32 vcc, 0, v1
	s_and_saveexec_b64 s[58:59], vcc
	s_cbranch_execz .LBB2_4932
; %bb.4938:                             ;   in Loop: Header=BB2_4935 Depth=2
	v_or_b32_e32 v59, 64, v59
	s_xor_b64 s[56:57], exec, -1
	ds_write_b32 v0, v1
	s_trap 2
	s_branch .LBB2_4932
.LBB2_4939:                             ;   in Loop: Header=BB2_2518 Depth=1
	s_or_b64 exec, exec, s[48:49]
	v_and_b32_e32 v1, 4, v59
.LBB2_4940:                             ;   in Loop: Header=BB2_2518 Depth=1
	s_or_b64 exec, exec, s[46:47]
	v_cmp_eq_u32_e32 vcc, 0, v1
	s_orn2_b64 s[46:47], vcc, exec
	;;#ASMSTART
	s_wakeup
	;;#ASMEND
	s_or_b64 exec, exec, s[18:19]
	s_xor_b64 s[18:19], s[46:47], -1
	s_and_saveexec_b64 s[46:47], s[18:19]
	s_cbranch_execz .LBB2_4929
.LBB2_4941:                             ;   in Loop: Header=BB2_2518 Depth=1
	v_accvgpr_read_b32 v2, a12
	v_and_b32_e32 v1, 0x100, v59
	v_accvgpr_read_b32 v4, a14
	v_cmp_ne_u32_e32 vcc, 0, v1
	v_accvgpr_read_b32 v3, a13
	v_and_b32_e32 v1, 7, v4
	s_mov_b64 s[18:19], -1
	v_accvgpr_read_b32 v5, a15
                                        ; implicit-def: $vgpr2_vgpr3
	s_and_saveexec_b64 s[48:49], vcc
	s_cbranch_execz .LBB2_4945
; %bb.4942:                             ;   in Loop: Header=BB2_2518 Depth=1
	v_accvgpr_read_b32 v2, a12
	v_accvgpr_read_b32 v3, a13
	v_mad_u64_u32 v[10:11], s[18:19], v1, 24, v[2:3]
	flat_load_dword v2, v[10:11]
	v_accvgpr_read_b32 v4, a14
	v_accvgpr_read_b32 v5, a15
	s_waitcnt vmcnt(0) lgkmcnt(0)
	v_cmp_ne_u32_e32 vcc, 1, v2
	v_cmp_eq_u32_e64 s[18:19], 1, v2
                                        ; implicit-def: $vgpr2_vgpr3
	s_and_saveexec_b64 s[50:51], s[18:19]
	s_cbranch_execz .LBB2_4944
; %bb.4943:                             ;   in Loop: Header=BB2_2518 Depth=1
	flat_load_dword v2, v[10:11] offset:4 glc
	s_waitcnt vmcnt(0) lgkmcnt(0)
	v_ashrrev_i32_e32 v3, 31, v2
.LBB2_4944:                             ;   in Loop: Header=BB2_2518 Depth=1
	s_or_b64 exec, exec, s[50:51]
	s_orn2_b64 s[18:19], vcc, exec
.LBB2_4945:                             ;   in Loop: Header=BB2_2518 Depth=1
	s_or_b64 exec, exec, s[48:49]
	s_and_saveexec_b64 vcc, s[18:19]
; %bb.4946:                             ;   in Loop: Header=BB2_2518 Depth=1
	v_accvgpr_read_b32 v2, a18
	v_mad_i64_i32 v[2:3], s[18:19], v1, v2, 0
; %bb.4947:                             ;   in Loop: Header=BB2_2518 Depth=1
	s_or_b64 exec, exec, vcc
	v_accvgpr_read_b32 v4, a20
	v_accvgpr_read_b32 v5, a21
	v_add_co_u32_e32 v2, vcc, v4, v2
	v_addc_co_u32_e32 v3, vcc, v5, v3, vcc
	v_and_b32_e32 v1, 0x2000, v59
	v_cmp_ne_u32_e32 vcc, 0, v1
	ds_write_b64 v0, v[2:3] offset:728
	s_and_saveexec_b64 s[18:19], vcc
	s_cbranch_execz .LBB2_4949
; %bb.4948:                             ;   in Loop: Header=BB2_2518 Depth=1
	ds_read_b64 v[2:3], v0 offset:584
	s_waitcnt lgkmcnt(0)
	v_add_co_u32_e32 v2, vcc, 1, v2
	v_addc_co_u32_e32 v3, vcc, 0, v3, vcc
	ds_write_b64 v0, v[2:3] offset:584
.LBB2_4949:                             ;   in Loop: Header=BB2_2518 Depth=1
	s_or_b64 exec, exec, s[18:19]
	v_accvgpr_read_b32 v2, a12
	v_accvgpr_read_b32 v4, a14
	;; [unrolled: 1-line block ×3, first 2 shown]
	v_add_co_u32_e32 v4, vcc, 1, v4
	v_addc_co_u32_e32 v5, vcc, 0, v5, vcc
	v_accvgpr_read_b32 v3, a13
	v_accvgpr_write_b32 a15, v5
	v_accvgpr_write_b32 a14, v4
	;; [unrolled: 1-line block ×4, first 2 shown]
	s_or_b64 exec, exec, s[46:47]
	s_and_saveexec_b64 s[18:19], s[10:11]
	s_cbranch_execz .LBB2_4968
.LBB2_4950:                             ;   in Loop: Header=BB2_2518 Depth=1
	s_and_saveexec_b64 vcc, s[30:31]
	s_xor_b64 s[46:47], exec, vcc
	s_cbranch_execz .LBB2_4965
; %bb.4951:                             ;   in Loop: Header=BB2_2518 Depth=1
	s_and_saveexec_b64 s[48:49], s[12:13]
	s_cbranch_execz .LBB2_4964
; %bb.4952:                             ;   in Loop: Header=BB2_2518 Depth=1
	s_mov_b64 s[52:53], exec
	v_mbcnt_lo_u32_b32 v1, s52, 0
	v_mbcnt_hi_u32_b32 v1, s53, v1
	v_cmp_eq_u32_e32 vcc, 0, v1
	s_waitcnt vmcnt(0) lgkmcnt(0)
	buffer_wbinvl1_vol
	s_and_saveexec_b64 s[50:51], vcc
	s_cbranch_execz .LBB2_4954
; %bb.4953:                             ;   in Loop: Header=BB2_2518 Depth=1
	s_bcnt1_i32_b64 vcc_lo, s[52:53]
	v_mov_b32_e32 v36, vcc_lo
	ds_add_u64 v0, v[36:37]
	s_trap 2
.LBB2_4954:                             ;   in Loop: Header=BB2_2518 Depth=1
	s_or_b64 exec, exec, s[50:51]
	s_trap 2
	ds_read_b64 v[2:3], v0
	v_accvgpr_read_b32 v4, a22
	v_accvgpr_read_b32 v5, a23
	v_add_co_u32_e32 v4, vcc, v4, v30
	v_addc_co_u32_e32 v5, vcc, 0, v5, vcc
	v_accvgpr_write_b32 a23, v5
	v_accvgpr_write_b32 a22, v4
	s_waitcnt lgkmcnt(0)
	v_cmp_lt_u64_e32 vcc, v[2:3], v[4:5]
	s_and_saveexec_b64 s[50:51], vcc
	s_cbranch_execz .LBB2_4963
; %bb.4955:                             ;   in Loop: Header=BB2_2518 Depth=1
	s_mov_b32 s62, 0
	s_mov_b64 s[52:53], 0
                                        ; implicit-def: $sgpr54_sgpr55
                                        ; implicit-def: $sgpr56_sgpr57
	s_branch .LBB2_4957
.LBB2_4956:                             ;   in Loop: Header=BB2_4957 Depth=2
	s_or_b64 exec, exec, s[60:61]
	s_and_b64 vcc, exec, vcc
	s_or_b64 s[52:53], vcc, s[52:53]
	s_andn2_b64 vcc, s[54:55], exec
	s_and_b64 s[54:55], s[56:57], exec
	s_or_b64 s[54:55], vcc, s[54:55]
	s_andn2_b64 exec, exec, s[52:53]
	s_cbranch_execz .LBB2_4961
.LBB2_4957:                             ;   Parent Loop BB2_2518 Depth=1
                                        ; =>  This Inner Loop Header: Depth=2
	s_add_i32 s62, s62, 1
	s_cmpk_lg_i32 s62, 0x2710
	s_cselect_b64 s[58:59], -1, 0
	s_and_b64 vcc, exec, s[58:59]
                                        ; implicit-def: $sgpr60_sgpr61
	s_cbranch_vccnz .LBB2_4959
; %bb.4958:                             ;   in Loop: Header=BB2_4957 Depth=2
	s_trap 2
	ds_read_b64 v[2:3], v0
	s_andn2_b64 s[58:59], s[58:59], exec
	s_mov_b32 s62, 0
	s_mov_b64 s[60:61], -1
	s_waitcnt lgkmcnt(0)
	flat_load_dword v1, v[2:3] glc
	s_waitcnt vmcnt(0) lgkmcnt(0)
	buffer_invl2
	buffer_wbinvl1_vol
	v_cmp_eq_u32_e32 vcc, 0, v1
	s_and_b64 vcc, vcc, exec
	s_or_b64 s[58:59], s[58:59], vcc
.LBB2_4959:                             ;   in Loop: Header=BB2_4957 Depth=2
	s_andn2_b64 s[56:57], s[56:57], exec
	s_and_b64 s[60:61], s[60:61], exec
	s_mov_b64 vcc, -1
	s_or_b64 s[56:57], s[56:57], s[60:61]
	s_and_saveexec_b64 s[60:61], s[58:59]
	s_cbranch_execz .LBB2_4956
; %bb.4960:                             ;   in Loop: Header=BB2_4957 Depth=2
	s_sleep 1
	s_trap 2
	ds_read_b64 v[2:3], v0
	v_accvgpr_read_b32 v4, a22
	v_accvgpr_read_b32 v5, a23
	s_andn2_b64 s[56:57], s[56:57], exec
	s_waitcnt lgkmcnt(0)
	v_cmp_ge_u64_e32 vcc, v[2:3], v[4:5]
	s_orn2_b64 vcc, vcc, exec
	s_branch .LBB2_4956
.LBB2_4961:                             ;   in Loop: Header=BB2_2518 Depth=1
	s_or_b64 exec, exec, s[52:53]
	s_and_saveexec_b64 vcc, s[54:55]
	s_xor_b64 vcc, exec, vcc
	s_cbranch_execz .LBB2_4963
; %bb.4962:                             ;   in Loop: Header=BB2_2518 Depth=1
	v_mov_b32_e32 v1, 1
	ds_write_b32 v0, v1
	s_trap 2
.LBB2_4963:                             ;   in Loop: Header=BB2_2518 Depth=1
	s_or_b64 exec, exec, s[50:51]
	;;#ASMSTART
	s_wakeup
	;;#ASMEND
.LBB2_4964:                             ;   in Loop: Header=BB2_2518 Depth=1
	s_or_b64 exec, exec, s[48:49]
.LBB2_4965:                             ;   in Loop: Header=BB2_2518 Depth=1
	s_andn2_saveexec_b64 vcc, s[46:47]
	s_cbranch_execz .LBB2_4967
; %bb.4966:                             ;   in Loop: Header=BB2_2518 Depth=1
	s_waitcnt vmcnt(0) lgkmcnt(0)
	buffer_wbinvl1_vol
	s_barrier
.LBB2_4967:                             ;   in Loop: Header=BB2_2518 Depth=1
	s_or_b64 exec, exec, vcc
.LBB2_4968:                             ;   in Loop: Header=BB2_2518 Depth=1
	s_or_b64 exec, exec, s[18:19]
	s_trap 2
	ds_read_b32 v1, v0
	v_sub_u32_e32 v0, v38, v0
	v_min_i32_e32 v0, v35, v0
	v_cmp_lt_i32_e32 vcc, 0, v0
	v_and_b32_e32 v0, 16, v59
	s_waitcnt lgkmcnt(0)
	v_readfirstlane_b32 s18, v1
	s_cmp_eq_u32 s18, 0
	s_cselect_b64 s[18:19], -1, 0
	s_and_b64 s[18:19], vcc, s[18:19]
	v_cmp_ne_u32_e32 vcc, 0, v0
	s_and_b64 vcc, vcc, s[18:19]
	s_and_saveexec_b64 s[18:19], vcc
	s_cbranch_execz .LBB2_4970
; %bb.4969:                             ;   in Loop: Header=BB2_2518 Depth=1
	s_waitcnt vmcnt(0)
	buffer_wbinvl1_vol
.LBB2_4970:                             ;   in Loop: Header=BB2_2518 Depth=1
	s_or_b64 exec, exec, s[18:19]
	v_and_b32_e32 v0, 32, v59
	v_cmp_ne_u32_e32 vcc, 0, v0
	s_and_saveexec_b64 s[18:19], vcc
	s_cbranch_execz .LBB2_2516
; %bb.4971:                             ;   in Loop: Header=BB2_2518 Depth=1
	v_accvgpr_read_b32 v0, a12
	v_accvgpr_read_b32 v2, a14
	v_accvgpr_read_b32 v3, a15
	v_add_co_u32_e32 v2, vcc, 1, v2
	v_addc_co_u32_e32 v3, vcc, 0, v3, vcc
	v_accvgpr_read_b32 v1, a13
	v_accvgpr_write_b32 a15, v3
	v_accvgpr_write_b32 a14, v2
	;; [unrolled: 1-line block ×4, first 2 shown]
	v_accvgpr_read_b32 v0, a16
	v_accvgpr_read_b32 v1, a17
	flat_store_dwordx2 v[0:1], v[2:3]
	s_branch .LBB2_2516
.LBB2_4972:
	s_or_b64 exec, exec, s[34:35]
	v_accvgpr_read_b32 v21, a15
	v_accvgpr_read_b32 v20, a14
	;; [unrolled: 1-line block ×4, first 2 shown]
.LBB2_4973:
	s_or_b64 exec, exec, s[24:25]
.LBB2_4974:
	s_or_b64 exec, exec, s[22:23]
                                        ; implicit-def: $agpr6_agpr7
                                        ; implicit-def: $vgpr22_vgpr23
                                        ; implicit-def: $agpr26_agpr27
                                        ; implicit-def: $agpr18
                                        ; implicit-def: $vgpr28_vgpr29
                                        ; implicit-def: $agpr20_agpr21
                                        ; implicit-def: $agpr16_agpr17
                                        ; implicit-def: $agpr3
                                        ; implicit-def: $vgpr0
                                        ; implicit-def: $agpr24_agpr25
.LBB2_4975:
	s_andn2_saveexec_b64 s[24:25], s[28:29]
	s_cbranch_execz .LBB2_5946
; %bb.4976:
	v_pk_mov_b32 v[2:3], 0, 0
	v_accvgpr_write_b32 a23, v3
	s_mov_b64 s[30:31], 0
	v_cmp_ne_u64_e32 vcc, 0, v[22:23]
	v_accvgpr_write_b32 a22, v2
	s_and_saveexec_b64 s[28:29], vcc
	s_cbranch_execz .LBB2_5945
; %bb.4977:
	v_accvgpr_read_b32 v3, a0
	s_waitcnt vmcnt(0)
	v_accvgpr_read_b32 v1, a2
	v_cmp_ne_u32_sdwa s[34:35], v1, v3 src0_sel:WORD_0 src1_sel:DWORD
	v_accvgpr_read_b32 v1, a1
	v_accvgpr_read_b32 v4, a3
	v_and_b32_e32 v1, 63, v1
	v_cmp_eq_u32_e64 s[12:13], 0, v1
	v_ashrrev_i32_e32 v1, 31, v4
	v_lshrrev_b32_e32 v1, 26, v1
	v_add_u32_e32 v1, v4, v1
	s_waitcnt lgkmcnt(0)
	v_accvgpr_write_b32 a12, v18
	v_and_b32_e32 v2, 0xffffffc0, v1
	v_accvgpr_write_b32 a13, v19
	v_accvgpr_write_b32 a14, v20
	;; [unrolled: 1-line block ×3, first 2 shown]
	v_sub_u32_e32 v18, v4, v2
	v_cmp_lt_i32_e64 s[16:17], v18, v0
	v_ashrrev_i32_e32 v0, 6, v1
	v_sub_u32_e32 v20, 0, v0
	v_lshlrev_b32_e32 v0, 4, v4
	v_lshrrev_b32_e32 v14, 6, v3
	v_ashrrev_i32_e32 v1, 31, v0
	v_accvgpr_write_b32 a29, v1
	v_lshlrev_b32_e32 v21, 10, v14
	v_accvgpr_write_b32 a28, v0
	v_add_u32_e32 v0, 0xfffffc00, v21
	s_movk_i32 s18, 0x400
	v_ashrrev_i32_e32 v1, 31, v0
	v_add_co_u32_e64 v31, s[18:19], s18, v0
	v_addc_co_u32_e64 v36, s[18:19], 0, v1, s[18:19]
	v_mov_b32_e32 v0, 0xfffffe00
	v_lshl_add_u32 v0, v14, 9, v0
	s_movk_i32 s18, 0x200
	s_ashr_i32 s6, s70, 31
	v_ashrrev_i32_e32 v1, 31, v0
	v_add_co_u32_e64 v37, s[18:19], s18, v0
	s_lshr_b32 s6, s6, 24
	v_addc_co_u32_e64 v44, s[18:19], 0, v1, s[18:19]
	v_accvgpr_read_b32 v0, a26
	v_pk_mov_b32 v[48:49], 0, 0
	s_add_i32 s70, s70, s6
	v_cmp_ge_i32_e64 s[6:7], v4, v3
	v_cmp_eq_u32_e32 vcc, 64, v3
	v_cmp_ne_u32_e64 s[10:11], 64, v3
	v_and_b32_e32 v30, 0xffffffc0, v3
	v_accvgpr_read_b32 v1, a27
	s_mov_b32 s42, -1
	v_accvgpr_write_b32 a22, v48
	v_accvgpr_read_b32 v2, a24
	s_ashr_i32 s66, s70, 8
	v_mov_b32_e32 v17, 0
	v_cmp_gt_i32_e64 s[14:15], 1, v18
	v_ashrrev_i32_e32 v15, 31, v30
	v_cmp_ne_u64_e64 s[18:19], 0, v[0:1]
	s_movk_i32 s67, 0x270e
	v_mov_b32_e32 v45, 1
	s_xor_b64 s[36:37], vcc, -1
	s_movk_i32 s68, 0x7f
	s_movk_i32 s69, 0x80
	s_mov_b64 s[38:39], 0x7f800000
	s_mov_b64 s[40:41], 0x43e00001
	s_movk_i32 s70, 0x7a
	s_mov_b32 s43, 0xffffff
	s_mov_b64 s[44:45], 0xffffff
	s_mov_b32 s71, 0x6050400
	s_mov_b32 s72, 0xc0c0500
	v_bfrev_b32_e32 v47, 60
	v_mov_b32_e32 v56, 0xffffff82
	v_mov_b32_e32 v57, 0x78
	v_accvgpr_write_b32 a23, v49
	v_accvgpr_read_b32 v3, a25
	s_trap 2
	s_branch .LBB2_4981
.LBB2_4978:                             ;   in Loop: Header=BB2_4981 Depth=1
	s_or_b64 exec, exec, vcc
	v_accvgpr_read_b32 v0, a12
	v_accvgpr_read_b32 v2, a14
	;; [unrolled: 1-line block ×3, first 2 shown]
	v_add_co_u32_e32 v2, vcc, 1, v2
	v_addc_co_u32_e32 v3, vcc, 0, v3, vcc
	v_accvgpr_read_b32 v1, a13
	v_accvgpr_write_b32 a15, v3
	v_accvgpr_write_b32 a14, v2
	;; [unrolled: 1-line block ×4, first 2 shown]
	v_accvgpr_read_b32 v0, a16
	v_accvgpr_read_b32 v1, a17
	flat_store_dwordx2 v[0:1], v[2:3]
.LBB2_4979:                             ;   in Loop: Header=BB2_4981 Depth=1
	s_or_b64 exec, exec, s[20:21]
.LBB2_4980:                             ;   in Loop: Header=BB2_4981 Depth=1
	s_or_b64 exec, exec, s[22:23]
	v_accvgpr_read_b32 v2, a24
	v_add_co_u32_e32 v48, vcc, v48, v2
	v_accvgpr_read_b32 v23, a5
	v_addc_co_u32_e32 v49, vcc, 0, v49, vcc
	v_accvgpr_read_b32 v22, a4
	v_cmp_ge_u64_e32 vcc, v[48:49], v[22:23]
	v_accvgpr_read_b32 v3, a25
	s_or_b64 s[30:31], vcc, s[30:31]
	s_andn2_b64 exec, exec, s[30:31]
	s_cbranch_execz .LBB2_5944
.LBB2_4981:                             ; =>This Loop Header: Depth=1
                                        ;     Child Loop BB2_4990 Depth 2
                                        ;     Child Loop BB2_5014 Depth 2
	;; [unrolled: 1-line block ×10, first 2 shown]
	v_sub_co_u32_e32 v0, vcc, v22, v48
	v_subb_co_u32_e32 v1, vcc, v23, v49, vcc
	v_cmp_lt_u64_e32 vcc, v[2:3], v[0:1]
	v_cndmask_b32_e64 v51, v1, 0, vcc
	v_cndmask_b32_e32 v50, v0, v2, vcc
	v_add_u32_e32 v0, 15, v50
	v_cmp_eq_u64_e32 vcc, 0, v[50:51]
	v_accvgpr_write_b32 a4, v22
	v_and_b32_e32 v0, 0x7ffffff0, v0
	s_or_b64 s[46:47], s[6:7], vcc
	v_accvgpr_write_b32 a5, v23
	v_max_i32_e32 v52, s66, v0
	s_xor_b64 s[20:21], s[46:47], -1
	v_mov_b32_e32 v0, v17
	s_and_saveexec_b64 s[48:49], s[20:21]
	s_cbranch_execz .LBB2_5897
; %bb.4982:                             ;   in Loop: Header=BB2_4981 Depth=1
	s_and_saveexec_b64 s[20:21], s[4:5]
	s_cbranch_execz .LBB2_4984
; %bb.4983:                             ;   in Loop: Header=BB2_4981 Depth=1
	s_trap 2
	ds_read_b64 v[0:1], v0
	v_accvgpr_read_b32 v2, a6
	v_accvgpr_read_b32 v3, a7
	v_mov_b32_e32 v16, v17
	s_waitcnt lgkmcnt(0)
	v_add_co_u32_e32 v0, vcc, v0, v2
	v_addc_co_u32_e32 v1, vcc, v1, v3, vcc
	v_add_co_u32_e32 v0, vcc, v0, v48
	v_addc_co_u32_e32 v1, vcc, v1, v49, vcc
	ds_write_b64 v0, v[0:1]
	ds_write_b64 v0, v[16:17]
.LBB2_4984:                             ;   in Loop: Header=BB2_4981 Depth=1
	s_or_b64 exec, exec, s[20:21]
	v_and_b32_e32 v0, 8, v59
	v_cmp_ne_u32_e32 vcc, 0, v0
	s_mov_b64 s[22:23], -1
	s_and_saveexec_b64 s[20:21], vcc
	s_cbranch_execz .LBB2_4996
; %bb.4985:                             ;   in Loop: Header=BB2_4981 Depth=1
	v_add_co_u32_e32 v0, vcc, 8, v28
	v_accvgpr_read_b32 v2, a12
	v_addc_co_u32_e32 v1, vcc, 0, v29, vcc
	v_accvgpr_read_b32 v4, a14
	v_accvgpr_read_b32 v3, a13
	;; [unrolled: 1-line block ×3, first 2 shown]
	v_add_co_u32_e32 v2, vcc, 1, v4
	v_addc_co_u32_e32 v3, vcc, 0, v5, vcc
	v_cmp_lt_u64_e32 vcc, v[0:1], v[2:3]
	v_mov_b32_e32 v0, 1
	s_and_saveexec_b64 s[22:23], vcc
	s_cbranch_execz .LBB2_4995
; %bb.4986:                             ;   in Loop: Header=BB2_4981 Depth=1
	s_mov_b64 s[50:51], 0
	v_mov_b32_e32 v0, 0
                                        ; implicit-def: $sgpr52_sgpr53
	s_branch .LBB2_4990
.LBB2_4987:                             ;   in Loop: Header=BB2_4990 Depth=2
	s_or_b64 exec, exec, s[60:61]
	v_mov_b32_e32 v1, 0
	s_orn2_b64 s[58:59], s[58:59], exec
.LBB2_4988:                             ;   in Loop: Header=BB2_4990 Depth=2
	s_or_b64 exec, exec, s[56:57]
	s_andn2_b64 vcc, s[52:53], exec
	s_and_b64 s[52:53], s[58:59], exec
	s_or_b64 s[52:53], vcc, s[52:53]
	v_mov_b32_e32 v0, v1
.LBB2_4989:                             ;   in Loop: Header=BB2_4990 Depth=2
	s_or_b64 exec, exec, s[54:55]
	s_waitcnt vmcnt(0) lgkmcnt(0)
	v_add_co_u32_e32 v4, vcc, 8, v28
	v_addc_co_u32_e32 v5, vcc, 0, v29, vcc
	v_cmp_ge_u64_e32 vcc, v[4:5], v[2:3]
	s_xor_b64 s[54:55], s[52:53], -1
	s_or_b64 vcc, s[54:55], vcc
	s_and_b64 vcc, exec, vcc
	s_or_b64 s[50:51], vcc, s[50:51]
	s_andn2_b64 exec, exec, s[50:51]
	s_cbranch_execz .LBB2_4994
.LBB2_4990:                             ;   Parent Loop BB2_4981 Depth=1
                                        ; =>  This Inner Loop Header: Depth=2
	v_accvgpr_read_b32 v4, a16
	v_accvgpr_read_b32 v5, a17
	s_sleep 1
	flat_load_dwordx2 v[28:29], v[4:5] glc
	v_and_b32_e32 v1, 64, v59
	v_cmp_eq_u32_e32 vcc, 0, v1
	s_andn2_b64 s[52:53], s[52:53], exec
	s_and_saveexec_b64 s[54:55], vcc
	s_cbranch_execz .LBB2_4989
; %bb.4991:                             ;   in Loop: Header=BB2_4990 Depth=2
	v_add_u32_e32 v1, 1, v0
	v_cmp_lt_i32_e32 vcc, s67, v0
	s_mov_b64 s[58:59], -1
	s_and_saveexec_b64 s[56:57], vcc
	s_cbranch_execz .LBB2_4988
; %bb.4992:                             ;   in Loop: Header=BB2_4990 Depth=2
	s_trap 2
	ds_read_b64 v[0:1], v0
	s_waitcnt vmcnt(0) lgkmcnt(0)
	flat_load_dword v0, v[0:1] glc
	s_waitcnt vmcnt(0) lgkmcnt(0)
	buffer_invl2
	buffer_wbinvl1_vol
	v_cmp_ne_u32_e32 vcc, 0, v0
	s_and_saveexec_b64 s[60:61], vcc
	s_cbranch_execz .LBB2_4987
; %bb.4993:                             ;   in Loop: Header=BB2_4990 Depth=2
	v_or_b32_e32 v59, 64, v59
	s_xor_b64 s[58:59], exec, -1
	ds_write_b32 v0, v0
	s_trap 2
	s_branch .LBB2_4987
.LBB2_4994:                             ;   in Loop: Header=BB2_4981 Depth=1
	s_or_b64 exec, exec, s[50:51]
	v_and_b32_e32 v0, 8, v59
.LBB2_4995:                             ;   in Loop: Header=BB2_4981 Depth=1
	s_or_b64 exec, exec, s[22:23]
	v_cmp_eq_u32_e32 vcc, 0, v0
	s_orn2_b64 s[22:23], vcc, exec
	;;#ASMSTART
	s_wakeup
	;;#ASMEND
.LBB2_4996:                             ;   in Loop: Header=BB2_4981 Depth=1
	s_or_b64 exec, exec, s[20:21]
	s_xor_b64 s[20:21], s[22:23], -1
	v_min_u32_e32 v52, v52, v50
	s_and_saveexec_b64 s[22:23], s[20:21]
	s_cbranch_execz .LBB2_5006
; %bb.4997:                             ;   in Loop: Header=BB2_4981 Depth=1
	v_and_b32_e32 v0, 0x100, v59
	v_cmp_ne_u32_e32 vcc, 0, v0
	v_accvgpr_read_b32 v0, a12
	v_accvgpr_read_b32 v2, a14
	;; [unrolled: 1-line block ×3, first 2 shown]
	v_and_b32_e32 v0, 7, v2
	s_mov_b64 s[20:21], -1
	v_accvgpr_read_b32 v1, a13
                                        ; implicit-def: $vgpr2_vgpr3
	s_and_saveexec_b64 s[50:51], vcc
	s_cbranch_execz .LBB2_5001
; %bb.4998:                             ;   in Loop: Header=BB2_4981 Depth=1
	v_accvgpr_read_b32 v2, a12
	v_accvgpr_read_b32 v3, a13
	v_mad_u64_u32 v[10:11], s[20:21], v0, 24, v[2:3]
	flat_load_dword v1, v[10:11]
	v_mov_b32_e32 v53, v17
	v_accvgpr_read_b32 v4, a14
	v_accvgpr_read_b32 v5, a15
	flat_store_dwordx2 v[10:11], v[52:53] offset:8
                                        ; implicit-def: $vgpr2_vgpr3
	s_waitcnt vmcnt(0) lgkmcnt(0)
	v_cmp_ne_u32_e32 vcc, 1, v1
	v_cmp_eq_u32_e64 s[20:21], 1, v1
	s_and_saveexec_b64 s[52:53], s[20:21]
	s_cbranch_execz .LBB2_5000
; %bb.4999:                             ;   in Loop: Header=BB2_4981 Depth=1
	flat_load_dword v2, v[10:11] offset:4 glc
	s_waitcnt vmcnt(0) lgkmcnt(0)
	v_ashrrev_i32_e32 v3, 31, v2
.LBB2_5000:                             ;   in Loop: Header=BB2_4981 Depth=1
	s_or_b64 exec, exec, s[52:53]
	s_orn2_b64 s[20:21], vcc, exec
.LBB2_5001:                             ;   in Loop: Header=BB2_4981 Depth=1
	s_or_b64 exec, exec, s[50:51]
	s_and_saveexec_b64 vcc, s[20:21]
; %bb.5002:                             ;   in Loop: Header=BB2_4981 Depth=1
	v_accvgpr_read_b32 v2, a18
	v_mad_i64_i32 v[2:3], s[20:21], v0, v2, 0
; %bb.5003:                             ;   in Loop: Header=BB2_4981 Depth=1
	s_or_b64 exec, exec, vcc
	v_accvgpr_read_b32 v0, a20
	v_accvgpr_read_b32 v1, a21
	v_add_co_u32_e32 v0, vcc, v0, v2
	v_addc_co_u32_e32 v1, vcc, v1, v3, vcc
	ds_write_b64 v0, v[0:1] offset:784
	v_and_b32_e32 v0, 0x2000, v59
	v_cmp_ne_u32_e32 vcc, 0, v0
	s_and_saveexec_b64 s[20:21], vcc
	s_cbranch_execz .LBB2_5005
; %bb.5004:                             ;   in Loop: Header=BB2_4981 Depth=1
	ds_read_b64 v[0:1], v0 offset:584
	s_waitcnt lgkmcnt(0)
	v_add_co_u32_e32 v0, vcc, 1, v0
	v_addc_co_u32_e32 v1, vcc, 0, v1, vcc
	ds_write_b64 v0, v[0:1] offset:584
.LBB2_5005:                             ;   in Loop: Header=BB2_4981 Depth=1
	s_or_b64 exec, exec, s[20:21]
	v_accvgpr_read_b32 v0, a12
	v_accvgpr_read_b32 v2, a14
	;; [unrolled: 1-line block ×3, first 2 shown]
	v_add_co_u32_e32 v2, vcc, 1, v2
	v_addc_co_u32_e32 v3, vcc, 0, v3, vcc
	v_accvgpr_read_b32 v1, a13
	v_accvgpr_write_b32 a15, v3
	v_accvgpr_write_b32 a14, v2
	;; [unrolled: 1-line block ×4, first 2 shown]
.LBB2_5006:                             ;   in Loop: Header=BB2_4981 Depth=1
	s_or_b64 exec, exec, s[22:23]
	s_and_saveexec_b64 s[20:21], s[10:11]
	s_cbranch_execz .LBB2_5025
; %bb.5007:                             ;   in Loop: Header=BB2_4981 Depth=1
	s_and_saveexec_b64 s[22:23], s[34:35]
	s_xor_b64 s[22:23], exec, s[22:23]
	s_cbranch_execz .LBB2_5022
; %bb.5008:                             ;   in Loop: Header=BB2_4981 Depth=1
	s_and_saveexec_b64 s[50:51], s[12:13]
	s_cbranch_execz .LBB2_5021
; %bb.5009:                             ;   in Loop: Header=BB2_4981 Depth=1
	s_mov_b64 s[54:55], exec
	v_mbcnt_lo_u32_b32 v0, s54, 0
	v_mbcnt_hi_u32_b32 v0, s55, v0
	v_cmp_eq_u32_e32 vcc, 0, v0
	s_waitcnt vmcnt(0) lgkmcnt(0)
	buffer_wbinvl1_vol
	s_and_saveexec_b64 s[52:53], vcc
	s_cbranch_execz .LBB2_5011
; %bb.5010:                             ;   in Loop: Header=BB2_4981 Depth=1
	s_bcnt1_i32_b64 vcc_lo, s[54:55]
	v_mov_b32_e32 v16, vcc_lo
	ds_add_u64 v0, v[16:17]
	s_trap 2
.LBB2_5011:                             ;   in Loop: Header=BB2_4981 Depth=1
	s_or_b64 exec, exec, s[52:53]
	s_trap 2
	ds_read_b64 v[0:1], v0
	v_accvgpr_read_b32 v2, a22
	v_accvgpr_read_b32 v3, a23
	v_add_co_u32_e32 v2, vcc, v2, v14
	v_addc_co_u32_e32 v3, vcc, 0, v3, vcc
	v_accvgpr_write_b32 a23, v3
	v_accvgpr_write_b32 a22, v2
	s_waitcnt lgkmcnt(0)
	v_cmp_lt_u64_e32 vcc, v[0:1], v[2:3]
	s_and_saveexec_b64 s[52:53], vcc
	s_cbranch_execz .LBB2_5020
; %bb.5012:                             ;   in Loop: Header=BB2_4981 Depth=1
	s_mov_b32 s64, 0
	s_mov_b64 s[54:55], 0
                                        ; implicit-def: $sgpr56_sgpr57
                                        ; implicit-def: $sgpr58_sgpr59
	s_branch .LBB2_5014
.LBB2_5013:                             ;   in Loop: Header=BB2_5014 Depth=2
	s_or_b64 exec, exec, s[62:63]
	s_and_b64 vcc, exec, vcc
	s_or_b64 s[54:55], vcc, s[54:55]
	s_andn2_b64 vcc, s[56:57], exec
	s_and_b64 s[56:57], s[58:59], exec
	s_or_b64 s[56:57], vcc, s[56:57]
	s_andn2_b64 exec, exec, s[54:55]
	s_cbranch_execz .LBB2_5018
.LBB2_5014:                             ;   Parent Loop BB2_4981 Depth=1
                                        ; =>  This Inner Loop Header: Depth=2
	s_add_i32 s64, s64, 1
	s_cmpk_lg_i32 s64, 0x2710
	s_cselect_b64 s[60:61], -1, 0
	s_and_b64 vcc, exec, s[60:61]
                                        ; implicit-def: $sgpr62_sgpr63
	s_cbranch_vccnz .LBB2_5016
; %bb.5015:                             ;   in Loop: Header=BB2_5014 Depth=2
	s_trap 2
	ds_read_b64 v[0:1], v0
	s_andn2_b64 s[60:61], s[60:61], exec
	s_mov_b32 s64, 0
	s_mov_b64 s[62:63], -1
	s_waitcnt lgkmcnt(0)
	flat_load_dword v0, v[0:1] glc
	s_waitcnt vmcnt(0) lgkmcnt(0)
	buffer_invl2
	buffer_wbinvl1_vol
	v_cmp_eq_u32_e32 vcc, 0, v0
	s_and_b64 vcc, vcc, exec
	s_or_b64 s[60:61], s[60:61], vcc
.LBB2_5016:                             ;   in Loop: Header=BB2_5014 Depth=2
	s_andn2_b64 s[58:59], s[58:59], exec
	s_and_b64 s[62:63], s[62:63], exec
	s_mov_b64 vcc, -1
	s_or_b64 s[58:59], s[58:59], s[62:63]
	s_and_saveexec_b64 s[62:63], s[60:61]
	s_cbranch_execz .LBB2_5013
; %bb.5017:                             ;   in Loop: Header=BB2_5014 Depth=2
	s_sleep 1
	s_trap 2
	ds_read_b64 v[0:1], v0
	v_accvgpr_read_b32 v2, a22
	v_accvgpr_read_b32 v3, a23
	s_andn2_b64 s[58:59], s[58:59], exec
	s_waitcnt lgkmcnt(0)
	v_cmp_ge_u64_e32 vcc, v[0:1], v[2:3]
	s_orn2_b64 vcc, vcc, exec
	s_branch .LBB2_5013
.LBB2_5018:                             ;   in Loop: Header=BB2_4981 Depth=1
	s_or_b64 exec, exec, s[54:55]
	s_and_saveexec_b64 vcc, s[56:57]
	s_xor_b64 vcc, exec, vcc
	s_cbranch_execz .LBB2_5020
; %bb.5019:                             ;   in Loop: Header=BB2_4981 Depth=1
	ds_write_b32 v0, v45
	s_trap 2
.LBB2_5020:                             ;   in Loop: Header=BB2_4981 Depth=1
	s_or_b64 exec, exec, s[52:53]
	;;#ASMSTART
	s_wakeup
	;;#ASMEND
.LBB2_5021:                             ;   in Loop: Header=BB2_4981 Depth=1
	s_or_b64 exec, exec, s[50:51]
.LBB2_5022:                             ;   in Loop: Header=BB2_4981 Depth=1
	s_andn2_saveexec_b64 s[22:23], s[22:23]
	s_cbranch_execz .LBB2_5024
; %bb.5023:                             ;   in Loop: Header=BB2_4981 Depth=1
	s_waitcnt vmcnt(0) lgkmcnt(0)
	buffer_wbinvl1_vol
	s_barrier
.LBB2_5024:                             ;   in Loop: Header=BB2_4981 Depth=1
	s_or_b64 exec, exec, s[22:23]
.LBB2_5025:                             ;   in Loop: Header=BB2_4981 Depth=1
	s_or_b64 exec, exec, s[20:21]
	s_trap 2
	ds_read_b32 v0, v0
	v_and_b32_e32 v1, 0x4000, v59
	v_cmp_ne_u32_e32 vcc, 0, v1
	s_and_b64 s[22:23], s[36:37], vcc
	s_and_saveexec_b64 s[20:21], s[22:23]
	s_cbranch_execz .LBB2_5044
; %bb.5026:                             ;   in Loop: Header=BB2_4981 Depth=1
	s_and_saveexec_b64 s[22:23], s[34:35]
	s_xor_b64 s[22:23], exec, s[22:23]
	s_cbranch_execz .LBB2_5041
; %bb.5027:                             ;   in Loop: Header=BB2_4981 Depth=1
	s_and_saveexec_b64 s[50:51], s[12:13]
	s_cbranch_execz .LBB2_5040
; %bb.5028:                             ;   in Loop: Header=BB2_4981 Depth=1
	s_mov_b64 s[54:55], exec
	v_mbcnt_lo_u32_b32 v1, s54, 0
	v_mbcnt_hi_u32_b32 v1, s55, v1
	v_cmp_eq_u32_e32 vcc, 0, v1
	s_waitcnt vmcnt(0) lgkmcnt(0)
	buffer_wbinvl1_vol
	s_and_saveexec_b64 s[52:53], vcc
	s_cbranch_execz .LBB2_5030
; %bb.5029:                             ;   in Loop: Header=BB2_4981 Depth=1
	s_bcnt1_i32_b64 vcc_lo, s[54:55]
	v_mov_b32_e32 v16, vcc_lo
	ds_add_u64 v0, v[16:17]
	s_trap 2
.LBB2_5030:                             ;   in Loop: Header=BB2_4981 Depth=1
	s_or_b64 exec, exec, s[52:53]
	s_trap 2
	ds_read_b64 v[2:3], v0
	v_accvgpr_read_b32 v4, a22
	v_accvgpr_read_b32 v5, a23
	v_add_co_u32_e32 v4, vcc, v4, v14
	v_addc_co_u32_e32 v5, vcc, 0, v5, vcc
	v_accvgpr_write_b32 a23, v5
	v_accvgpr_write_b32 a22, v4
	s_waitcnt lgkmcnt(0)
	v_cmp_lt_u64_e32 vcc, v[2:3], v[4:5]
	s_and_saveexec_b64 s[52:53], vcc
	s_cbranch_execz .LBB2_5039
; %bb.5031:                             ;   in Loop: Header=BB2_4981 Depth=1
	s_mov_b32 s64, 0
	s_mov_b64 s[54:55], 0
                                        ; implicit-def: $sgpr56_sgpr57
                                        ; implicit-def: $sgpr58_sgpr59
	s_branch .LBB2_5033
.LBB2_5032:                             ;   in Loop: Header=BB2_5033 Depth=2
	s_or_b64 exec, exec, s[62:63]
	s_and_b64 vcc, exec, vcc
	s_or_b64 s[54:55], vcc, s[54:55]
	s_andn2_b64 vcc, s[56:57], exec
	s_and_b64 s[56:57], s[58:59], exec
	s_or_b64 s[56:57], vcc, s[56:57]
	s_andn2_b64 exec, exec, s[54:55]
	s_cbranch_execz .LBB2_5037
.LBB2_5033:                             ;   Parent Loop BB2_4981 Depth=1
                                        ; =>  This Inner Loop Header: Depth=2
	s_add_i32 s64, s64, 1
	s_cmpk_lg_i32 s64, 0x2710
	s_cselect_b64 s[60:61], -1, 0
	s_and_b64 vcc, exec, s[60:61]
                                        ; implicit-def: $sgpr62_sgpr63
	s_cbranch_vccnz .LBB2_5035
; %bb.5034:                             ;   in Loop: Header=BB2_5033 Depth=2
	s_trap 2
	ds_read_b64 v[2:3], v0
	s_andn2_b64 s[60:61], s[60:61], exec
	s_mov_b32 s64, 0
	s_mov_b64 s[62:63], -1
	s_waitcnt lgkmcnt(0)
	flat_load_dword v1, v[2:3] glc
	s_waitcnt vmcnt(0) lgkmcnt(0)
	buffer_invl2
	buffer_wbinvl1_vol
	v_cmp_eq_u32_e32 vcc, 0, v1
	s_and_b64 vcc, vcc, exec
	s_or_b64 s[60:61], s[60:61], vcc
.LBB2_5035:                             ;   in Loop: Header=BB2_5033 Depth=2
	s_andn2_b64 s[58:59], s[58:59], exec
	s_and_b64 s[62:63], s[62:63], exec
	s_mov_b64 vcc, -1
	s_or_b64 s[58:59], s[58:59], s[62:63]
	s_and_saveexec_b64 s[62:63], s[60:61]
	s_cbranch_execz .LBB2_5032
; %bb.5036:                             ;   in Loop: Header=BB2_5033 Depth=2
	s_sleep 1
	s_trap 2
	ds_read_b64 v[2:3], v0
	v_accvgpr_read_b32 v4, a22
	v_accvgpr_read_b32 v5, a23
	s_andn2_b64 s[58:59], s[58:59], exec
	s_waitcnt lgkmcnt(0)
	v_cmp_ge_u64_e32 vcc, v[2:3], v[4:5]
	s_orn2_b64 vcc, vcc, exec
	s_branch .LBB2_5032
.LBB2_5037:                             ;   in Loop: Header=BB2_4981 Depth=1
	s_or_b64 exec, exec, s[54:55]
	s_and_saveexec_b64 vcc, s[56:57]
	s_xor_b64 vcc, exec, vcc
	s_cbranch_execz .LBB2_5039
; %bb.5038:                             ;   in Loop: Header=BB2_4981 Depth=1
	ds_write_b32 v0, v45
	s_trap 2
.LBB2_5039:                             ;   in Loop: Header=BB2_4981 Depth=1
	s_or_b64 exec, exec, s[52:53]
	;;#ASMSTART
	s_wakeup
	;;#ASMEND
.LBB2_5040:                             ;   in Loop: Header=BB2_4981 Depth=1
	s_or_b64 exec, exec, s[50:51]
.LBB2_5041:                             ;   in Loop: Header=BB2_4981 Depth=1
	s_andn2_saveexec_b64 s[22:23], s[22:23]
	s_cbranch_execz .LBB2_5043
; %bb.5042:                             ;   in Loop: Header=BB2_4981 Depth=1
	s_waitcnt vmcnt(0) lgkmcnt(0)
	buffer_wbinvl1_vol
	s_barrier
.LBB2_5043:                             ;   in Loop: Header=BB2_4981 Depth=1
	s_or_b64 exec, exec, s[22:23]
.LBB2_5044:                             ;   in Loop: Header=BB2_4981 Depth=1
	s_or_b64 exec, exec, s[20:21]
	s_trap 2
	s_waitcnt lgkmcnt(0)
	ds_read_b64 v[2:3], v0
	s_waitcnt lgkmcnt(0)
	v_readfirstlane_b32 s20, v2
	v_readfirstlane_b32 s21, v3
	s_cmp_eq_u64 s[20:21], 0
	s_cselect_b64 s[20:21], -1, 0
	s_or_b64 s[22:23], s[20:21], s[20:21]
	s_mov_b64 s[20:21], 0
	s_and_b64 vcc, exec, s[22:23]
	s_cbranch_vccnz .LBB2_5871
; %bb.5045:                             ;   in Loop: Header=BB2_4981 Depth=1
	s_mov_b64 s[20:21], -1
	s_and_saveexec_b64 s[22:23], s[14:15]
	s_cbranch_execz .LBB2_5047
; %bb.5046:                             ;   in Loop: Header=BB2_4981 Depth=1
	ds_read_b32 v1, v0 offset:720
	s_waitcnt lgkmcnt(0)
	v_and_b32_e32 v1, 15, v1
	v_cmp_eq_u32_e32 vcc, 0, v1
	s_orn2_b64 s[20:21], vcc, exec
.LBB2_5047:                             ;   in Loop: Header=BB2_4981 Depth=1
	s_or_b64 exec, exec, s[22:23]
	s_and_saveexec_b64 s[22:23], s[16:17]
	s_cbranch_execz .LBB2_5049
; %bb.5048:                             ;   in Loop: Header=BB2_4981 Depth=1
	ds_read_b32 v1, v0 offset:784
	s_waitcnt lgkmcnt(0)
	v_and_b32_e32 v1, 15, v1
	v_cmp_eq_u32_e32 vcc, 0, v1
	s_and_b64 vcc, s[20:21], vcc
	s_andn2_b64 s[20:21], s[20:21], exec
	s_and_b64 vcc, vcc, exec
	s_or_b64 s[20:21], s[20:21], vcc
.LBB2_5049:                             ;   in Loop: Header=BB2_4981 Depth=1
	s_or_b64 exec, exec, s[22:23]
	s_xor_b64 s[20:21], s[20:21], -1
	v_cmp_eq_u32_e32 vcc, 0, v0
	v_cndmask_b32_e64 v0, 0, 1, s[20:21]
	v_cndmask_b32_e32 v51, 0, v52, vcc
	;;#ASMSTART
	;;#ASMEND
	v_mov_b32_e32 v1, 0
	s_mov_b64 s[50:51], -1
	v_cmp_ne_u32_e32 vcc, 0, v0
	v_mov_b32_e32 v0, v51
	v_accvgpr_read_b32 v6, a3
	s_cbranch_vccz .LBB2_5051
; %bb.5050:                             ;   in Loop: Header=BB2_4981 Depth=1
	s_and_saveexec_b64 s[22:23], s[50:51]
	s_cbranch_execnz .LBB2_5654
	s_branch .LBB2_5870
.LBB2_5051:                             ;   in Loop: Header=BB2_4981 Depth=1
	v_accvgpr_read_b32 v0, a28
	v_accvgpr_read_b32 v1, a29
	v_and_b32_e32 v4, 0x3ff, v51
	v_lshrrev_b32_e32 v1, 10, v51
	v_cmp_lt_u32_e64 s[20:21], 15, v4
	v_sub_u32_e32 v0, v51, v0
	v_addc_co_u32_e64 v5, vcc, v1, v20, s[20:21]
	v_cmp_lt_i32_e32 vcc, 15, v0
	s_and_saveexec_b64 s[50:51], vcc
	s_cbranch_execz .LBB2_5351
; %bb.5052:                             ;   in Loop: Header=BB2_4981 Depth=1
	s_trap 2
	ds_read_b64 v[2:3], v0
	v_accvgpr_read_b32 v55, a29
	v_accvgpr_read_b32 v54, a28
	s_waitcnt lgkmcnt(0)
	v_readfirstlane_b32 s22, v2
	s_and_b32 s23, s22, 7
	s_flbit_i32_b32 s23, s23
	s_min_u32 s23, s23, 32
	s_and_b32 vcc_lo, s22, 0x7f
	s_bfe_u32 vcc_hi, s22, 0x40003
	s_sub_i32 s52, s23, 28
	s_sub_i32 s23, 29, s23
	s_cmp_lt_u32 vcc_lo, 8
	s_cselect_b32 s23, s23, vcc_hi
	s_cselect_b32 vcc_hi, s52, 0
	s_lshl_b32 s22, s22, 24
	s_lshl_b32 s23, s23, 23
	v_lshlrev_b64 v[6:7], vcc_hi, v[2:3]
	s_and_b32 s22, s22, 0x80000000
	s_add_i32 s23, s23, 0x3c000000
	v_lshlrev_b32_e32 v1, 20, v6
	s_or_b32 s22, s22, s23
	v_and_b32_e32 v1, 0x700000, v1
	s_cmpk_lg_i32 vcc_lo, 0x7f
	v_or_b32_e32 v1, s22, v1
	s_cselect_b64 vcc, -1, 0
	v_mov_b32_e32 v6, 0x7f800001
	v_cndmask_b32_e32 v1, v6, v1, vcc
	s_mov_b64 s[52:53], 0
	s_branch .LBB2_5054
.LBB2_5053:                             ;   in Loop: Header=BB2_5054 Depth=2
	s_or_b64 exec, exec, s[22:23]
	v_lshlrev_b32_e32 v7, 16, v26
	v_perm_b32 v11, v24, v25, s71
	v_lshlrev_b32_e32 v12, 24, v27
	v_and_b32_e32 v9, 0xff, v9
	v_lshlrev_b32_e32 v8, 8, v8
	v_or3_b32 v7, v7, v11, v12
	v_lshlrev_b32_e32 v11, 24, v19
	v_lshlrev_b32_e32 v9, 16, v9
	v_perm_b32 v6, v8, v6, s72
	v_or3_b32 v6, v11, v9, v6
	v_and_b32_e32 v8, 0xff, v34
	v_lshlrev_b32_e32 v11, 8, v33
	v_sub_u32_e32 v0, v0, v21
	v_lshlrev_b32_e32 v9, 24, v35
	v_lshlrev_b32_e32 v8, 16, v8
	v_perm_b32 v11, v11, v32, s72
	v_cmp_gt_i32_e32 vcc, 16, v0
	v_or3_b32 v8, v9, v8, v11
	v_perm_b32 v9, v42, v53, s71
	v_lshlrev_b32_e32 v10, 24, v10
	v_lshlrev_b32_e32 v11, 16, v43
	s_or_b64 s[52:53], vcc, s[52:53]
	v_add_co_u32_e32 v54, vcc, v54, v31
	v_or3_b32 v9, v11, v9, v10
	v_sub_u32_e32 v5, v5, v14
	v_addc_co_u32_e32 v55, vcc, v55, v36, vcc
	global_store_dwordx4 v[40:41], v[6:9], off glc slc
	s_andn2_b64 exec, exec, s[52:53]
	s_cbranch_execz .LBB2_5350
.LBB2_5054:                             ;   Parent Loop BB2_4981 Depth=1
                                        ; =>  This Inner Loop Header: Depth=2
	v_cmp_lt_i16_sdwa s[22:23], v2, s69 src0_sel:BYTE_0 src1_sel:DWORD
	s_and_b64 vcc, exec, s[22:23]
	s_cbranch_vccnz .LBB2_5058
; %bb.5055:                             ;   in Loop: Header=BB2_5054 Depth=2
	v_cmp_eq_u16_sdwa vcc, v2, s69 src0_sel:BYTE_0 src1_sel:DWORD
	s_mov_b64 s[22:23], -1
	s_and_b64 vcc, exec, vcc
                                        ; implicit-def: $sgpr54
	s_cbranch_vccz .LBB2_5057
; %bb.5056:                             ;   in Loop: Header=BB2_5054 Depth=2
	s_mov_b64 s[22:23], 0
	s_brev_b32 s54, 1
.LBB2_5057:                             ;   in Loop: Header=BB2_5054 Depth=2
	s_branch .LBB2_5060
.LBB2_5058:                             ;   in Loop: Header=BB2_5054 Depth=2
	s_mov_b64 s[22:23], 0
                                        ; implicit-def: $sgpr54
	s_cbranch_execz .LBB2_5060
; %bb.5059:                             ;   in Loop: Header=BB2_5054 Depth=2
	v_cmp_ne_u16_sdwa s[22:23], v2, v17 src0_sel:BYTE_0 src1_sel:DWORD
	s_mov_b32 s54, 0
.LBB2_5060:                             ;   in Loop: Header=BB2_5054 Depth=2
	s_andn2_b64 vcc, exec, s[22:23]
	v_mov_b32_e32 v7, s54
	s_cbranch_vccnz .LBB2_5062
; %bb.5061:                             ;   in Loop: Header=BB2_5054 Depth=2
	v_mov_b32_e32 v7, v1
.LBB2_5062:                             ;   in Loop: Header=BB2_5054 Depth=2
	v_add_co_u32_e32 v40, vcc, v2, v54
	v_addc_co_u32_e32 v41, vcc, v3, v55, vcc
	global_load_dwordx4 v[10:13], v[40:41], off glc slc
	v_mov_b32_e32 v6, 0
	s_waitcnt vmcnt(0)
	v_cmp_ne_u16_sdwa vcc, v10, v17 src0_sel:BYTE_0 src1_sel:DWORD
	s_and_saveexec_b64 s[22:23], vcc
	s_cbranch_execz .LBB2_5068
; %bb.5063:                             ;   in Loop: Header=BB2_5054 Depth=2
	v_cmp_ne_u16_sdwa vcc, v10, s69 src0_sel:BYTE_0 src1_sel:DWORD
	v_bfrev_b32_e32 v6, 1
	s_and_saveexec_b64 s[54:55], vcc
	s_cbranch_execz .LBB2_5067
; %bb.5064:                             ;   in Loop: Header=BB2_5054 Depth=2
	v_and_b32_e32 v8, 0x7f, v10
	v_cmp_ne_u32_e32 vcc, s68, v8
	v_mov_b32_e32 v6, 0x7f800001
	s_and_saveexec_b64 s[56:57], vcc
	s_cbranch_execz .LBB2_5066
; %bb.5065:                             ;   in Loop: Header=BB2_5054 Depth=2
	v_and_b32_e32 v6, 7, v10
	v_ffbh_u32_e32 v6, v6
	v_min_u32_e32 v6, 32, v6
	v_subrev_u32_e32 v16, 28, v6
	v_cmp_gt_u32_e32 vcc, 8, v8
	v_lshrrev_b32_e32 v9, 3, v8
	v_sub_u32_e32 v6, 29, v6
	v_cndmask_b32_e32 v8, 0, v16, vcc
	v_cndmask_b32_e32 v6, v9, v6, vcc
	v_lshlrev_b64 v[8:9], v8, v[10:11]
	v_lshlrev_b32_e32 v8, 20, v8
	v_lshlrev_b32_e32 v9, 24, v10
	v_and_b32_e32 v8, 0x700000, v8
	v_and_b32_e32 v9, 0x80000000, v9
	v_lshl_add_u32 v6, v6, 23, v47
	v_or3_b32 v6, v9, v6, v8
.LBB2_5066:                             ;   in Loop: Header=BB2_5054 Depth=2
	s_or_b64 exec, exec, s[56:57]
.LBB2_5067:                             ;   in Loop: Header=BB2_5054 Depth=2
	s_or_b64 exec, exec, s[54:55]
.LBB2_5068:                             ;   in Loop: Header=BB2_5054 Depth=2
	s_or_b64 exec, exec, s[22:23]
	v_mul_f32_e32 v9, v7, v6
	v_and_b32_sdwa v8, v9, s69 dst_sel:DWORD dst_unused:UNUSED_PAD src0_sel:BYTE_3 src1_sel:DWORD
	v_and_b32_e32 v22, 0x7f800000, v9
	v_mov_b32_e32 v23, v17
	v_and_b32_e32 v16, 0x7fffff, v9
	v_or_b32_e32 v6, 0x7e, v8
	v_cmp_ne_u64_e32 vcc, s[38:39], v[22:23]
	s_and_saveexec_b64 s[22:23], vcc
	s_xor_b64 s[54:55], exec, s[22:23]
	s_cbranch_execz .LBB2_5078
; %bb.5069:                             ;   in Loop: Header=BB2_5054 Depth=2
	v_and_b32_e32 v22, 0x7fffffff, v9
	v_mov_b32_e32 v23, v17
	v_cmp_gt_u64_e32 vcc, s[40:41], v[22:23]
	s_and_saveexec_b64 s[56:57], vcc
	s_cbranch_execz .LBB2_5077
; %bb.5070:                             ;   in Loop: Header=BB2_5054 Depth=2
	v_cmp_ne_u32_e32 vcc, 0, v9
	v_mov_b32_e32 v6, 0
	s_and_saveexec_b64 s[58:59], vcc
	s_cbranch_execz .LBB2_5076
; %bb.5071:                             ;   in Loop: Header=BB2_5054 Depth=2
	v_bfe_u32 v6, v9, 23, 8
	v_sub_u32_e32 v19, 0x79, v6
	v_cmp_gt_u32_e32 vcc, s70, v6
	v_add_u32_e32 v9, 0xffffff81, v6
	v_cndmask_b32_e32 v19, 0, v19, vcc
	v_cmp_eq_u32_e32 vcc, 0, v6
	v_cndmask_b32_e32 v6, v9, v56, vcc
	v_cndmask_b32_e32 v9, v19, v57, vcc
	v_or_b32_e32 v22, 0x800000, v16
	v_add_u32_e32 v19, 20, v9
	v_cndmask_b32_e32 v16, v22, v16, vcc
	v_lshlrev_b64 v[22:23], v19, -1
	v_not_b32_e32 v19, v23
	v_not_b32_e32 v22, v22
	v_lshrrev_b64 v[26:27], v9, v[16:17]
	v_and_b32_e32 v23, 0, v19
	v_and_b32_e32 v22, v16, v22
	v_add_u32_e32 v19, 19, v9
	v_lshrrev_b32_e32 v16, 23, v26
	v_lshlrev_b64 v[24:25], v19, 1
	v_add3_u32 v16, v9, v6, v16
	v_bfe_u32 v6, v26, 20, 1
	v_add_u32_e32 v6, -1, v6
	v_cmp_eq_u64_e32 vcc, v[22:23], v[24:25]
	v_cndmask_b32_e32 v6, 0, v6, vcc
	v_add_u32_e32 v6, v6, v26
	v_and_b32_e32 v6, 0xfffff, v6
	v_add_co_u32_e32 v42, vcc, v6, v26
	v_add_u32_e32 v9, 6, v16
	v_addc_co_u32_e32 v43, vcc, 0, v27, vcc
	v_cmp_ne_u32_e32 vcc, 0, v9
                                        ; implicit-def: $vgpr6
	s_and_saveexec_b64 s[22:23], vcc
	s_xor_b64 s[22:23], exec, s[22:23]
; %bb.5072:                             ;   in Loop: Header=BB2_5054 Depth=2
	v_add_u32_e32 v6, 7, v16
	v_cmp_lt_u64_e32 vcc, s[44:45], v[42:43]
	v_cndmask_b32_e32 v6, v9, v6, vcc
	v_cndmask_b32_e64 v9, 0, 1, vcc
	v_lshrrev_b64 v[42:43], v9, v[42:43]
; %bb.5073:                             ;   in Loop: Header=BB2_5054 Depth=2
	s_andn2_saveexec_b64 s[22:23], s[22:23]
; %bb.5074:                             ;   in Loop: Header=BB2_5054 Depth=2
	v_bfe_u32 v6, v42, 23, 1
; %bb.5075:                             ;   in Loop: Header=BB2_5054 Depth=2
	s_or_b64 exec, exec, s[22:23]
	v_lshrrev_b64 v[22:23], 20, v[42:43]
	v_cmp_gt_i32_e32 vcc, 16, v6
	v_cndmask_b32_e32 v23, 0, v23, vcc
	v_cndmask_b32_e32 v22, 7, v22, vcc
	v_cmp_eq_u32_e32 vcc, 0, v6
	v_min_i32_e32 v6, 15, v6
	v_cmp_eq_u64_e64 s[22:23], 0, v[22:23]
	v_lshlrev_b32_e32 v6, 3, v6
	v_and_or_b32 v6, v22, 7, v6
	s_and_b64 s[22:23], vcc, s[22:23]
	v_cndmask_b32_e64 v6, v6, 0, s[22:23]
	v_or_b32_e32 v6, v6, v8
.LBB2_5076:                             ;   in Loop: Header=BB2_5054 Depth=2
	s_or_b64 exec, exec, s[58:59]
.LBB2_5077:                             ;   in Loop: Header=BB2_5054 Depth=2
	s_or_b64 exec, exec, s[56:57]
                                        ; implicit-def: $vgpr9
.LBB2_5078:                             ;   in Loop: Header=BB2_5054 Depth=2
	s_andn2_saveexec_b64 s[22:23], s[54:55]
; %bb.5079:                             ;   in Loop: Header=BB2_5054 Depth=2
	v_or_b32_sdwa v8, v9, s68 dst_sel:DWORD dst_unused:UNUSED_PAD src0_sel:BYTE_3 src1_sel:DWORD
	v_cmp_eq_u64_e32 vcc, 0, v[16:17]
	v_cndmask_b32_e32 v6, v8, v6, vcc
; %bb.5080:                             ;   in Loop: Header=BB2_5054 Depth=2
	s_or_b64 exec, exec, s[22:23]
	v_lshrrev_b16_e32 v16, 8, v10
	v_cmp_ne_u16_e32 vcc, 0, v16
	v_mov_b32_e32 v8, 0
	s_and_saveexec_b64 s[22:23], vcc
	s_cbranch_execz .LBB2_5086
; %bb.5081:                             ;   in Loop: Header=BB2_5054 Depth=2
	v_cmp_ne_u16_e32 vcc, s69, v16
	v_bfrev_b32_e32 v8, 1
	s_and_saveexec_b64 s[54:55], vcc
	s_cbranch_execz .LBB2_5085
; %bb.5082:                             ;   in Loop: Header=BB2_5054 Depth=2
	v_and_b32_e32 v9, 0x7f, v16
	v_cmp_ne_u32_e32 vcc, s68, v9
	v_mov_b32_e32 v8, 0x7f800001
	s_and_saveexec_b64 s[56:57], vcc
	s_cbranch_execz .LBB2_5084
; %bb.5083:                             ;   in Loop: Header=BB2_5054 Depth=2
	v_and_b32_e32 v8, 7, v16
	v_ffbh_u32_e32 v22, v8
	v_min_u32_e32 v24, 32, v22
	v_subrev_u32_e32 v22, 28, v24
	v_lshlrev_b64 v[22:23], v22, v[16:17]
	v_lshrrev_b32_e32 v19, 3, v9
	v_sub_u32_e32 v16, 29, v24
	v_and_b32_e32 v22, 7, v22
	v_cmp_gt_u32_e32 vcc, 8, v9
	v_cndmask_b32_e32 v9, v19, v16, vcc
	v_cndmask_b32_e32 v8, v8, v22, vcc
	v_lshlrev_b32_e32 v16, 16, v10
	v_lshlrev_b32_e32 v8, 20, v8
	v_and_b32_e32 v16, 0x80000000, v16
	v_lshl_add_u32 v9, v9, 23, v47
	v_or3_b32 v8, v16, v9, v8
.LBB2_5084:                             ;   in Loop: Header=BB2_5054 Depth=2
	s_or_b64 exec, exec, s[56:57]
.LBB2_5085:                             ;   in Loop: Header=BB2_5054 Depth=2
	s_or_b64 exec, exec, s[54:55]
.LBB2_5086:                             ;   in Loop: Header=BB2_5054 Depth=2
	s_or_b64 exec, exec, s[22:23]
	v_mul_f32_e32 v19, v7, v8
	v_and_b32_sdwa v9, v19, s69 dst_sel:DWORD dst_unused:UNUSED_PAD src0_sel:BYTE_3 src1_sel:DWORD
	v_and_b32_e32 v22, 0x7f800000, v19
	v_mov_b32_e32 v23, v17
	v_and_b32_e32 v16, 0x7fffff, v19
	v_or_b32_e32 v8, 0x7e, v9
	v_cmp_ne_u64_e32 vcc, s[38:39], v[22:23]
	s_and_saveexec_b64 s[22:23], vcc
	s_xor_b64 s[54:55], exec, s[22:23]
	s_cbranch_execz .LBB2_5096
; %bb.5087:                             ;   in Loop: Header=BB2_5054 Depth=2
	v_and_b32_e32 v22, 0x7fffffff, v19
	v_mov_b32_e32 v23, v17
	v_cmp_gt_u64_e32 vcc, s[40:41], v[22:23]
	s_and_saveexec_b64 s[56:57], vcc
	s_cbranch_execz .LBB2_5095
; %bb.5088:                             ;   in Loop: Header=BB2_5054 Depth=2
	v_cmp_ne_u32_e32 vcc, 0, v19
	v_mov_b32_e32 v8, 0
	s_and_saveexec_b64 s[58:59], vcc
	s_cbranch_execz .LBB2_5094
; %bb.5089:                             ;   in Loop: Header=BB2_5054 Depth=2
	v_bfe_u32 v8, v19, 23, 8
	v_sub_u32_e32 v22, 0x79, v8
	v_cmp_gt_u32_e32 vcc, s70, v8
	v_add_u32_e32 v19, 0xffffff81, v8
	v_cndmask_b32_e32 v22, 0, v22, vcc
	v_cmp_eq_u32_e32 vcc, 0, v8
	v_cndmask_b32_e32 v8, v19, v56, vcc
	v_cndmask_b32_e32 v19, v22, v57, vcc
	v_or_b32_e32 v23, 0x800000, v16
	v_add_u32_e32 v22, 20, v19
	v_cndmask_b32_e32 v16, v23, v16, vcc
	v_lshlrev_b64 v[22:23], v22, -1
	v_not_b32_e32 v22, v22
	v_lshrrev_b64 v[26:27], v19, v[16:17]
	v_not_b32_e32 v23, v23
	v_and_b32_e32 v22, v16, v22
	v_add_u32_e32 v24, 19, v19
	v_lshrrev_b32_e32 v16, 23, v26
	v_and_b32_e32 v23, 0, v23
	v_lshlrev_b64 v[24:25], v24, 1
	v_add3_u32 v19, v19, v8, v16
	v_bfe_u32 v8, v26, 20, 1
	v_add_u32_e32 v8, -1, v8
	v_cmp_eq_u64_e32 vcc, v[22:23], v[24:25]
	v_cndmask_b32_e32 v8, 0, v8, vcc
	v_add_u32_e32 v8, v8, v26
	v_and_b32_e32 v8, 0xfffff, v8
	v_add_co_u32_e32 v42, vcc, v8, v26
	v_add_u32_e32 v16, 6, v19
	v_addc_co_u32_e32 v43, vcc, 0, v27, vcc
	v_cmp_ne_u32_e32 vcc, 0, v16
                                        ; implicit-def: $vgpr8
	s_and_saveexec_b64 s[22:23], vcc
	s_xor_b64 s[22:23], exec, s[22:23]
; %bb.5090:                             ;   in Loop: Header=BB2_5054 Depth=2
	v_add_u32_e32 v8, 7, v19
	v_cmp_lt_u64_e32 vcc, s[44:45], v[42:43]
	v_cndmask_b32_e32 v8, v16, v8, vcc
	v_cndmask_b32_e64 v16, 0, 1, vcc
	v_lshrrev_b64 v[42:43], v16, v[42:43]
; %bb.5091:                             ;   in Loop: Header=BB2_5054 Depth=2
	s_andn2_saveexec_b64 s[22:23], s[22:23]
; %bb.5092:                             ;   in Loop: Header=BB2_5054 Depth=2
	v_bfe_u32 v8, v42, 23, 1
; %bb.5093:                             ;   in Loop: Header=BB2_5054 Depth=2
	s_or_b64 exec, exec, s[22:23]
	v_lshrrev_b64 v[22:23], 20, v[42:43]
	v_cmp_gt_i32_e32 vcc, 16, v8
	v_cndmask_b32_e32 v23, 0, v23, vcc
	v_cndmask_b32_e32 v22, 7, v22, vcc
	v_cmp_eq_u32_e32 vcc, 0, v8
	v_min_i32_e32 v8, 15, v8
	v_cmp_eq_u64_e64 s[22:23], 0, v[22:23]
	v_lshlrev_b32_e32 v8, 3, v8
	v_and_or_b32 v8, v22, 7, v8
	s_and_b64 s[22:23], vcc, s[22:23]
	v_cndmask_b32_e64 v8, v8, 0, s[22:23]
	v_or_b32_e32 v8, v8, v9
.LBB2_5094:                             ;   in Loop: Header=BB2_5054 Depth=2
	s_or_b64 exec, exec, s[58:59]
.LBB2_5095:                             ;   in Loop: Header=BB2_5054 Depth=2
	s_or_b64 exec, exec, s[56:57]
                                        ; implicit-def: $vgpr19
.LBB2_5096:                             ;   in Loop: Header=BB2_5054 Depth=2
	s_andn2_saveexec_b64 s[22:23], s[54:55]
; %bb.5097:                             ;   in Loop: Header=BB2_5054 Depth=2
	v_or_b32_sdwa v9, v19, s68 dst_sel:DWORD dst_unused:UNUSED_PAD src0_sel:BYTE_3 src1_sel:DWORD
	v_cmp_eq_u64_e32 vcc, 0, v[16:17]
	v_cndmask_b32_e32 v8, v9, v8, vcc
; %bb.5098:                             ;   in Loop: Header=BB2_5054 Depth=2
	s_or_b64 exec, exec, s[22:23]
	v_lshrrev_b32_e32 v16, 16, v10
	v_cmp_ne_u16_sdwa vcc, v16, v17 src0_sel:BYTE_0 src1_sel:DWORD
	v_mov_b32_e32 v9, 0
	s_and_saveexec_b64 s[22:23], vcc
	s_cbranch_execz .LBB2_5104
; %bb.5099:                             ;   in Loop: Header=BB2_5054 Depth=2
	v_cmp_ne_u16_sdwa vcc, v16, s69 src0_sel:BYTE_0 src1_sel:DWORD
	v_bfrev_b32_e32 v9, 1
	s_and_saveexec_b64 s[54:55], vcc
	s_cbranch_execz .LBB2_5103
; %bb.5100:                             ;   in Loop: Header=BB2_5054 Depth=2
	v_bfe_u32 v19, v10, 16, 7
	v_cmp_ne_u32_e32 vcc, s68, v19
	v_mov_b32_e32 v9, 0x7f800001
	s_and_saveexec_b64 s[56:57], vcc
	s_cbranch_execz .LBB2_5102
; %bb.5101:                             ;   in Loop: Header=BB2_5054 Depth=2
	v_and_b32_e32 v9, 7, v16
	v_ffbh_u32_e32 v22, v9
	v_min_u32_e32 v25, 32, v22
	v_subrev_u32_e32 v22, 28, v25
	v_lshlrev_b64 v[22:23], v22, v[16:17]
	v_lshrrev_b32_e32 v24, 3, v19
	v_sub_u32_e32 v23, 29, v25
	v_and_b32_e32 v22, 7, v22
	v_cmp_gt_u32_e32 vcc, 8, v19
	v_cndmask_b32_e32 v19, v24, v23, vcc
	v_cndmask_b32_e32 v9, v9, v22, vcc
	v_lshlrev_b32_e32 v16, 24, v16
	v_lshlrev_b32_e32 v9, 20, v9
	v_and_b32_e32 v16, 0x80000000, v16
	v_lshl_add_u32 v19, v19, 23, v47
	v_or3_b32 v9, v16, v19, v9
.LBB2_5102:                             ;   in Loop: Header=BB2_5054 Depth=2
	s_or_b64 exec, exec, s[56:57]
.LBB2_5103:                             ;   in Loop: Header=BB2_5054 Depth=2
	s_or_b64 exec, exec, s[54:55]
.LBB2_5104:                             ;   in Loop: Header=BB2_5054 Depth=2
	s_or_b64 exec, exec, s[22:23]
	v_mul_f32_e32 v24, v7, v9
	v_and_b32_sdwa v19, v24, s69 dst_sel:DWORD dst_unused:UNUSED_PAD src0_sel:BYTE_3 src1_sel:DWORD
	v_and_b32_e32 v22, 0x7f800000, v24
	v_mov_b32_e32 v23, v17
	v_and_b32_e32 v16, 0x7fffff, v24
	v_or_b32_e32 v9, 0x7e, v19
	v_cmp_ne_u64_e32 vcc, s[38:39], v[22:23]
	s_and_saveexec_b64 s[22:23], vcc
	s_xor_b64 s[54:55], exec, s[22:23]
	s_cbranch_execz .LBB2_5114
; %bb.5105:                             ;   in Loop: Header=BB2_5054 Depth=2
	v_and_b32_e32 v22, 0x7fffffff, v24
	v_mov_b32_e32 v23, v17
	v_cmp_gt_u64_e32 vcc, s[40:41], v[22:23]
	s_and_saveexec_b64 s[56:57], vcc
	s_cbranch_execz .LBB2_5113
; %bb.5106:                             ;   in Loop: Header=BB2_5054 Depth=2
	v_cmp_ne_u32_e32 vcc, 0, v24
	v_mov_b32_e32 v9, 0
	s_and_saveexec_b64 s[58:59], vcc
	s_cbranch_execz .LBB2_5112
; %bb.5107:                             ;   in Loop: Header=BB2_5054 Depth=2
	v_bfe_u32 v9, v24, 23, 8
	v_sub_u32_e32 v23, 0x79, v9
	v_cmp_gt_u32_e32 vcc, s70, v9
	v_cndmask_b32_e32 v23, 0, v23, vcc
	v_cmp_eq_u32_e32 vcc, 0, v9
	v_add_u32_e32 v22, 0xffffff81, v9
	v_cndmask_b32_e32 v25, v23, v57, vcc
	v_or_b32_e32 v24, 0x800000, v16
	v_cndmask_b32_e32 v9, v22, v56, vcc
	v_add_u32_e32 v22, 20, v25
	v_cndmask_b32_e32 v16, v24, v16, vcc
	v_lshlrev_b64 v[22:23], v22, -1
	v_not_b32_e32 v22, v22
	v_lshrrev_b64 v[32:33], v25, v[16:17]
	v_not_b32_e32 v23, v23
	v_and_b32_e32 v22, v16, v22
	v_add_u32_e32 v24, 19, v25
	v_lshrrev_b32_e32 v16, 23, v32
	v_and_b32_e32 v23, 0, v23
	v_lshlrev_b64 v[26:27], v24, 1
	v_add3_u32 v24, v25, v9, v16
	v_bfe_u32 v9, v32, 20, 1
	v_add_u32_e32 v9, -1, v9
	v_cmp_eq_u64_e32 vcc, v[22:23], v[26:27]
	v_cndmask_b32_e32 v9, 0, v9, vcc
	v_add_u32_e32 v9, v9, v32
	v_and_b32_e32 v9, 0xfffff, v9
	v_add_co_u32_e32 v42, vcc, v9, v32
	v_add_u32_e32 v16, 6, v24
	v_addc_co_u32_e32 v43, vcc, 0, v33, vcc
	v_cmp_ne_u32_e32 vcc, 0, v16
                                        ; implicit-def: $vgpr9
	s_and_saveexec_b64 s[22:23], vcc
	s_xor_b64 s[22:23], exec, s[22:23]
; %bb.5108:                             ;   in Loop: Header=BB2_5054 Depth=2
	v_add_u32_e32 v9, 7, v24
	v_cmp_lt_u64_e32 vcc, s[44:45], v[42:43]
	v_cndmask_b32_e32 v9, v16, v9, vcc
	v_cndmask_b32_e64 v16, 0, 1, vcc
	v_lshrrev_b64 v[42:43], v16, v[42:43]
; %bb.5109:                             ;   in Loop: Header=BB2_5054 Depth=2
	s_andn2_saveexec_b64 s[22:23], s[22:23]
; %bb.5110:                             ;   in Loop: Header=BB2_5054 Depth=2
	v_bfe_u32 v9, v42, 23, 1
; %bb.5111:                             ;   in Loop: Header=BB2_5054 Depth=2
	s_or_b64 exec, exec, s[22:23]
	v_lshrrev_b64 v[22:23], 20, v[42:43]
	v_cmp_gt_i32_e32 vcc, 16, v9
	v_cndmask_b32_e32 v23, 0, v23, vcc
	v_cndmask_b32_e32 v22, 7, v22, vcc
	v_cmp_eq_u32_e32 vcc, 0, v9
	v_min_i32_e32 v9, 15, v9
	v_cmp_eq_u64_e64 s[22:23], 0, v[22:23]
	v_lshlrev_b32_e32 v9, 3, v9
	v_and_or_b32 v9, v22, 7, v9
	s_and_b64 s[22:23], vcc, s[22:23]
	v_cndmask_b32_e64 v9, v9, 0, s[22:23]
	v_or_b32_e32 v9, v9, v19
.LBB2_5112:                             ;   in Loop: Header=BB2_5054 Depth=2
	s_or_b64 exec, exec, s[58:59]
.LBB2_5113:                             ;   in Loop: Header=BB2_5054 Depth=2
	s_or_b64 exec, exec, s[56:57]
                                        ; implicit-def: $vgpr24
.LBB2_5114:                             ;   in Loop: Header=BB2_5054 Depth=2
	s_andn2_saveexec_b64 s[22:23], s[54:55]
; %bb.5115:                             ;   in Loop: Header=BB2_5054 Depth=2
	v_or_b32_sdwa v19, v24, s68 dst_sel:DWORD dst_unused:UNUSED_PAD src0_sel:BYTE_3 src1_sel:DWORD
	v_cmp_eq_u64_e32 vcc, 0, v[16:17]
	v_cndmask_b32_e32 v9, v19, v9, vcc
; %bb.5116:                             ;   in Loop: Header=BB2_5054 Depth=2
	s_or_b64 exec, exec, s[22:23]
	v_cmp_lt_u32_e32 vcc, s43, v10
	v_mov_b32_e32 v19, 0
	s_and_saveexec_b64 s[22:23], vcc
	s_cbranch_execz .LBB2_5122
; %bb.5117:                             ;   in Loop: Header=BB2_5054 Depth=2
	v_lshrrev_b32_e32 v16, 24, v10
	v_cmp_ne_u32_e32 vcc, s69, v16
	v_bfrev_b32_e32 v19, 1
	s_and_saveexec_b64 s[54:55], vcc
	s_cbranch_execz .LBB2_5121
; %bb.5118:                             ;   in Loop: Header=BB2_5054 Depth=2
	v_bfe_u32 v24, v10, 24, 7
	v_cmp_ne_u32_e32 vcc, s68, v24
	v_mov_b32_e32 v19, 0x7f800001
	s_and_saveexec_b64 s[56:57], vcc
	s_cbranch_execz .LBB2_5120
; %bb.5119:                             ;   in Loop: Header=BB2_5054 Depth=2
	v_and_b32_e32 v19, 7, v16
	v_ffbh_u32_e32 v22, v19
	v_min_u32_e32 v26, 32, v22
	v_subrev_u32_e32 v22, 28, v26
	v_lshlrev_b64 v[22:23], v22, v[16:17]
	v_lshrrev_b32_e32 v25, 3, v24
	v_sub_u32_e32 v23, 29, v26
	v_and_b32_e32 v22, 7, v22
	v_cmp_gt_u32_e32 vcc, 8, v24
	v_cndmask_b32_e32 v23, v25, v23, vcc
	v_cndmask_b32_e32 v19, v19, v22, vcc
	v_lshlrev_b32_e32 v16, 24, v16
	v_lshlrev_b32_e32 v19, 20, v19
	v_and_b32_e32 v16, 0x80000000, v16
	v_lshl_add_u32 v22, v23, 23, v47
	v_or3_b32 v19, v16, v22, v19
.LBB2_5120:                             ;   in Loop: Header=BB2_5054 Depth=2
	s_or_b64 exec, exec, s[56:57]
.LBB2_5121:                             ;   in Loop: Header=BB2_5054 Depth=2
	s_or_b64 exec, exec, s[54:55]
.LBB2_5122:                             ;   in Loop: Header=BB2_5054 Depth=2
	s_or_b64 exec, exec, s[22:23]
	v_mul_f32_e32 v25, v7, v19
	v_and_b32_sdwa v24, v25, s69 dst_sel:DWORD dst_unused:UNUSED_PAD src0_sel:BYTE_3 src1_sel:DWORD
	v_and_b32_e32 v22, 0x7f800000, v25
	v_mov_b32_e32 v23, v17
	v_and_b32_e32 v16, 0x7fffff, v25
	v_or_b32_e32 v19, 0x7e, v24
	v_cmp_ne_u64_e32 vcc, s[38:39], v[22:23]
	s_and_saveexec_b64 s[22:23], vcc
	s_xor_b64 s[54:55], exec, s[22:23]
	s_cbranch_execz .LBB2_5132
; %bb.5123:                             ;   in Loop: Header=BB2_5054 Depth=2
	v_and_b32_e32 v22, 0x7fffffff, v25
	v_mov_b32_e32 v23, v17
	v_cmp_gt_u64_e32 vcc, s[40:41], v[22:23]
	s_and_saveexec_b64 s[56:57], vcc
	s_cbranch_execz .LBB2_5131
; %bb.5124:                             ;   in Loop: Header=BB2_5054 Depth=2
	v_cmp_ne_u32_e32 vcc, 0, v25
	v_mov_b32_e32 v19, 0
	s_and_saveexec_b64 s[58:59], vcc
	s_cbranch_execz .LBB2_5130
; %bb.5125:                             ;   in Loop: Header=BB2_5054 Depth=2
	v_bfe_u32 v19, v25, 23, 8
	v_sub_u32_e32 v23, 0x79, v19
	v_cmp_gt_u32_e32 vcc, s70, v19
	v_cndmask_b32_e32 v23, 0, v23, vcc
	v_cmp_eq_u32_e32 vcc, 0, v19
	v_add_u32_e32 v22, 0xffffff81, v19
	v_cndmask_b32_e32 v34, v23, v57, vcc
	v_or_b32_e32 v25, 0x800000, v16
	v_cndmask_b32_e32 v19, v22, v56, vcc
	v_add_u32_e32 v22, 20, v34
	v_cndmask_b32_e32 v16, v25, v16, vcc
	v_lshlrev_b64 v[22:23], v22, -1
	v_not_b32_e32 v22, v22
	v_lshrrev_b64 v[32:33], v34, v[16:17]
	v_not_b32_e32 v23, v23
	v_and_b32_e32 v22, v16, v22
	v_add_u32_e32 v25, 19, v34
	v_lshrrev_b32_e32 v16, 23, v32
	v_and_b32_e32 v23, 0, v23
	v_lshlrev_b64 v[26:27], v25, 1
	v_add3_u32 v25, v34, v19, v16
	v_bfe_u32 v16, v32, 20, 1
	v_add_u32_e32 v16, -1, v16
	v_cmp_eq_u64_e32 vcc, v[22:23], v[26:27]
	v_cndmask_b32_e32 v16, 0, v16, vcc
	v_add_u32_e32 v16, v16, v32
	v_and_b32_e32 v16, 0xfffff, v16
	v_add_co_u32_e32 v42, vcc, v16, v32
	v_add_u32_e32 v19, 6, v25
	v_addc_co_u32_e32 v43, vcc, 0, v33, vcc
	v_cmp_ne_u32_e32 vcc, 0, v19
                                        ; implicit-def: $vgpr16
	s_and_saveexec_b64 s[22:23], vcc
	s_xor_b64 s[22:23], exec, s[22:23]
; %bb.5126:                             ;   in Loop: Header=BB2_5054 Depth=2
	v_add_u32_e32 v16, 7, v25
	v_cmp_lt_u64_e32 vcc, s[44:45], v[42:43]
	v_cndmask_b32_e32 v16, v19, v16, vcc
	v_cndmask_b32_e64 v19, 0, 1, vcc
	v_lshrrev_b64 v[42:43], v19, v[42:43]
; %bb.5127:                             ;   in Loop: Header=BB2_5054 Depth=2
	s_andn2_saveexec_b64 s[22:23], s[22:23]
; %bb.5128:                             ;   in Loop: Header=BB2_5054 Depth=2
	v_bfe_u32 v16, v42, 23, 1
; %bb.5129:                             ;   in Loop: Header=BB2_5054 Depth=2
	s_or_b64 exec, exec, s[22:23]
	v_lshrrev_b64 v[22:23], 20, v[42:43]
	v_cmp_gt_i32_e32 vcc, 16, v16
	v_cndmask_b32_e32 v23, 0, v23, vcc
	v_cndmask_b32_e32 v22, 7, v22, vcc
	v_cmp_eq_u32_e32 vcc, 0, v16
	v_min_i32_e32 v16, 15, v16
	v_cmp_eq_u64_e64 s[22:23], 0, v[22:23]
	v_lshlrev_b32_e32 v16, 3, v16
	v_and_or_b32 v16, v22, 7, v16
	s_and_b64 s[22:23], vcc, s[22:23]
	v_cndmask_b32_e64 v16, v16, 0, s[22:23]
	v_or_b32_e32 v19, v16, v24
.LBB2_5130:                             ;   in Loop: Header=BB2_5054 Depth=2
	s_or_b64 exec, exec, s[58:59]
.LBB2_5131:                             ;   in Loop: Header=BB2_5054 Depth=2
	s_or_b64 exec, exec, s[56:57]
                                        ; implicit-def: $vgpr25
.LBB2_5132:                             ;   in Loop: Header=BB2_5054 Depth=2
	s_andn2_saveexec_b64 s[22:23], s[54:55]
; %bb.5133:                             ;   in Loop: Header=BB2_5054 Depth=2
	v_or_b32_sdwa v22, v25, s68 dst_sel:DWORD dst_unused:UNUSED_PAD src0_sel:BYTE_3 src1_sel:DWORD
	v_cmp_eq_u64_e32 vcc, 0, v[16:17]
	v_cndmask_b32_e32 v19, v22, v19, vcc
; %bb.5134:                             ;   in Loop: Header=BB2_5054 Depth=2
	s_or_b64 exec, exec, s[22:23]
	v_mov_b32_e32 v16, v11
	v_cmp_ne_u16_sdwa vcc, v11, v17 src0_sel:BYTE_0 src1_sel:DWORD
	v_mov_b32_e32 v24, 0
	s_and_saveexec_b64 s[22:23], vcc
	s_cbranch_execz .LBB2_5140
; %bb.5135:                             ;   in Loop: Header=BB2_5054 Depth=2
	v_cmp_ne_u16_sdwa vcc, v11, s69 src0_sel:BYTE_0 src1_sel:DWORD
	v_bfrev_b32_e32 v24, 1
	s_and_saveexec_b64 s[54:55], vcc
	s_cbranch_execz .LBB2_5139
; %bb.5136:                             ;   in Loop: Header=BB2_5054 Depth=2
	v_and_b32_e32 v25, 0x7f, v11
	v_cmp_ne_u32_e32 vcc, s68, v25
	v_mov_b32_e32 v24, 0x7f800001
	s_and_saveexec_b64 s[56:57], vcc
	s_cbranch_execz .LBB2_5138
; %bb.5137:                             ;   in Loop: Header=BB2_5054 Depth=2
	v_and_b32_e32 v22, 7, v11
	v_ffbh_u32_e32 v22, v22
	v_min_u32_e32 v22, 32, v22
	v_lshrrev_b32_e32 v23, 3, v25
	v_subrev_u32_e32 v24, 28, v22
	v_sub_u32_e32 v22, 29, v22
	v_cmp_gt_u32_e32 vcc, 8, v25
	v_cndmask_b32_e32 v25, v23, v22, vcc
	v_cndmask_b32_e32 v22, 0, v24, vcc
	v_lshlrev_b64 v[22:23], v22, v[16:17]
	v_lshlrev_b32_e32 v22, 20, v22
	v_lshlrev_b32_e32 v23, 24, v16
	v_and_b32_e32 v22, 0x700000, v22
	v_and_b32_e32 v23, 0x80000000, v23
	v_lshl_add_u32 v24, v25, 23, v47
	v_or3_b32 v24, v23, v24, v22
.LBB2_5138:                             ;   in Loop: Header=BB2_5054 Depth=2
	s_or_b64 exec, exec, s[56:57]
.LBB2_5139:                             ;   in Loop: Header=BB2_5054 Depth=2
	s_or_b64 exec, exec, s[54:55]
.LBB2_5140:                             ;   in Loop: Header=BB2_5054 Depth=2
	s_or_b64 exec, exec, s[22:23]
	v_mul_f32_e32 v26, v7, v24
	v_and_b32_sdwa v24, v26, s69 dst_sel:DWORD dst_unused:UNUSED_PAD src0_sel:BYTE_3 src1_sel:DWORD
	v_and_b32_e32 v22, 0x7f800000, v26
	v_mov_b32_e32 v23, v17
	v_and_b32_e32 v42, 0x7fffff, v26
	v_mov_b32_e32 v43, v17
	v_or_b32_e32 v25, 0x7e, v24
	v_cmp_ne_u64_e32 vcc, s[38:39], v[22:23]
	s_and_saveexec_b64 s[22:23], vcc
	s_xor_b64 s[54:55], exec, s[22:23]
	s_cbranch_execz .LBB2_5150
; %bb.5141:                             ;   in Loop: Header=BB2_5054 Depth=2
	v_and_b32_e32 v22, 0x7fffffff, v26
	v_mov_b32_e32 v23, v17
	v_cmp_gt_u64_e32 vcc, s[40:41], v[22:23]
	s_and_saveexec_b64 s[56:57], vcc
	s_cbranch_execz .LBB2_5149
; %bb.5142:                             ;   in Loop: Header=BB2_5054 Depth=2
	v_cmp_ne_u32_e32 vcc, 0, v26
	v_mov_b32_e32 v25, 0
	s_and_saveexec_b64 s[58:59], vcc
	s_cbranch_execz .LBB2_5148
; %bb.5143:                             ;   in Loop: Header=BB2_5054 Depth=2
	v_bfe_u32 v22, v26, 23, 8
	v_sub_u32_e32 v25, 0x79, v22
	v_cmp_gt_u32_e32 vcc, s70, v22
	v_cndmask_b32_e32 v25, 0, v25, vcc
	v_cmp_eq_u32_e32 vcc, 0, v22
	v_or_b32_e32 v26, 0x800000, v42
	v_cndmask_b32_e32 v25, v25, v57, vcc
	v_add_u32_e32 v23, 0xffffff81, v22
	v_cndmask_b32_e32 v42, v26, v42, vcc
	v_add_u32_e32 v22, 20, v25
	v_cndmask_b32_e32 v27, v23, v56, vcc
	v_lshlrev_b64 v[22:23], v22, -1
	v_add_u32_e32 v26, 19, v25
	v_lshrrev_b64 v[34:35], v25, v[42:43]
	v_not_b32_e32 v23, v23
	v_not_b32_e32 v22, v22
	v_lshlrev_b64 v[32:33], v26, 1
	v_lshrrev_b32_e32 v26, 23, v34
	v_and_b32_e32 v23, 0, v23
	v_and_b32_e32 v22, v42, v22
	v_add3_u32 v27, v25, v27, v26
	v_bfe_u32 v25, v34, 20, 1
	v_add_u32_e32 v25, -1, v25
	v_cmp_eq_u64_e32 vcc, v[22:23], v[32:33]
	v_cndmask_b32_e32 v22, 0, v25, vcc
	v_add_u32_e32 v22, v22, v34
	v_and_b32_e32 v22, 0xfffff, v22
	v_add_co_u32_e32 v42, vcc, v22, v34
	v_add_u32_e32 v26, 6, v27
	v_addc_co_u32_e32 v43, vcc, 0, v35, vcc
	v_cmp_ne_u32_e32 vcc, 0, v26
                                        ; implicit-def: $vgpr25
	s_and_saveexec_b64 s[22:23], vcc
	s_xor_b64 s[22:23], exec, s[22:23]
; %bb.5144:                             ;   in Loop: Header=BB2_5054 Depth=2
	v_add_u32_e32 v22, 7, v27
	v_cmp_lt_u64_e32 vcc, s[44:45], v[42:43]
	v_cndmask_b32_e32 v25, v26, v22, vcc
	v_cndmask_b32_e64 v22, 0, 1, vcc
	v_lshrrev_b64 v[42:43], v22, v[42:43]
; %bb.5145:                             ;   in Loop: Header=BB2_5054 Depth=2
	s_andn2_saveexec_b64 s[22:23], s[22:23]
; %bb.5146:                             ;   in Loop: Header=BB2_5054 Depth=2
	v_bfe_u32 v25, v42, 23, 1
; %bb.5147:                             ;   in Loop: Header=BB2_5054 Depth=2
	s_or_b64 exec, exec, s[22:23]
	v_lshrrev_b64 v[22:23], 20, v[42:43]
	v_cmp_gt_i32_e32 vcc, 16, v25
	v_cndmask_b32_e32 v23, 0, v23, vcc
	v_cndmask_b32_e32 v22, 7, v22, vcc
	v_cmp_eq_u64_e64 s[22:23], 0, v[22:23]
	v_min_i32_e32 v23, 15, v25
	v_cmp_eq_u32_e32 vcc, 0, v25
	v_lshlrev_b32_e32 v23, 3, v23
	v_and_or_b32 v22, v22, 7, v23
	s_and_b64 s[22:23], vcc, s[22:23]
	v_cndmask_b32_e64 v22, v22, 0, s[22:23]
	v_or_b32_e32 v25, v22, v24
.LBB2_5148:                             ;   in Loop: Header=BB2_5054 Depth=2
	s_or_b64 exec, exec, s[58:59]
.LBB2_5149:                             ;   in Loop: Header=BB2_5054 Depth=2
	s_or_b64 exec, exec, s[56:57]
                                        ; implicit-def: $vgpr26
                                        ; implicit-def: $vgpr42_vgpr43
.LBB2_5150:                             ;   in Loop: Header=BB2_5054 Depth=2
	s_andn2_saveexec_b64 s[22:23], s[54:55]
; %bb.5151:                             ;   in Loop: Header=BB2_5054 Depth=2
	v_or_b32_sdwa v22, v26, s68 dst_sel:DWORD dst_unused:UNUSED_PAD src0_sel:BYTE_3 src1_sel:DWORD
	v_cmp_eq_u64_e32 vcc, 0, v[42:43]
	v_cndmask_b32_e32 v25, v22, v25, vcc
; %bb.5152:                             ;   in Loop: Header=BB2_5054 Depth=2
	s_or_b64 exec, exec, s[22:23]
	v_lshrrev_b16_e32 v24, 8, v16
	v_cmp_ne_u16_e32 vcc, 0, v24
	v_mov_b32_e32 v26, 0
	s_and_saveexec_b64 s[22:23], vcc
	s_cbranch_execz .LBB2_5158
; %bb.5153:                             ;   in Loop: Header=BB2_5054 Depth=2
	v_cmp_ne_u16_e32 vcc, s69, v24
	v_bfrev_b32_e32 v26, 1
	s_and_saveexec_b64 s[54:55], vcc
	s_cbranch_execz .LBB2_5157
; %bb.5154:                             ;   in Loop: Header=BB2_5054 Depth=2
	v_and_b32_e32 v27, 0x7f, v24
	v_cmp_ne_u32_e32 vcc, s68, v27
	v_mov_b32_e32 v26, 0x7f800001
	s_and_saveexec_b64 s[56:57], vcc
	s_cbranch_execz .LBB2_5156
; %bb.5155:                             ;   in Loop: Header=BB2_5054 Depth=2
	v_and_b32_e32 v26, 7, v24
	v_ffbh_u32_e32 v22, v26
	v_min_u32_e32 v33, 32, v22
	v_subrev_u32_e32 v22, 28, v33
	v_lshlrev_b64 v[22:23], v22, v[24:25]
	v_lshrrev_b32_e32 v32, 3, v27
	v_sub_u32_e32 v23, 29, v33
	v_and_b32_e32 v22, 7, v22
	v_cmp_gt_u32_e32 vcc, 8, v27
	v_cndmask_b32_e32 v23, v32, v23, vcc
	v_cndmask_b32_e32 v22, v26, v22, vcc
	v_lshlrev_b32_e32 v16, 16, v16
	v_lshlrev_b32_e32 v22, 20, v22
	v_and_b32_e32 v16, 0x80000000, v16
	v_lshl_add_u32 v23, v23, 23, v47
	v_or3_b32 v26, v16, v23, v22
.LBB2_5156:                             ;   in Loop: Header=BB2_5054 Depth=2
	s_or_b64 exec, exec, s[56:57]
.LBB2_5157:                             ;   in Loop: Header=BB2_5054 Depth=2
	s_or_b64 exec, exec, s[54:55]
.LBB2_5158:                             ;   in Loop: Header=BB2_5054 Depth=2
	s_or_b64 exec, exec, s[22:23]
	v_mul_f32_e32 v27, v7, v26
	v_and_b32_sdwa v26, v27, s69 dst_sel:DWORD dst_unused:UNUSED_PAD src0_sel:BYTE_3 src1_sel:DWORD
	v_and_b32_e32 v22, 0x7f800000, v27
	v_mov_b32_e32 v23, v17
	v_and_b32_e32 v16, 0x7fffff, v27
	v_or_b32_e32 v24, 0x7e, v26
	v_cmp_ne_u64_e32 vcc, s[38:39], v[22:23]
	s_and_saveexec_b64 s[22:23], vcc
	s_xor_b64 s[54:55], exec, s[22:23]
	s_cbranch_execz .LBB2_5168
; %bb.5159:                             ;   in Loop: Header=BB2_5054 Depth=2
	v_and_b32_e32 v22, 0x7fffffff, v27
	v_mov_b32_e32 v23, v17
	v_cmp_gt_u64_e32 vcc, s[40:41], v[22:23]
	s_and_saveexec_b64 s[56:57], vcc
	s_cbranch_execz .LBB2_5167
; %bb.5160:                             ;   in Loop: Header=BB2_5054 Depth=2
	v_cmp_ne_u32_e32 vcc, 0, v27
	v_mov_b32_e32 v24, 0
	s_and_saveexec_b64 s[58:59], vcc
	s_cbranch_execz .LBB2_5166
; %bb.5161:                             ;   in Loop: Header=BB2_5054 Depth=2
	v_bfe_u32 v22, v27, 23, 8
	v_sub_u32_e32 v24, 0x79, v22
	v_cmp_gt_u32_e32 vcc, s70, v22
	v_cndmask_b32_e32 v24, 0, v24, vcc
	v_cmp_eq_u32_e32 vcc, 0, v22
	v_cndmask_b32_e32 v24, v24, v57, vcc
	v_add_u32_e32 v23, 0xffffff81, v22
	v_or_b32_e32 v27, 0x800000, v16
	v_add_u32_e32 v22, 20, v24
	v_cndmask_b32_e32 v38, v23, v56, vcc
	v_cndmask_b32_e32 v16, v27, v16, vcc
	v_lshlrev_b64 v[22:23], v22, -1
	v_not_b32_e32 v22, v22
	v_lshrrev_b64 v[34:35], v24, v[16:17]
	v_not_b32_e32 v23, v23
	v_and_b32_e32 v22, v16, v22
	v_add_u32_e32 v27, 19, v24
	v_lshrrev_b32_e32 v16, 23, v34
	v_and_b32_e32 v23, 0, v23
	v_lshlrev_b64 v[32:33], v27, 1
	v_add3_u32 v27, v24, v38, v16
	v_bfe_u32 v16, v34, 20, 1
	v_add_u32_e32 v16, -1, v16
	v_cmp_eq_u64_e32 vcc, v[22:23], v[32:33]
	v_cndmask_b32_e32 v16, 0, v16, vcc
	v_add_u32_e32 v16, v16, v34
	v_and_b32_e32 v16, 0xfffff, v16
	v_add_co_u32_e32 v42, vcc, v16, v34
	v_add_u32_e32 v24, 6, v27
	v_addc_co_u32_e32 v43, vcc, 0, v35, vcc
	v_cmp_ne_u32_e32 vcc, 0, v24
                                        ; implicit-def: $vgpr16
	s_and_saveexec_b64 s[22:23], vcc
	s_xor_b64 s[22:23], exec, s[22:23]
; %bb.5162:                             ;   in Loop: Header=BB2_5054 Depth=2
	v_cmp_lt_u64_e32 vcc, s[44:45], v[42:43]
	v_add_u32_e32 v16, 7, v27
	v_cndmask_b32_e64 v22, 0, 1, vcc
	v_cndmask_b32_e32 v16, v24, v16, vcc
	v_lshrrev_b64 v[42:43], v22, v[42:43]
; %bb.5163:                             ;   in Loop: Header=BB2_5054 Depth=2
	s_andn2_saveexec_b64 s[22:23], s[22:23]
; %bb.5164:                             ;   in Loop: Header=BB2_5054 Depth=2
	v_bfe_u32 v16, v42, 23, 1
; %bb.5165:                             ;   in Loop: Header=BB2_5054 Depth=2
	s_or_b64 exec, exec, s[22:23]
	v_lshrrev_b64 v[22:23], 20, v[42:43]
	v_cmp_gt_i32_e32 vcc, 16, v16
	v_cndmask_b32_e32 v23, 0, v23, vcc
	v_cndmask_b32_e32 v22, 7, v22, vcc
	v_cmp_eq_u32_e32 vcc, 0, v16
	v_min_i32_e32 v16, 15, v16
	v_lshlrev_b32_e32 v16, 3, v16
	v_cmp_eq_u64_e64 s[22:23], 0, v[22:23]
	v_and_b32_e32 v16, 0xf8, v16
	v_and_or_b32 v16, v22, 7, v16
	s_and_b64 s[22:23], vcc, s[22:23]
	v_cndmask_b32_e64 v16, v16, 0, s[22:23]
	v_or_b32_e32 v24, v16, v26
.LBB2_5166:                             ;   in Loop: Header=BB2_5054 Depth=2
	s_or_b64 exec, exec, s[58:59]
.LBB2_5167:                             ;   in Loop: Header=BB2_5054 Depth=2
	s_or_b64 exec, exec, s[56:57]
                                        ; implicit-def: $vgpr27
.LBB2_5168:                             ;   in Loop: Header=BB2_5054 Depth=2
	s_andn2_saveexec_b64 s[22:23], s[54:55]
; %bb.5169:                             ;   in Loop: Header=BB2_5054 Depth=2
	v_or_b32_sdwa v22, v27, s68 dst_sel:DWORD dst_unused:UNUSED_PAD src0_sel:BYTE_3 src1_sel:DWORD
	v_cmp_eq_u64_e32 vcc, 0, v[16:17]
	v_cndmask_b32_e32 v24, v22, v24, vcc
; %bb.5170:                             ;   in Loop: Header=BB2_5054 Depth=2
	s_or_b64 exec, exec, s[22:23]
	v_lshrrev_b32_e32 v16, 16, v11
	v_cmp_ne_u16_sdwa vcc, v16, v17 src0_sel:BYTE_0 src1_sel:DWORD
	v_mov_b32_e32 v26, 0
	s_and_saveexec_b64 s[22:23], vcc
	s_cbranch_execz .LBB2_5176
; %bb.5171:                             ;   in Loop: Header=BB2_5054 Depth=2
	v_cmp_ne_u16_sdwa vcc, v16, s69 src0_sel:BYTE_0 src1_sel:DWORD
	v_bfrev_b32_e32 v26, 1
	s_and_saveexec_b64 s[54:55], vcc
	s_cbranch_execz .LBB2_5175
; %bb.5172:                             ;   in Loop: Header=BB2_5054 Depth=2
	v_bfe_u32 v27, v11, 16, 7
	v_cmp_ne_u32_e32 vcc, s68, v27
	v_mov_b32_e32 v26, 0x7f800001
	s_and_saveexec_b64 s[56:57], vcc
	s_cbranch_execz .LBB2_5174
; %bb.5173:                             ;   in Loop: Header=BB2_5054 Depth=2
	v_and_b32_e32 v26, 7, v16
	v_ffbh_u32_e32 v22, v26
	v_min_u32_e32 v33, 32, v22
	v_subrev_u32_e32 v22, 28, v33
	v_lshlrev_b64 v[22:23], v22, v[16:17]
	v_lshrrev_b32_e32 v32, 3, v27
	v_sub_u32_e32 v23, 29, v33
	v_and_b32_e32 v22, 7, v22
	v_cmp_gt_u32_e32 vcc, 8, v27
	v_cndmask_b32_e32 v23, v32, v23, vcc
	v_cndmask_b32_e32 v22, v26, v22, vcc
	v_lshlrev_b32_e32 v16, 24, v16
	v_lshlrev_b32_e32 v22, 20, v22
	v_and_b32_e32 v16, 0x80000000, v16
	v_lshl_add_u32 v23, v23, 23, v47
	v_or3_b32 v26, v16, v23, v22
.LBB2_5174:                             ;   in Loop: Header=BB2_5054 Depth=2
	s_or_b64 exec, exec, s[56:57]
.LBB2_5175:                             ;   in Loop: Header=BB2_5054 Depth=2
	s_or_b64 exec, exec, s[54:55]
.LBB2_5176:                             ;   in Loop: Header=BB2_5054 Depth=2
	s_or_b64 exec, exec, s[22:23]
	v_mul_f32_e32 v32, v7, v26
	v_and_b32_sdwa v27, v32, s69 dst_sel:DWORD dst_unused:UNUSED_PAD src0_sel:BYTE_3 src1_sel:DWORD
	v_and_b32_e32 v22, 0x7f800000, v32
	v_mov_b32_e32 v23, v17
	v_and_b32_e32 v16, 0x7fffff, v32
	v_or_b32_e32 v26, 0x7e, v27
	v_cmp_ne_u64_e32 vcc, s[38:39], v[22:23]
	s_and_saveexec_b64 s[22:23], vcc
	s_xor_b64 s[54:55], exec, s[22:23]
	s_cbranch_execz .LBB2_5186
; %bb.5177:                             ;   in Loop: Header=BB2_5054 Depth=2
	v_and_b32_e32 v22, 0x7fffffff, v32
	v_mov_b32_e32 v23, v17
	v_cmp_gt_u64_e32 vcc, s[40:41], v[22:23]
	s_and_saveexec_b64 s[56:57], vcc
	s_cbranch_execz .LBB2_5185
; %bb.5178:                             ;   in Loop: Header=BB2_5054 Depth=2
	v_cmp_ne_u32_e32 vcc, 0, v32
	v_mov_b32_e32 v26, 0
	s_and_saveexec_b64 s[58:59], vcc
	s_cbranch_execz .LBB2_5184
; %bb.5179:                             ;   in Loop: Header=BB2_5054 Depth=2
	v_bfe_u32 v22, v32, 23, 8
	v_sub_u32_e32 v26, 0x79, v22
	v_cmp_gt_u32_e32 vcc, s70, v22
	v_cndmask_b32_e32 v26, 0, v26, vcc
	v_cmp_eq_u32_e32 vcc, 0, v22
	v_cndmask_b32_e32 v26, v26, v57, vcc
	v_add_u32_e32 v23, 0xffffff81, v22
	v_or_b32_e32 v32, 0x800000, v16
	v_add_u32_e32 v22, 20, v26
	v_cndmask_b32_e32 v33, v23, v56, vcc
	v_cndmask_b32_e32 v16, v32, v16, vcc
	v_lshlrev_b64 v[22:23], v22, -1
	v_not_b32_e32 v22, v22
	v_lshrrev_b64 v[42:43], v26, v[16:17]
	v_not_b32_e32 v23, v23
	v_and_b32_e32 v22, v16, v22
	v_add_u32_e32 v32, 19, v26
	v_lshrrev_b32_e32 v16, 23, v42
	v_and_b32_e32 v23, 0, v23
	v_lshlrev_b64 v[34:35], v32, 1
	v_add3_u32 v32, v26, v33, v16
	v_bfe_u32 v16, v42, 20, 1
	v_add_u32_e32 v16, -1, v16
	v_cmp_eq_u64_e32 vcc, v[22:23], v[34:35]
	v_cndmask_b32_e32 v16, 0, v16, vcc
	v_add_u32_e32 v16, v16, v42
	v_and_b32_e32 v16, 0xfffff, v16
	v_add_co_u32_e32 v42, vcc, v16, v42
	v_add_u32_e32 v26, 6, v32
	v_addc_co_u32_e32 v43, vcc, 0, v43, vcc
	v_cmp_ne_u32_e32 vcc, 0, v26
                                        ; implicit-def: $vgpr16
	s_and_saveexec_b64 s[22:23], vcc
	s_xor_b64 s[22:23], exec, s[22:23]
; %bb.5180:                             ;   in Loop: Header=BB2_5054 Depth=2
	v_cmp_lt_u64_e32 vcc, s[44:45], v[42:43]
	v_add_u32_e32 v16, 7, v32
	v_cndmask_b32_e64 v22, 0, 1, vcc
	v_cndmask_b32_e32 v16, v26, v16, vcc
	v_lshrrev_b64 v[42:43], v22, v[42:43]
; %bb.5181:                             ;   in Loop: Header=BB2_5054 Depth=2
	s_andn2_saveexec_b64 s[22:23], s[22:23]
; %bb.5182:                             ;   in Loop: Header=BB2_5054 Depth=2
	v_bfe_u32 v16, v42, 23, 1
; %bb.5183:                             ;   in Loop: Header=BB2_5054 Depth=2
	s_or_b64 exec, exec, s[22:23]
	v_lshrrev_b64 v[22:23], 20, v[42:43]
	v_cmp_gt_i32_e32 vcc, 16, v16
	v_cndmask_b32_e32 v23, 0, v23, vcc
	v_cndmask_b32_e32 v22, 7, v22, vcc
	v_cmp_eq_u32_e32 vcc, 0, v16
	v_min_i32_e32 v16, 15, v16
	v_lshlrev_b32_e32 v16, 3, v16
	v_cmp_eq_u64_e64 s[22:23], 0, v[22:23]
	v_and_b32_e32 v16, 0xf8, v16
	v_and_or_b32 v16, v22, 7, v16
	s_and_b64 s[22:23], vcc, s[22:23]
	v_cndmask_b32_e64 v16, v16, 0, s[22:23]
	v_or_b32_e32 v26, v16, v27
.LBB2_5184:                             ;   in Loop: Header=BB2_5054 Depth=2
	s_or_b64 exec, exec, s[58:59]
.LBB2_5185:                             ;   in Loop: Header=BB2_5054 Depth=2
	s_or_b64 exec, exec, s[56:57]
                                        ; implicit-def: $vgpr32
.LBB2_5186:                             ;   in Loop: Header=BB2_5054 Depth=2
	s_andn2_saveexec_b64 s[22:23], s[54:55]
; %bb.5187:                             ;   in Loop: Header=BB2_5054 Depth=2
	v_or_b32_sdwa v22, v32, s68 dst_sel:DWORD dst_unused:UNUSED_PAD src0_sel:BYTE_3 src1_sel:DWORD
	v_cmp_eq_u64_e32 vcc, 0, v[16:17]
	v_cndmask_b32_e32 v26, v22, v26, vcc
; %bb.5188:                             ;   in Loop: Header=BB2_5054 Depth=2
	s_or_b64 exec, exec, s[22:23]
	v_cmp_lt_u64_e32 vcc, s[42:43], v[10:11]
	v_mov_b32_e32 v16, 0
	s_and_saveexec_b64 s[22:23], vcc
	s_cbranch_execz .LBB2_5194
; %bb.5189:                             ;   in Loop: Header=BB2_5054 Depth=2
	v_lshrrev_b32_e32 v10, 24, v11
	v_cmp_ne_u32_e32 vcc, s69, v10
	v_bfrev_b32_e32 v16, 1
	s_and_saveexec_b64 s[54:55], vcc
	s_cbranch_execz .LBB2_5193
; %bb.5190:                             ;   in Loop: Header=BB2_5054 Depth=2
	v_bfe_u32 v11, v11, 24, 7
	v_cmp_ne_u32_e32 vcc, s68, v11
	v_mov_b32_e32 v16, 0x7f800001
	s_and_saveexec_b64 s[56:57], vcc
	s_cbranch_execz .LBB2_5192
; %bb.5191:                             ;   in Loop: Header=BB2_5054 Depth=2
	v_and_b32_e32 v16, 7, v10
	v_ffbh_u32_e32 v22, v16
	v_min_u32_e32 v32, 32, v22
	v_subrev_u32_e32 v22, 28, v32
	v_lshlrev_b64 v[22:23], v22, v[10:11]
	v_lshrrev_b32_e32 v27, 3, v11
	v_sub_u32_e32 v23, 29, v32
	v_and_b32_e32 v22, 7, v22
	v_cmp_gt_u32_e32 vcc, 8, v11
	v_cndmask_b32_e32 v11, v27, v23, vcc
	v_cndmask_b32_e32 v16, v16, v22, vcc
	v_lshlrev_b32_e32 v10, 24, v10
	v_lshlrev_b32_e32 v16, 20, v16
	v_and_b32_e32 v10, 0x80000000, v10
	v_lshl_add_u32 v11, v11, 23, v47
	v_or3_b32 v16, v10, v11, v16
.LBB2_5192:                             ;   in Loop: Header=BB2_5054 Depth=2
	s_or_b64 exec, exec, s[56:57]
.LBB2_5193:                             ;   in Loop: Header=BB2_5054 Depth=2
	s_or_b64 exec, exec, s[54:55]
.LBB2_5194:                             ;   in Loop: Header=BB2_5054 Depth=2
	s_or_b64 exec, exec, s[22:23]
	v_mul_f32_e32 v10, v7, v16
	v_and_b32_sdwa v32, v10, s69 dst_sel:DWORD dst_unused:UNUSED_PAD src0_sel:BYTE_3 src1_sel:DWORD
	v_and_b32_e32 v22, 0x7f800000, v10
	v_mov_b32_e32 v23, v17
	v_and_b32_e32 v16, 0x7fffff, v10
	v_or_b32_e32 v27, 0x7e, v32
	v_cmp_ne_u64_e32 vcc, s[38:39], v[22:23]
	s_and_saveexec_b64 s[22:23], vcc
	s_xor_b64 s[54:55], exec, s[22:23]
	s_cbranch_execz .LBB2_5204
; %bb.5195:                             ;   in Loop: Header=BB2_5054 Depth=2
	v_and_b32_e32 v22, 0x7fffffff, v10
	v_mov_b32_e32 v23, v17
	v_cmp_gt_u64_e32 vcc, s[40:41], v[22:23]
	s_and_saveexec_b64 s[56:57], vcc
	s_cbranch_execz .LBB2_5203
; %bb.5196:                             ;   in Loop: Header=BB2_5054 Depth=2
	v_cmp_ne_u32_e32 vcc, 0, v10
	v_mov_b32_e32 v27, 0
	s_and_saveexec_b64 s[58:59], vcc
	s_cbranch_execz .LBB2_5202
; %bb.5197:                             ;   in Loop: Header=BB2_5054 Depth=2
	v_bfe_u32 v10, v10, 23, 8
	v_sub_u32_e32 v22, 0x79, v10
	v_cmp_gt_u32_e32 vcc, s70, v10
	v_cndmask_b32_e32 v22, 0, v22, vcc
	v_cmp_eq_u32_e32 vcc, 0, v10
	v_cndmask_b32_e32 v33, v22, v57, vcc
	v_add_u32_e32 v11, 0xffffff81, v10
	v_or_b32_e32 v23, 0x800000, v16
	v_add_u32_e32 v10, 20, v33
	v_cndmask_b32_e32 v27, v11, v56, vcc
	v_cndmask_b32_e32 v16, v23, v16, vcc
	v_lshlrev_b64 v[10:11], v10, -1
	v_not_b32_e32 v10, v10
	v_lshrrev_b64 v[34:35], v33, v[16:17]
	v_not_b32_e32 v11, v11
	v_and_b32_e32 v10, v16, v10
	v_add_u32_e32 v22, 19, v33
	v_lshrrev_b32_e32 v16, 23, v34
	v_and_b32_e32 v11, 0, v11
	v_lshlrev_b64 v[22:23], v22, 1
	v_add3_u32 v33, v33, v27, v16
	v_bfe_u32 v16, v34, 20, 1
	v_add_u32_e32 v16, -1, v16
	v_cmp_eq_u64_e32 vcc, v[10:11], v[22:23]
	v_cndmask_b32_e32 v10, 0, v16, vcc
	v_add_u32_e32 v10, v10, v34
	v_and_b32_e32 v10, 0xfffff, v10
	v_add_co_u32_e32 v10, vcc, v10, v34
	v_add_u32_e32 v27, 6, v33
	v_addc_co_u32_e32 v11, vcc, 0, v35, vcc
	v_cmp_ne_u32_e32 vcc, 0, v27
                                        ; implicit-def: $vgpr16
	s_and_saveexec_b64 s[22:23], vcc
	s_xor_b64 s[22:23], exec, s[22:23]
; %bb.5198:                             ;   in Loop: Header=BB2_5054 Depth=2
	v_cmp_lt_u64_e32 vcc, s[44:45], v[10:11]
	v_add_u32_e32 v16, 7, v33
	v_cndmask_b32_e64 v22, 0, 1, vcc
	v_cndmask_b32_e32 v16, v27, v16, vcc
	v_lshrrev_b64 v[10:11], v22, v[10:11]
; %bb.5199:                             ;   in Loop: Header=BB2_5054 Depth=2
	s_andn2_saveexec_b64 s[22:23], s[22:23]
; %bb.5200:                             ;   in Loop: Header=BB2_5054 Depth=2
	v_bfe_u32 v16, v10, 23, 1
; %bb.5201:                             ;   in Loop: Header=BB2_5054 Depth=2
	s_or_b64 exec, exec, s[22:23]
	v_lshrrev_b64 v[10:11], 20, v[10:11]
	v_cmp_gt_i32_e32 vcc, 16, v16
	v_cndmask_b32_e32 v11, 0, v11, vcc
	v_cndmask_b32_e32 v10, 7, v10, vcc
	v_cmp_eq_u64_e64 s[22:23], 0, v[10:11]
	v_min_i32_e32 v11, 15, v16
	v_lshlrev_b32_e32 v11, 3, v11
	v_cmp_eq_u32_e32 vcc, 0, v16
	v_and_b32_e32 v11, 0xf8, v11
	v_and_or_b32 v10, v10, 7, v11
	s_and_b64 s[22:23], vcc, s[22:23]
	v_cndmask_b32_e64 v10, v10, 0, s[22:23]
	v_or_b32_e32 v27, v10, v32
.LBB2_5202:                             ;   in Loop: Header=BB2_5054 Depth=2
	s_or_b64 exec, exec, s[58:59]
.LBB2_5203:                             ;   in Loop: Header=BB2_5054 Depth=2
	s_or_b64 exec, exec, s[56:57]
                                        ; implicit-def: $vgpr10
.LBB2_5204:                             ;   in Loop: Header=BB2_5054 Depth=2
	s_andn2_saveexec_b64 s[22:23], s[54:55]
; %bb.5205:                             ;   in Loop: Header=BB2_5054 Depth=2
	v_or_b32_sdwa v10, v10, s68 dst_sel:DWORD dst_unused:UNUSED_PAD src0_sel:BYTE_3 src1_sel:DWORD
	v_cmp_eq_u64_e32 vcc, 0, v[16:17]
	v_cndmask_b32_e32 v27, v10, v27, vcc
; %bb.5206:                             ;   in Loop: Header=BB2_5054 Depth=2
	s_or_b64 exec, exec, s[22:23]
	v_cmp_ne_u16_sdwa vcc, v12, v17 src0_sel:BYTE_0 src1_sel:DWORD
	v_mov_b32_e32 v10, 0
	s_and_saveexec_b64 s[22:23], vcc
	s_cbranch_execz .LBB2_5212
; %bb.5207:                             ;   in Loop: Header=BB2_5054 Depth=2
	v_cmp_ne_u16_sdwa vcc, v12, s69 src0_sel:BYTE_0 src1_sel:DWORD
	v_bfrev_b32_e32 v10, 1
	s_and_saveexec_b64 s[54:55], vcc
	s_cbranch_execz .LBB2_5211
; %bb.5208:                             ;   in Loop: Header=BB2_5054 Depth=2
	v_and_b32_e32 v11, 0x7f, v12
	v_cmp_ne_u32_e32 vcc, s68, v11
	v_mov_b32_e32 v10, 0x7f800001
	s_and_saveexec_b64 s[56:57], vcc
	s_cbranch_execz .LBB2_5210
; %bb.5209:                             ;   in Loop: Header=BB2_5054 Depth=2
	v_and_b32_e32 v10, 7, v12
	v_ffbh_u32_e32 v10, v10
	v_min_u32_e32 v10, 32, v10
	v_lshrrev_b32_e32 v16, 3, v11
	v_subrev_u32_e32 v22, 28, v10
	v_sub_u32_e32 v10, 29, v10
	v_cmp_gt_u32_e32 vcc, 8, v11
	v_cndmask_b32_e32 v16, v16, v10, vcc
	v_cndmask_b32_e32 v10, 0, v22, vcc
	v_lshlrev_b64 v[10:11], v10, v[12:13]
	v_lshlrev_b32_e32 v10, 20, v10
	v_lshlrev_b32_e32 v11, 24, v12
	v_and_b32_e32 v10, 0x700000, v10
	v_and_b32_e32 v11, 0x80000000, v11
	v_lshl_add_u32 v16, v16, 23, v47
	v_or3_b32 v10, v11, v16, v10
.LBB2_5210:                             ;   in Loop: Header=BB2_5054 Depth=2
	s_or_b64 exec, exec, s[56:57]
.LBB2_5211:                             ;   in Loop: Header=BB2_5054 Depth=2
	s_or_b64 exec, exec, s[54:55]
.LBB2_5212:                             ;   in Loop: Header=BB2_5054 Depth=2
	s_or_b64 exec, exec, s[22:23]
	v_mul_f32_e32 v10, v7, v10
	v_and_b32_sdwa v33, v10, s69 dst_sel:DWORD dst_unused:UNUSED_PAD src0_sel:BYTE_3 src1_sel:DWORD
	v_and_b32_e32 v22, 0x7f800000, v10
	v_mov_b32_e32 v23, v17
	v_and_b32_e32 v16, 0x7fffff, v10
	v_or_b32_e32 v32, 0x7e, v33
	v_cmp_ne_u64_e32 vcc, s[38:39], v[22:23]
	s_and_saveexec_b64 s[22:23], vcc
	s_xor_b64 s[54:55], exec, s[22:23]
	s_cbranch_execz .LBB2_5222
; %bb.5213:                             ;   in Loop: Header=BB2_5054 Depth=2
	v_and_b32_e32 v22, 0x7fffffff, v10
	v_mov_b32_e32 v23, v17
	v_cmp_gt_u64_e32 vcc, s[40:41], v[22:23]
	s_and_saveexec_b64 s[56:57], vcc
	s_cbranch_execz .LBB2_5221
; %bb.5214:                             ;   in Loop: Header=BB2_5054 Depth=2
	v_cmp_ne_u32_e32 vcc, 0, v10
	v_mov_b32_e32 v32, 0
	s_and_saveexec_b64 s[58:59], vcc
	s_cbranch_execz .LBB2_5220
; %bb.5215:                             ;   in Loop: Header=BB2_5054 Depth=2
	v_bfe_u32 v10, v10, 23, 8
	v_sub_u32_e32 v22, 0x79, v10
	v_cmp_gt_u32_e32 vcc, s70, v10
	v_cndmask_b32_e32 v22, 0, v22, vcc
	v_cmp_eq_u32_e32 vcc, 0, v10
	v_cndmask_b32_e32 v34, v22, v57, vcc
	v_add_u32_e32 v11, 0xffffff81, v10
	v_or_b32_e32 v23, 0x800000, v16
	v_add_u32_e32 v10, 20, v34
	v_cndmask_b32_e32 v32, v11, v56, vcc
	v_cndmask_b32_e32 v16, v23, v16, vcc
	v_lshlrev_b64 v[10:11], v10, -1
	v_not_b32_e32 v10, v10
	v_lshrrev_b64 v[42:43], v34, v[16:17]
	v_not_b32_e32 v11, v11
	v_and_b32_e32 v10, v16, v10
	v_add_u32_e32 v22, 19, v34
	v_lshrrev_b32_e32 v16, 23, v42
	v_and_b32_e32 v11, 0, v11
	v_lshlrev_b64 v[22:23], v22, 1
	v_add3_u32 v34, v34, v32, v16
	v_bfe_u32 v16, v42, 20, 1
	v_add_u32_e32 v16, -1, v16
	v_cmp_eq_u64_e32 vcc, v[10:11], v[22:23]
	v_cndmask_b32_e32 v10, 0, v16, vcc
	v_add_u32_e32 v10, v10, v42
	v_and_b32_e32 v10, 0xfffff, v10
	v_add_co_u32_e32 v10, vcc, v10, v42
	v_add_u32_e32 v32, 6, v34
	v_addc_co_u32_e32 v11, vcc, 0, v43, vcc
	v_cmp_ne_u32_e32 vcc, 0, v32
                                        ; implicit-def: $vgpr16
	s_and_saveexec_b64 s[22:23], vcc
	s_xor_b64 s[22:23], exec, s[22:23]
; %bb.5216:                             ;   in Loop: Header=BB2_5054 Depth=2
	v_cmp_lt_u64_e32 vcc, s[44:45], v[10:11]
	v_add_u32_e32 v16, 7, v34
	v_cndmask_b32_e64 v22, 0, 1, vcc
	v_cndmask_b32_e32 v16, v32, v16, vcc
	v_lshrrev_b64 v[10:11], v22, v[10:11]
; %bb.5217:                             ;   in Loop: Header=BB2_5054 Depth=2
	s_andn2_saveexec_b64 s[22:23], s[22:23]
; %bb.5218:                             ;   in Loop: Header=BB2_5054 Depth=2
	v_bfe_u32 v16, v10, 23, 1
; %bb.5219:                             ;   in Loop: Header=BB2_5054 Depth=2
	s_or_b64 exec, exec, s[22:23]
	v_lshrrev_b64 v[10:11], 20, v[10:11]
	v_cmp_gt_i32_e32 vcc, 16, v16
	v_cndmask_b32_e32 v11, 0, v11, vcc
	v_cndmask_b32_e32 v10, 7, v10, vcc
	v_cmp_eq_u64_e64 s[22:23], 0, v[10:11]
	v_min_i32_e32 v11, 15, v16
	v_cmp_eq_u32_e32 vcc, 0, v16
	v_lshlrev_b32_e32 v11, 3, v11
	v_and_or_b32 v10, v10, 7, v11
	s_and_b64 s[22:23], vcc, s[22:23]
	v_cndmask_b32_e64 v10, v10, 0, s[22:23]
	v_or_b32_e32 v32, v10, v33
.LBB2_5220:                             ;   in Loop: Header=BB2_5054 Depth=2
	s_or_b64 exec, exec, s[58:59]
.LBB2_5221:                             ;   in Loop: Header=BB2_5054 Depth=2
	s_or_b64 exec, exec, s[56:57]
                                        ; implicit-def: $vgpr10
.LBB2_5222:                             ;   in Loop: Header=BB2_5054 Depth=2
	s_andn2_saveexec_b64 s[22:23], s[54:55]
; %bb.5223:                             ;   in Loop: Header=BB2_5054 Depth=2
	v_or_b32_sdwa v10, v10, s68 dst_sel:DWORD dst_unused:UNUSED_PAD src0_sel:BYTE_3 src1_sel:DWORD
	v_cmp_eq_u64_e32 vcc, 0, v[16:17]
	v_cndmask_b32_e32 v32, v10, v32, vcc
; %bb.5224:                             ;   in Loop: Header=BB2_5054 Depth=2
	s_or_b64 exec, exec, s[22:23]
	v_lshrrev_b16_e32 v10, 8, v12
	v_cmp_ne_u16_e32 vcc, 0, v10
	v_mov_b32_e32 v11, 0
	s_and_saveexec_b64 s[22:23], vcc
	s_cbranch_execz .LBB2_5230
; %bb.5225:                             ;   in Loop: Header=BB2_5054 Depth=2
	v_cmp_ne_u16_e32 vcc, s69, v10
	v_bfrev_b32_e32 v11, 1
	s_and_saveexec_b64 s[54:55], vcc
	s_cbranch_execz .LBB2_5229
; %bb.5226:                             ;   in Loop: Header=BB2_5054 Depth=2
	v_and_b32_e32 v16, 0x7f, v10
	v_cmp_ne_u32_e32 vcc, s68, v16
	v_mov_b32_e32 v11, 0x7f800001
	s_and_saveexec_b64 s[56:57], vcc
	s_cbranch_execz .LBB2_5228
; %bb.5227:                             ;   in Loop: Header=BB2_5054 Depth=2
	v_and_b32_e32 v22, 7, v10
	v_ffbh_u32_e32 v11, v22
	v_min_u32_e32 v33, 32, v11
	v_subrev_u32_e32 v11, 28, v33
	v_lshlrev_b64 v[10:11], v11, v[10:11]
	v_lshrrev_b32_e32 v23, 3, v16
	v_sub_u32_e32 v11, 29, v33
	v_and_b32_e32 v10, 7, v10
	v_cmp_gt_u32_e32 vcc, 8, v16
	v_cndmask_b32_e32 v11, v23, v11, vcc
	v_cndmask_b32_e32 v10, v22, v10, vcc
	v_lshlrev_b32_e32 v16, 16, v12
	v_lshlrev_b32_e32 v10, 20, v10
	v_and_b32_e32 v16, 0x80000000, v16
	v_lshl_add_u32 v11, v11, 23, v47
	v_or3_b32 v11, v16, v11, v10
.LBB2_5228:                             ;   in Loop: Header=BB2_5054 Depth=2
	s_or_b64 exec, exec, s[56:57]
.LBB2_5229:                             ;   in Loop: Header=BB2_5054 Depth=2
	s_or_b64 exec, exec, s[54:55]
.LBB2_5230:                             ;   in Loop: Header=BB2_5054 Depth=2
	s_or_b64 exec, exec, s[22:23]
	v_mul_f32_e32 v10, v7, v11
	v_and_b32_sdwa v34, v10, s69 dst_sel:DWORD dst_unused:UNUSED_PAD src0_sel:BYTE_3 src1_sel:DWORD
	v_and_b32_e32 v22, 0x7f800000, v10
	v_mov_b32_e32 v23, v17
	v_and_b32_e32 v16, 0x7fffff, v10
	v_or_b32_e32 v33, 0x7e, v34
	v_cmp_ne_u64_e32 vcc, s[38:39], v[22:23]
	s_and_saveexec_b64 s[22:23], vcc
	s_xor_b64 s[54:55], exec, s[22:23]
	s_cbranch_execz .LBB2_5240
; %bb.5231:                             ;   in Loop: Header=BB2_5054 Depth=2
	v_and_b32_e32 v22, 0x7fffffff, v10
	v_mov_b32_e32 v23, v17
	v_cmp_gt_u64_e32 vcc, s[40:41], v[22:23]
	s_and_saveexec_b64 s[56:57], vcc
	s_cbranch_execz .LBB2_5239
; %bb.5232:                             ;   in Loop: Header=BB2_5054 Depth=2
	v_cmp_ne_u32_e32 vcc, 0, v10
	v_mov_b32_e32 v33, 0
	s_and_saveexec_b64 s[58:59], vcc
	s_cbranch_execz .LBB2_5238
; %bb.5233:                             ;   in Loop: Header=BB2_5054 Depth=2
	v_bfe_u32 v10, v10, 23, 8
	v_sub_u32_e32 v22, 0x79, v10
	v_cmp_gt_u32_e32 vcc, s70, v10
	v_cndmask_b32_e32 v22, 0, v22, vcc
	v_cmp_eq_u32_e32 vcc, 0, v10
	v_cndmask_b32_e32 v35, v22, v57, vcc
	v_add_u32_e32 v11, 0xffffff81, v10
	v_or_b32_e32 v23, 0x800000, v16
	v_add_u32_e32 v10, 20, v35
	v_cndmask_b32_e32 v33, v11, v56, vcc
	v_cndmask_b32_e32 v16, v23, v16, vcc
	v_lshlrev_b64 v[10:11], v10, -1
	v_not_b32_e32 v10, v10
	v_lshrrev_b64 v[42:43], v35, v[16:17]
	v_not_b32_e32 v11, v11
	v_and_b32_e32 v10, v16, v10
	v_add_u32_e32 v22, 19, v35
	v_lshrrev_b32_e32 v16, 23, v42
	v_and_b32_e32 v11, 0, v11
	v_lshlrev_b64 v[22:23], v22, 1
	v_add3_u32 v35, v35, v33, v16
	v_bfe_u32 v16, v42, 20, 1
	v_add_u32_e32 v16, -1, v16
	v_cmp_eq_u64_e32 vcc, v[10:11], v[22:23]
	v_cndmask_b32_e32 v10, 0, v16, vcc
	v_add_u32_e32 v10, v10, v42
	v_and_b32_e32 v10, 0xfffff, v10
	v_add_co_u32_e32 v10, vcc, v10, v42
	v_add_u32_e32 v33, 6, v35
	v_addc_co_u32_e32 v11, vcc, 0, v43, vcc
	v_cmp_ne_u32_e32 vcc, 0, v33
                                        ; implicit-def: $vgpr16
	s_and_saveexec_b64 s[22:23], vcc
	s_xor_b64 s[22:23], exec, s[22:23]
; %bb.5234:                             ;   in Loop: Header=BB2_5054 Depth=2
	v_cmp_lt_u64_e32 vcc, s[44:45], v[10:11]
	v_add_u32_e32 v16, 7, v35
	v_cndmask_b32_e64 v22, 0, 1, vcc
	v_cndmask_b32_e32 v16, v33, v16, vcc
	v_lshrrev_b64 v[10:11], v22, v[10:11]
; %bb.5235:                             ;   in Loop: Header=BB2_5054 Depth=2
	s_andn2_saveexec_b64 s[22:23], s[22:23]
; %bb.5236:                             ;   in Loop: Header=BB2_5054 Depth=2
	v_bfe_u32 v16, v10, 23, 1
; %bb.5237:                             ;   in Loop: Header=BB2_5054 Depth=2
	s_or_b64 exec, exec, s[22:23]
	v_lshrrev_b64 v[10:11], 20, v[10:11]
	v_cmp_gt_i32_e32 vcc, 16, v16
	v_cndmask_b32_e32 v11, 0, v11, vcc
	v_cndmask_b32_e32 v10, 7, v10, vcc
	v_cmp_eq_u64_e64 s[22:23], 0, v[10:11]
	v_min_i32_e32 v11, 15, v16
	v_cmp_eq_u32_e32 vcc, 0, v16
	v_lshlrev_b32_e32 v11, 3, v11
	v_and_or_b32 v10, v10, 7, v11
	s_and_b64 s[22:23], vcc, s[22:23]
	v_cndmask_b32_e64 v10, v10, 0, s[22:23]
	v_or_b32_e32 v33, v10, v34
.LBB2_5238:                             ;   in Loop: Header=BB2_5054 Depth=2
	s_or_b64 exec, exec, s[58:59]
.LBB2_5239:                             ;   in Loop: Header=BB2_5054 Depth=2
	s_or_b64 exec, exec, s[56:57]
                                        ; implicit-def: $vgpr10
.LBB2_5240:                             ;   in Loop: Header=BB2_5054 Depth=2
	s_andn2_saveexec_b64 s[22:23], s[54:55]
; %bb.5241:                             ;   in Loop: Header=BB2_5054 Depth=2
	v_or_b32_sdwa v10, v10, s68 dst_sel:DWORD dst_unused:UNUSED_PAD src0_sel:BYTE_3 src1_sel:DWORD
	v_cmp_eq_u64_e32 vcc, 0, v[16:17]
	v_cndmask_b32_e32 v33, v10, v33, vcc
; %bb.5242:                             ;   in Loop: Header=BB2_5054 Depth=2
	s_or_b64 exec, exec, s[22:23]
	v_lshrrev_b32_e32 v10, 16, v12
	v_cmp_ne_u16_sdwa vcc, v10, v17 src0_sel:BYTE_0 src1_sel:DWORD
	v_mov_b32_e32 v11, 0
	s_and_saveexec_b64 s[22:23], vcc
	s_cbranch_execz .LBB2_5248
; %bb.5243:                             ;   in Loop: Header=BB2_5054 Depth=2
	v_cmp_ne_u16_sdwa vcc, v10, s69 src0_sel:BYTE_0 src1_sel:DWORD
	v_bfrev_b32_e32 v11, 1
	s_and_saveexec_b64 s[54:55], vcc
	s_cbranch_execz .LBB2_5247
; %bb.5244:                             ;   in Loop: Header=BB2_5054 Depth=2
	v_bfe_u32 v16, v12, 16, 7
	v_cmp_ne_u32_e32 vcc, s68, v16
	v_mov_b32_e32 v11, 0x7f800001
	s_and_saveexec_b64 s[56:57], vcc
	s_cbranch_execz .LBB2_5246
; %bb.5245:                             ;   in Loop: Header=BB2_5054 Depth=2
	v_and_b32_e32 v11, 7, v10
	v_ffbh_u32_e32 v22, v11
	v_min_u32_e32 v35, 32, v22
	v_subrev_u32_e32 v22, 28, v35
	v_lshlrev_b64 v[22:23], v22, v[10:11]
	v_lshrrev_b32_e32 v34, 3, v16
	v_sub_u32_e32 v23, 29, v35
	v_and_b32_e32 v22, 7, v22
	v_cmp_gt_u32_e32 vcc, 8, v16
	v_cndmask_b32_e32 v16, v34, v23, vcc
	v_cndmask_b32_e32 v11, v11, v22, vcc
	v_lshlrev_b32_e32 v10, 24, v10
	v_lshlrev_b32_e32 v11, 20, v11
	v_and_b32_e32 v10, 0x80000000, v10
	v_lshl_add_u32 v16, v16, 23, v47
	v_or3_b32 v11, v10, v16, v11
.LBB2_5246:                             ;   in Loop: Header=BB2_5054 Depth=2
	s_or_b64 exec, exec, s[56:57]
.LBB2_5247:                             ;   in Loop: Header=BB2_5054 Depth=2
	s_or_b64 exec, exec, s[54:55]
.LBB2_5248:                             ;   in Loop: Header=BB2_5054 Depth=2
	s_or_b64 exec, exec, s[22:23]
	v_mul_f32_e32 v10, v7, v11
	v_and_b32_sdwa v35, v10, s69 dst_sel:DWORD dst_unused:UNUSED_PAD src0_sel:BYTE_3 src1_sel:DWORD
	v_and_b32_e32 v22, 0x7f800000, v10
	v_mov_b32_e32 v23, v17
	v_and_b32_e32 v16, 0x7fffff, v10
	v_or_b32_e32 v34, 0x7e, v35
	v_cmp_ne_u64_e32 vcc, s[38:39], v[22:23]
	s_and_saveexec_b64 s[22:23], vcc
	s_xor_b64 s[54:55], exec, s[22:23]
	s_cbranch_execz .LBB2_5258
; %bb.5249:                             ;   in Loop: Header=BB2_5054 Depth=2
	v_and_b32_e32 v22, 0x7fffffff, v10
	v_mov_b32_e32 v23, v17
	v_cmp_gt_u64_e32 vcc, s[40:41], v[22:23]
	s_and_saveexec_b64 s[56:57], vcc
	s_cbranch_execz .LBB2_5257
; %bb.5250:                             ;   in Loop: Header=BB2_5054 Depth=2
	v_cmp_ne_u32_e32 vcc, 0, v10
	v_mov_b32_e32 v34, 0
	s_and_saveexec_b64 s[58:59], vcc
	s_cbranch_execz .LBB2_5256
; %bb.5251:                             ;   in Loop: Header=BB2_5054 Depth=2
	v_bfe_u32 v10, v10, 23, 8
	v_sub_u32_e32 v22, 0x79, v10
	v_cmp_gt_u32_e32 vcc, s70, v10
	v_cndmask_b32_e32 v22, 0, v22, vcc
	v_cmp_eq_u32_e32 vcc, 0, v10
	v_cndmask_b32_e32 v38, v22, v57, vcc
	v_add_u32_e32 v11, 0xffffff81, v10
	v_or_b32_e32 v23, 0x800000, v16
	v_add_u32_e32 v10, 20, v38
	v_cndmask_b32_e32 v34, v11, v56, vcc
	v_cndmask_b32_e32 v16, v23, v16, vcc
	v_lshlrev_b64 v[10:11], v10, -1
	v_not_b32_e32 v10, v10
	v_lshrrev_b64 v[42:43], v38, v[16:17]
	v_not_b32_e32 v11, v11
	v_and_b32_e32 v10, v16, v10
	v_add_u32_e32 v22, 19, v38
	v_lshrrev_b32_e32 v16, 23, v42
	v_and_b32_e32 v11, 0, v11
	v_lshlrev_b64 v[22:23], v22, 1
	v_add3_u32 v53, v38, v34, v16
	v_bfe_u32 v16, v42, 20, 1
	v_add_u32_e32 v16, -1, v16
	v_cmp_eq_u64_e32 vcc, v[10:11], v[22:23]
	v_cndmask_b32_e32 v10, 0, v16, vcc
	v_add_u32_e32 v10, v10, v42
	v_and_b32_e32 v10, 0xfffff, v10
	v_add_co_u32_e32 v10, vcc, v10, v42
	v_add_u32_e32 v34, 6, v53
	v_addc_co_u32_e32 v11, vcc, 0, v43, vcc
	v_cmp_ne_u32_e32 vcc, 0, v34
                                        ; implicit-def: $vgpr16
	s_and_saveexec_b64 s[22:23], vcc
	s_xor_b64 s[22:23], exec, s[22:23]
; %bb.5252:                             ;   in Loop: Header=BB2_5054 Depth=2
	v_cmp_lt_u64_e32 vcc, s[44:45], v[10:11]
	v_add_u32_e32 v16, 7, v53
	v_cndmask_b32_e64 v22, 0, 1, vcc
	v_cndmask_b32_e32 v16, v34, v16, vcc
	v_lshrrev_b64 v[10:11], v22, v[10:11]
; %bb.5253:                             ;   in Loop: Header=BB2_5054 Depth=2
	s_andn2_saveexec_b64 s[22:23], s[22:23]
; %bb.5254:                             ;   in Loop: Header=BB2_5054 Depth=2
	v_bfe_u32 v16, v10, 23, 1
; %bb.5255:                             ;   in Loop: Header=BB2_5054 Depth=2
	s_or_b64 exec, exec, s[22:23]
	v_lshrrev_b64 v[10:11], 20, v[10:11]
	v_cmp_gt_i32_e32 vcc, 16, v16
	v_cndmask_b32_e32 v11, 0, v11, vcc
	v_cndmask_b32_e32 v10, 7, v10, vcc
	v_cmp_eq_u64_e64 s[22:23], 0, v[10:11]
	v_min_i32_e32 v11, 15, v16
	v_cmp_eq_u32_e32 vcc, 0, v16
	v_lshlrev_b32_e32 v11, 3, v11
	v_and_or_b32 v10, v10, 7, v11
	s_and_b64 s[22:23], vcc, s[22:23]
	v_cndmask_b32_e64 v10, v10, 0, s[22:23]
	v_or_b32_e32 v34, v10, v35
.LBB2_5256:                             ;   in Loop: Header=BB2_5054 Depth=2
	s_or_b64 exec, exec, s[58:59]
.LBB2_5257:                             ;   in Loop: Header=BB2_5054 Depth=2
	s_or_b64 exec, exec, s[56:57]
                                        ; implicit-def: $vgpr10
.LBB2_5258:                             ;   in Loop: Header=BB2_5054 Depth=2
	s_andn2_saveexec_b64 s[22:23], s[54:55]
; %bb.5259:                             ;   in Loop: Header=BB2_5054 Depth=2
	v_or_b32_sdwa v10, v10, s68 dst_sel:DWORD dst_unused:UNUSED_PAD src0_sel:BYTE_3 src1_sel:DWORD
	v_cmp_eq_u64_e32 vcc, 0, v[16:17]
	v_cndmask_b32_e32 v34, v10, v34, vcc
; %bb.5260:                             ;   in Loop: Header=BB2_5054 Depth=2
	s_or_b64 exec, exec, s[22:23]
	v_cmp_lt_u32_e32 vcc, s43, v12
	v_mov_b32_e32 v11, 0
	s_and_saveexec_b64 s[22:23], vcc
	s_cbranch_execz .LBB2_5266
; %bb.5261:                             ;   in Loop: Header=BB2_5054 Depth=2
	v_lshrrev_b32_e32 v10, 24, v12
	v_cmp_ne_u32_e32 vcc, s69, v10
	v_bfrev_b32_e32 v11, 1
	s_and_saveexec_b64 s[54:55], vcc
	s_cbranch_execz .LBB2_5265
; %bb.5262:                             ;   in Loop: Header=BB2_5054 Depth=2
	v_bfe_u32 v16, v12, 24, 7
	v_cmp_ne_u32_e32 vcc, s68, v16
	v_mov_b32_e32 v11, 0x7f800001
	s_and_saveexec_b64 s[56:57], vcc
	s_cbranch_execz .LBB2_5264
; %bb.5263:                             ;   in Loop: Header=BB2_5054 Depth=2
	v_and_b32_e32 v11, 7, v10
	v_ffbh_u32_e32 v22, v11
	v_min_u32_e32 v38, 32, v22
	v_subrev_u32_e32 v22, 28, v38
	v_lshlrev_b64 v[22:23], v22, v[10:11]
	v_lshrrev_b32_e32 v35, 3, v16
	v_sub_u32_e32 v23, 29, v38
	v_and_b32_e32 v22, 7, v22
	v_cmp_gt_u32_e32 vcc, 8, v16
	v_cndmask_b32_e32 v16, v35, v23, vcc
	v_cndmask_b32_e32 v11, v11, v22, vcc
	v_lshlrev_b32_e32 v10, 24, v10
	v_lshlrev_b32_e32 v11, 20, v11
	v_and_b32_e32 v10, 0x80000000, v10
	v_lshl_add_u32 v16, v16, 23, v47
	v_or3_b32 v11, v10, v16, v11
.LBB2_5264:                             ;   in Loop: Header=BB2_5054 Depth=2
	s_or_b64 exec, exec, s[56:57]
.LBB2_5265:                             ;   in Loop: Header=BB2_5054 Depth=2
	s_or_b64 exec, exec, s[54:55]
.LBB2_5266:                             ;   in Loop: Header=BB2_5054 Depth=2
	s_or_b64 exec, exec, s[22:23]
	v_mul_f32_e32 v10, v7, v11
	v_and_b32_sdwa v53, v10, s69 dst_sel:DWORD dst_unused:UNUSED_PAD src0_sel:BYTE_3 src1_sel:DWORD
	v_and_b32_e32 v22, 0x7f800000, v10
	v_mov_b32_e32 v23, v17
	v_and_b32_e32 v16, 0x7fffff, v10
	v_or_b32_e32 v35, 0x7e, v53
	v_cmp_ne_u64_e32 vcc, s[38:39], v[22:23]
	s_and_saveexec_b64 s[22:23], vcc
	s_xor_b64 s[54:55], exec, s[22:23]
	s_cbranch_execz .LBB2_5276
; %bb.5267:                             ;   in Loop: Header=BB2_5054 Depth=2
	v_and_b32_e32 v22, 0x7fffffff, v10
	v_mov_b32_e32 v23, v17
	v_cmp_gt_u64_e32 vcc, s[40:41], v[22:23]
	s_and_saveexec_b64 s[56:57], vcc
	s_cbranch_execz .LBB2_5275
; %bb.5268:                             ;   in Loop: Header=BB2_5054 Depth=2
	v_cmp_ne_u32_e32 vcc, 0, v10
	v_mov_b32_e32 v35, 0
	s_and_saveexec_b64 s[58:59], vcc
	s_cbranch_execz .LBB2_5274
; %bb.5269:                             ;   in Loop: Header=BB2_5054 Depth=2
	v_bfe_u32 v10, v10, 23, 8
	v_sub_u32_e32 v22, 0x79, v10
	v_cmp_gt_u32_e32 vcc, s70, v10
	v_cndmask_b32_e32 v22, 0, v22, vcc
	v_cmp_eq_u32_e32 vcc, 0, v10
	v_cndmask_b32_e32 v38, v22, v57, vcc
	v_add_u32_e32 v11, 0xffffff81, v10
	v_or_b32_e32 v23, 0x800000, v16
	v_add_u32_e32 v10, 20, v38
	v_cndmask_b32_e32 v35, v11, v56, vcc
	v_cndmask_b32_e32 v16, v23, v16, vcc
	v_lshlrev_b64 v[10:11], v10, -1
	v_not_b32_e32 v10, v10
	v_lshrrev_b64 v[60:61], v38, v[16:17]
	v_not_b32_e32 v11, v11
	v_and_b32_e32 v10, v16, v10
	v_add_u32_e32 v22, 19, v38
	v_lshrrev_b32_e32 v16, 23, v60
	v_and_b32_e32 v11, 0, v11
	v_lshlrev_b64 v[22:23], v22, 1
	v_add3_u32 v42, v38, v35, v16
	v_bfe_u32 v16, v60, 20, 1
	v_add_u32_e32 v16, -1, v16
	v_cmp_eq_u64_e32 vcc, v[10:11], v[22:23]
	v_cndmask_b32_e32 v10, 0, v16, vcc
	v_add_u32_e32 v10, v10, v60
	v_and_b32_e32 v10, 0xfffff, v10
	v_add_co_u32_e32 v10, vcc, v10, v60
	v_add_u32_e32 v35, 6, v42
	v_addc_co_u32_e32 v11, vcc, 0, v61, vcc
	v_cmp_ne_u32_e32 vcc, 0, v35
                                        ; implicit-def: $vgpr16
	s_and_saveexec_b64 s[22:23], vcc
	s_xor_b64 s[22:23], exec, s[22:23]
; %bb.5270:                             ;   in Loop: Header=BB2_5054 Depth=2
	v_cmp_lt_u64_e32 vcc, s[44:45], v[10:11]
	v_add_u32_e32 v16, 7, v42
	v_cndmask_b32_e64 v22, 0, 1, vcc
	v_cndmask_b32_e32 v16, v35, v16, vcc
	v_lshrrev_b64 v[10:11], v22, v[10:11]
; %bb.5271:                             ;   in Loop: Header=BB2_5054 Depth=2
	s_andn2_saveexec_b64 s[22:23], s[22:23]
; %bb.5272:                             ;   in Loop: Header=BB2_5054 Depth=2
	v_bfe_u32 v16, v10, 23, 1
; %bb.5273:                             ;   in Loop: Header=BB2_5054 Depth=2
	s_or_b64 exec, exec, s[22:23]
	v_lshrrev_b64 v[10:11], 20, v[10:11]
	v_cmp_gt_i32_e32 vcc, 16, v16
	v_cndmask_b32_e32 v11, 0, v11, vcc
	v_cndmask_b32_e32 v10, 7, v10, vcc
	v_cmp_eq_u64_e64 s[22:23], 0, v[10:11]
	v_min_i32_e32 v11, 15, v16
	v_cmp_eq_u32_e32 vcc, 0, v16
	v_lshlrev_b32_e32 v11, 3, v11
	v_and_or_b32 v10, v10, 7, v11
	s_and_b64 s[22:23], vcc, s[22:23]
	v_cndmask_b32_e64 v10, v10, 0, s[22:23]
	v_or_b32_e32 v35, v10, v53
.LBB2_5274:                             ;   in Loop: Header=BB2_5054 Depth=2
	s_or_b64 exec, exec, s[58:59]
.LBB2_5275:                             ;   in Loop: Header=BB2_5054 Depth=2
	s_or_b64 exec, exec, s[56:57]
                                        ; implicit-def: $vgpr10
.LBB2_5276:                             ;   in Loop: Header=BB2_5054 Depth=2
	s_andn2_saveexec_b64 s[22:23], s[54:55]
; %bb.5277:                             ;   in Loop: Header=BB2_5054 Depth=2
	v_or_b32_sdwa v10, v10, s68 dst_sel:DWORD dst_unused:UNUSED_PAD src0_sel:BYTE_3 src1_sel:DWORD
	v_cmp_eq_u64_e32 vcc, 0, v[16:17]
	v_cndmask_b32_e32 v35, v10, v35, vcc
; %bb.5278:                             ;   in Loop: Header=BB2_5054 Depth=2
	s_or_b64 exec, exec, s[22:23]
	v_mov_b32_e32 v16, v13
	v_cmp_ne_u16_sdwa vcc, v13, v17 src0_sel:BYTE_0 src1_sel:DWORD
	v_mov_b32_e32 v10, 0
	s_and_saveexec_b64 s[22:23], vcc
	s_cbranch_execz .LBB2_5284
; %bb.5279:                             ;   in Loop: Header=BB2_5054 Depth=2
	v_cmp_ne_u16_sdwa vcc, v13, s69 src0_sel:BYTE_0 src1_sel:DWORD
	v_bfrev_b32_e32 v10, 1
	s_and_saveexec_b64 s[54:55], vcc
	s_cbranch_execz .LBB2_5283
; %bb.5280:                             ;   in Loop: Header=BB2_5054 Depth=2
	v_and_b32_e32 v11, 0x7f, v13
	v_cmp_ne_u32_e32 vcc, s68, v11
	v_mov_b32_e32 v10, 0x7f800001
	s_and_saveexec_b64 s[56:57], vcc
	s_cbranch_execz .LBB2_5282
; %bb.5281:                             ;   in Loop: Header=BB2_5054 Depth=2
	v_and_b32_e32 v10, 7, v13
	v_ffbh_u32_e32 v10, v10
	v_min_u32_e32 v10, 32, v10
	v_lshrrev_b32_e32 v22, 3, v11
	v_subrev_u32_e32 v23, 28, v10
	v_sub_u32_e32 v10, 29, v10
	v_cmp_gt_u32_e32 vcc, 8, v11
	v_cndmask_b32_e32 v22, v22, v10, vcc
	v_cndmask_b32_e32 v10, 0, v23, vcc
	v_lshlrev_b64 v[10:11], v10, v[16:17]
	v_lshlrev_b32_e32 v10, 20, v10
	v_lshlrev_b32_e32 v11, 24, v16
	v_and_b32_e32 v10, 0x700000, v10
	v_and_b32_e32 v11, 0x80000000, v11
	v_lshl_add_u32 v22, v22, 23, v47
	v_or3_b32 v10, v11, v22, v10
.LBB2_5282:                             ;   in Loop: Header=BB2_5054 Depth=2
	s_or_b64 exec, exec, s[56:57]
.LBB2_5283:                             ;   in Loop: Header=BB2_5054 Depth=2
	s_or_b64 exec, exec, s[54:55]
.LBB2_5284:                             ;   in Loop: Header=BB2_5054 Depth=2
	s_or_b64 exec, exec, s[22:23]
	v_mul_f32_e32 v43, v7, v10
	v_and_b32_sdwa v42, v43, s69 dst_sel:DWORD dst_unused:UNUSED_PAD src0_sel:BYTE_3 src1_sel:DWORD
	v_and_b32_e32 v22, 0x7f800000, v43
	v_mov_b32_e32 v23, v17
	v_and_b32_e32 v10, 0x7fffff, v43
	v_mov_b32_e32 v11, v17
	v_or_b32_e32 v53, 0x7e, v42
	v_cmp_ne_u64_e32 vcc, s[38:39], v[22:23]
	s_and_saveexec_b64 s[22:23], vcc
	s_xor_b64 s[54:55], exec, s[22:23]
	s_cbranch_execz .LBB2_5294
; %bb.5285:                             ;   in Loop: Header=BB2_5054 Depth=2
	v_and_b32_e32 v22, 0x7fffffff, v43
	v_mov_b32_e32 v23, v17
	v_cmp_gt_u64_e32 vcc, s[40:41], v[22:23]
	s_and_saveexec_b64 s[56:57], vcc
	s_cbranch_execz .LBB2_5293
; %bb.5286:                             ;   in Loop: Header=BB2_5054 Depth=2
	v_cmp_ne_u32_e32 vcc, 0, v43
	v_mov_b32_e32 v53, 0
	s_and_saveexec_b64 s[58:59], vcc
	s_cbranch_execz .LBB2_5292
; %bb.5287:                             ;   in Loop: Header=BB2_5054 Depth=2
	v_bfe_u32 v22, v43, 23, 8
	v_sub_u32_e32 v38, 0x79, v22
	v_cmp_gt_u32_e32 vcc, s70, v22
	v_cndmask_b32_e32 v38, 0, v38, vcc
	v_cmp_eq_u32_e32 vcc, 0, v22
	v_cndmask_b32_e32 v38, v38, v57, vcc
	v_add_u32_e32 v23, 0xffffff81, v22
	v_add_u32_e32 v22, 20, v38
	v_or_b32_e32 v39, 0x800000, v10
	v_cndmask_b32_e32 v53, v23, v56, vcc
	v_lshlrev_b64 v[22:23], v22, -1
	v_cndmask_b32_e32 v10, v39, v10, vcc
	v_not_b32_e32 v22, v22
	v_and_b32_e32 v22, v10, v22
	v_add_u32_e32 v39, 19, v38
	v_lshrrev_b64 v[10:11], v38, v[10:11]
	v_not_b32_e32 v23, v23
	v_lshlrev_b64 v[60:61], v39, 1
	v_lshrrev_b32_e32 v39, 23, v10
	v_and_b32_e32 v23, 0, v23
	v_add3_u32 v58, v38, v53, v39
	v_bfe_u32 v38, v10, 20, 1
	v_add_u32_e32 v38, -1, v38
	v_cmp_eq_u64_e32 vcc, v[22:23], v[60:61]
	v_cndmask_b32_e32 v22, 0, v38, vcc
	v_add_u32_e32 v22, v22, v10
	v_and_b32_e32 v22, 0xfffff, v22
	v_add_co_u32_e32 v10, vcc, v22, v10
	v_add_u32_e32 v43, 6, v58
	v_addc_co_u32_e32 v11, vcc, 0, v11, vcc
	v_cmp_ne_u32_e32 vcc, 0, v43
                                        ; implicit-def: $vgpr53
	s_and_saveexec_b64 s[22:23], vcc
	s_xor_b64 s[22:23], exec, s[22:23]
; %bb.5288:                             ;   in Loop: Header=BB2_5054 Depth=2
	v_add_u32_e32 v22, 7, v58
	v_cmp_lt_u64_e32 vcc, s[44:45], v[10:11]
	v_cndmask_b32_e32 v53, v43, v22, vcc
	v_cndmask_b32_e64 v22, 0, 1, vcc
	v_lshrrev_b64 v[10:11], v22, v[10:11]
; %bb.5289:                             ;   in Loop: Header=BB2_5054 Depth=2
	s_andn2_saveexec_b64 s[22:23], s[22:23]
; %bb.5290:                             ;   in Loop: Header=BB2_5054 Depth=2
	v_bfe_u32 v53, v10, 23, 1
; %bb.5291:                             ;   in Loop: Header=BB2_5054 Depth=2
	s_or_b64 exec, exec, s[22:23]
	v_lshrrev_b64 v[10:11], 20, v[10:11]
	v_cmp_gt_i32_e32 vcc, 16, v53
	v_cndmask_b32_e32 v11, 0, v11, vcc
	v_cndmask_b32_e32 v10, 7, v10, vcc
	v_cmp_eq_u64_e64 s[22:23], 0, v[10:11]
	v_min_i32_e32 v11, 15, v53
	v_cmp_eq_u32_e32 vcc, 0, v53
	v_lshlrev_b32_e32 v11, 3, v11
	v_and_or_b32 v10, v10, 7, v11
	s_and_b64 s[22:23], vcc, s[22:23]
	v_cndmask_b32_e64 v10, v10, 0, s[22:23]
	v_or_b32_e32 v53, v10, v42
.LBB2_5292:                             ;   in Loop: Header=BB2_5054 Depth=2
	s_or_b64 exec, exec, s[58:59]
.LBB2_5293:                             ;   in Loop: Header=BB2_5054 Depth=2
	s_or_b64 exec, exec, s[56:57]
                                        ; implicit-def: $vgpr43
                                        ; implicit-def: $vgpr10_vgpr11
.LBB2_5294:                             ;   in Loop: Header=BB2_5054 Depth=2
	s_andn2_saveexec_b64 s[22:23], s[54:55]
; %bb.5295:                             ;   in Loop: Header=BB2_5054 Depth=2
	v_or_b32_sdwa v22, v43, s68 dst_sel:DWORD dst_unused:UNUSED_PAD src0_sel:BYTE_3 src1_sel:DWORD
	v_cmp_eq_u64_e32 vcc, 0, v[10:11]
	v_cndmask_b32_e32 v53, v22, v53, vcc
; %bb.5296:                             ;   in Loop: Header=BB2_5054 Depth=2
	s_or_b64 exec, exec, s[22:23]
	v_lshrrev_b16_e32 v10, 8, v16
	v_cmp_ne_u16_e32 vcc, 0, v10
	v_mov_b32_e32 v11, 0
	s_and_saveexec_b64 s[22:23], vcc
	s_cbranch_execz .LBB2_5302
; %bb.5297:                             ;   in Loop: Header=BB2_5054 Depth=2
	v_cmp_ne_u16_e32 vcc, s69, v10
	v_bfrev_b32_e32 v11, 1
	s_and_saveexec_b64 s[54:55], vcc
	s_cbranch_execz .LBB2_5301
; %bb.5298:                             ;   in Loop: Header=BB2_5054 Depth=2
	v_and_b32_e32 v42, 0x7f, v10
	v_cmp_ne_u32_e32 vcc, s68, v42
	v_mov_b32_e32 v11, 0x7f800001
	s_and_saveexec_b64 s[56:57], vcc
	s_cbranch_execz .LBB2_5300
; %bb.5299:                             ;   in Loop: Header=BB2_5054 Depth=2
	v_and_b32_e32 v22, 7, v10
	v_ffbh_u32_e32 v11, v22
	v_min_u32_e32 v38, 32, v11
	v_subrev_u32_e32 v11, 28, v38
	v_lshlrev_b64 v[10:11], v11, v[10:11]
	v_lshrrev_b32_e32 v23, 3, v42
	v_sub_u32_e32 v11, 29, v38
	v_and_b32_e32 v10, 7, v10
	v_cmp_gt_u32_e32 vcc, 8, v42
	v_cndmask_b32_e32 v11, v23, v11, vcc
	v_cndmask_b32_e32 v10, v22, v10, vcc
	v_lshlrev_b32_e32 v16, 16, v16
	v_lshlrev_b32_e32 v10, 20, v10
	v_and_b32_e32 v16, 0x80000000, v16
	v_lshl_add_u32 v11, v11, 23, v47
	v_or3_b32 v11, v16, v11, v10
.LBB2_5300:                             ;   in Loop: Header=BB2_5054 Depth=2
	s_or_b64 exec, exec, s[56:57]
.LBB2_5301:                             ;   in Loop: Header=BB2_5054 Depth=2
	s_or_b64 exec, exec, s[54:55]
.LBB2_5302:                             ;   in Loop: Header=BB2_5054 Depth=2
	s_or_b64 exec, exec, s[22:23]
	v_mul_f32_e32 v10, v7, v11
	v_and_b32_sdwa v43, v10, s69 dst_sel:DWORD dst_unused:UNUSED_PAD src0_sel:BYTE_3 src1_sel:DWORD
	v_and_b32_e32 v22, 0x7f800000, v10
	v_mov_b32_e32 v23, v17
	v_and_b32_e32 v16, 0x7fffff, v10
	v_or_b32_e32 v42, 0x7e, v43
	v_cmp_ne_u64_e32 vcc, s[38:39], v[22:23]
	s_and_saveexec_b64 s[22:23], vcc
	s_xor_b64 s[54:55], exec, s[22:23]
	s_cbranch_execz .LBB2_5312
; %bb.5303:                             ;   in Loop: Header=BB2_5054 Depth=2
	v_and_b32_e32 v22, 0x7fffffff, v10
	v_mov_b32_e32 v23, v17
	v_cmp_gt_u64_e32 vcc, s[40:41], v[22:23]
	s_and_saveexec_b64 s[56:57], vcc
	s_cbranch_execz .LBB2_5311
; %bb.5304:                             ;   in Loop: Header=BB2_5054 Depth=2
	v_cmp_ne_u32_e32 vcc, 0, v10
	v_mov_b32_e32 v42, 0
	s_and_saveexec_b64 s[58:59], vcc
	s_cbranch_execz .LBB2_5310
; %bb.5305:                             ;   in Loop: Header=BB2_5054 Depth=2
	v_bfe_u32 v10, v10, 23, 8
	v_sub_u32_e32 v22, 0x79, v10
	v_cmp_gt_u32_e32 vcc, s70, v10
	v_cndmask_b32_e32 v22, 0, v22, vcc
	v_cmp_eq_u32_e32 vcc, 0, v10
	v_cndmask_b32_e32 v39, v22, v57, vcc
	v_add_u32_e32 v11, 0xffffff81, v10
	v_or_b32_e32 v23, 0x800000, v16
	v_add_u32_e32 v10, 20, v39
	v_cndmask_b32_e32 v38, v11, v56, vcc
	v_cndmask_b32_e32 v16, v23, v16, vcc
	v_lshlrev_b64 v[10:11], v10, -1
	v_not_b32_e32 v10, v10
	v_lshrrev_b64 v[60:61], v39, v[16:17]
	v_not_b32_e32 v11, v11
	v_and_b32_e32 v10, v16, v10
	v_add_u32_e32 v22, 19, v39
	v_lshrrev_b32_e32 v16, 23, v60
	v_and_b32_e32 v11, 0, v11
	v_lshlrev_b64 v[22:23], v22, 1
	v_add3_u32 v58, v39, v38, v16
	v_bfe_u32 v16, v60, 20, 1
	v_add_u32_e32 v16, -1, v16
	v_cmp_eq_u64_e32 vcc, v[10:11], v[22:23]
	v_cndmask_b32_e32 v10, 0, v16, vcc
	v_add_u32_e32 v10, v10, v60
	v_and_b32_e32 v10, 0xfffff, v10
	v_add_co_u32_e32 v10, vcc, v10, v60
	v_add_u32_e32 v42, 6, v58
	v_addc_co_u32_e32 v11, vcc, 0, v61, vcc
	v_cmp_ne_u32_e32 vcc, 0, v42
                                        ; implicit-def: $vgpr16
	s_and_saveexec_b64 s[22:23], vcc
	s_xor_b64 s[22:23], exec, s[22:23]
; %bb.5306:                             ;   in Loop: Header=BB2_5054 Depth=2
	v_cmp_lt_u64_e32 vcc, s[44:45], v[10:11]
	v_add_u32_e32 v16, 7, v58
	v_cndmask_b32_e64 v22, 0, 1, vcc
	v_cndmask_b32_e32 v16, v42, v16, vcc
	v_lshrrev_b64 v[10:11], v22, v[10:11]
; %bb.5307:                             ;   in Loop: Header=BB2_5054 Depth=2
	s_andn2_saveexec_b64 s[22:23], s[22:23]
; %bb.5308:                             ;   in Loop: Header=BB2_5054 Depth=2
	v_bfe_u32 v16, v10, 23, 1
; %bb.5309:                             ;   in Loop: Header=BB2_5054 Depth=2
	s_or_b64 exec, exec, s[22:23]
	v_lshrrev_b64 v[10:11], 20, v[10:11]
	v_cmp_gt_i32_e32 vcc, 16, v16
	v_cndmask_b32_e32 v11, 0, v11, vcc
	v_cndmask_b32_e32 v10, 7, v10, vcc
	v_cmp_eq_u64_e64 s[22:23], 0, v[10:11]
	v_min_i32_e32 v11, 15, v16
	v_lshlrev_b32_e32 v11, 3, v11
	v_cmp_eq_u32_e32 vcc, 0, v16
	v_and_b32_e32 v11, 0xf8, v11
	v_and_or_b32 v10, v10, 7, v11
	s_and_b64 s[22:23], vcc, s[22:23]
	v_cndmask_b32_e64 v10, v10, 0, s[22:23]
	v_or_b32_e32 v42, v10, v43
.LBB2_5310:                             ;   in Loop: Header=BB2_5054 Depth=2
	s_or_b64 exec, exec, s[58:59]
.LBB2_5311:                             ;   in Loop: Header=BB2_5054 Depth=2
	s_or_b64 exec, exec, s[56:57]
                                        ; implicit-def: $vgpr10
.LBB2_5312:                             ;   in Loop: Header=BB2_5054 Depth=2
	s_andn2_saveexec_b64 s[22:23], s[54:55]
; %bb.5313:                             ;   in Loop: Header=BB2_5054 Depth=2
	v_or_b32_sdwa v10, v10, s68 dst_sel:DWORD dst_unused:UNUSED_PAD src0_sel:BYTE_3 src1_sel:DWORD
	v_cmp_eq_u64_e32 vcc, 0, v[16:17]
	v_cndmask_b32_e32 v42, v10, v42, vcc
; %bb.5314:                             ;   in Loop: Header=BB2_5054 Depth=2
	s_or_b64 exec, exec, s[22:23]
	v_lshrrev_b32_e32 v10, 16, v13
	v_cmp_ne_u16_sdwa vcc, v10, v17 src0_sel:BYTE_0 src1_sel:DWORD
	v_mov_b32_e32 v11, 0
	s_and_saveexec_b64 s[22:23], vcc
	s_cbranch_execz .LBB2_5320
; %bb.5315:                             ;   in Loop: Header=BB2_5054 Depth=2
	v_cmp_ne_u16_sdwa vcc, v10, s69 src0_sel:BYTE_0 src1_sel:DWORD
	v_bfrev_b32_e32 v11, 1
	s_and_saveexec_b64 s[54:55], vcc
	s_cbranch_execz .LBB2_5319
; %bb.5316:                             ;   in Loop: Header=BB2_5054 Depth=2
	v_bfe_u32 v16, v13, 16, 7
	v_cmp_ne_u32_e32 vcc, s68, v16
	v_mov_b32_e32 v11, 0x7f800001
	s_and_saveexec_b64 s[56:57], vcc
	s_cbranch_execz .LBB2_5318
; %bb.5317:                             ;   in Loop: Header=BB2_5054 Depth=2
	v_and_b32_e32 v11, 7, v10
	v_ffbh_u32_e32 v22, v11
	v_min_u32_e32 v39, 32, v22
	v_subrev_u32_e32 v22, 28, v39
	v_lshlrev_b64 v[22:23], v22, v[10:11]
	v_lshrrev_b32_e32 v38, 3, v16
	v_sub_u32_e32 v23, 29, v39
	v_and_b32_e32 v22, 7, v22
	v_cmp_gt_u32_e32 vcc, 8, v16
	v_cndmask_b32_e32 v16, v38, v23, vcc
	v_cndmask_b32_e32 v11, v11, v22, vcc
	v_lshlrev_b32_e32 v10, 24, v10
	v_lshlrev_b32_e32 v11, 20, v11
	v_and_b32_e32 v10, 0x80000000, v10
	v_lshl_add_u32 v16, v16, 23, v47
	v_or3_b32 v11, v10, v16, v11
.LBB2_5318:                             ;   in Loop: Header=BB2_5054 Depth=2
	s_or_b64 exec, exec, s[56:57]
.LBB2_5319:                             ;   in Loop: Header=BB2_5054 Depth=2
	s_or_b64 exec, exec, s[54:55]
.LBB2_5320:                             ;   in Loop: Header=BB2_5054 Depth=2
	s_or_b64 exec, exec, s[22:23]
	v_mul_f32_e32 v10, v7, v11
	v_and_b32_sdwa v58, v10, s69 dst_sel:DWORD dst_unused:UNUSED_PAD src0_sel:BYTE_3 src1_sel:DWORD
	v_and_b32_e32 v22, 0x7f800000, v10
	v_mov_b32_e32 v23, v17
	v_and_b32_e32 v16, 0x7fffff, v10
	v_or_b32_e32 v43, 0x7e, v58
	v_cmp_ne_u64_e32 vcc, s[38:39], v[22:23]
	s_and_saveexec_b64 s[22:23], vcc
	s_xor_b64 s[54:55], exec, s[22:23]
	s_cbranch_execz .LBB2_5330
; %bb.5321:                             ;   in Loop: Header=BB2_5054 Depth=2
	v_and_b32_e32 v22, 0x7fffffff, v10
	v_mov_b32_e32 v23, v17
	v_cmp_gt_u64_e32 vcc, s[40:41], v[22:23]
	s_and_saveexec_b64 s[56:57], vcc
	s_cbranch_execz .LBB2_5329
; %bb.5322:                             ;   in Loop: Header=BB2_5054 Depth=2
	v_cmp_ne_u32_e32 vcc, 0, v10
	v_mov_b32_e32 v43, 0
	s_and_saveexec_b64 s[58:59], vcc
	s_cbranch_execz .LBB2_5328
; %bb.5323:                             ;   in Loop: Header=BB2_5054 Depth=2
	v_bfe_u32 v10, v10, 23, 8
	v_sub_u32_e32 v22, 0x79, v10
	v_cmp_gt_u32_e32 vcc, s70, v10
	v_cndmask_b32_e32 v22, 0, v22, vcc
	v_cmp_eq_u32_e32 vcc, 0, v10
	v_cndmask_b32_e32 v46, v22, v57, vcc
	v_add_u32_e32 v11, 0xffffff81, v10
	v_or_b32_e32 v23, 0x800000, v16
	v_add_u32_e32 v10, 20, v46
	v_cndmask_b32_e32 v43, v11, v56, vcc
	v_cndmask_b32_e32 v16, v23, v16, vcc
	v_lshlrev_b64 v[10:11], v10, -1
	v_not_b32_e32 v10, v10
	v_lshrrev_b64 v[38:39], v46, v[16:17]
	v_not_b32_e32 v11, v11
	v_and_b32_e32 v10, v16, v10
	v_add_u32_e32 v22, 19, v46
	v_lshrrev_b32_e32 v16, 23, v38
	v_and_b32_e32 v11, 0, v11
	v_lshlrev_b64 v[22:23], v22, 1
	v_add3_u32 v60, v46, v43, v16
	v_bfe_u32 v16, v38, 20, 1
	v_add_u32_e32 v16, -1, v16
	v_cmp_eq_u64_e32 vcc, v[10:11], v[22:23]
	v_cndmask_b32_e32 v10, 0, v16, vcc
	v_add_u32_e32 v10, v10, v38
	v_and_b32_e32 v10, 0xfffff, v10
	v_add_co_u32_e32 v10, vcc, v10, v38
	v_add_u32_e32 v43, 6, v60
	v_addc_co_u32_e32 v11, vcc, 0, v39, vcc
	v_cmp_ne_u32_e32 vcc, 0, v43
                                        ; implicit-def: $vgpr16
	s_and_saveexec_b64 s[22:23], vcc
	s_xor_b64 s[22:23], exec, s[22:23]
; %bb.5324:                             ;   in Loop: Header=BB2_5054 Depth=2
	v_cmp_lt_u64_e32 vcc, s[44:45], v[10:11]
	v_add_u32_e32 v16, 7, v60
	v_cndmask_b32_e64 v22, 0, 1, vcc
	v_cndmask_b32_e32 v16, v43, v16, vcc
	v_lshrrev_b64 v[10:11], v22, v[10:11]
; %bb.5325:                             ;   in Loop: Header=BB2_5054 Depth=2
	s_andn2_saveexec_b64 s[22:23], s[22:23]
; %bb.5326:                             ;   in Loop: Header=BB2_5054 Depth=2
	v_bfe_u32 v16, v10, 23, 1
; %bb.5327:                             ;   in Loop: Header=BB2_5054 Depth=2
	s_or_b64 exec, exec, s[22:23]
	v_lshrrev_b64 v[10:11], 20, v[10:11]
	v_cmp_gt_i32_e32 vcc, 16, v16
	v_cndmask_b32_e32 v11, 0, v11, vcc
	v_cndmask_b32_e32 v10, 7, v10, vcc
	v_cmp_eq_u64_e64 s[22:23], 0, v[10:11]
	v_min_i32_e32 v11, 15, v16
	v_lshlrev_b32_e32 v11, 3, v11
	v_cmp_eq_u32_e32 vcc, 0, v16
	v_and_b32_e32 v11, 0xf8, v11
	v_and_or_b32 v10, v10, 7, v11
	s_and_b64 s[22:23], vcc, s[22:23]
	v_cndmask_b32_e64 v10, v10, 0, s[22:23]
	v_or_b32_e32 v43, v10, v58
.LBB2_5328:                             ;   in Loop: Header=BB2_5054 Depth=2
	s_or_b64 exec, exec, s[58:59]
.LBB2_5329:                             ;   in Loop: Header=BB2_5054 Depth=2
	s_or_b64 exec, exec, s[56:57]
                                        ; implicit-def: $vgpr10
.LBB2_5330:                             ;   in Loop: Header=BB2_5054 Depth=2
	s_andn2_saveexec_b64 s[22:23], s[54:55]
; %bb.5331:                             ;   in Loop: Header=BB2_5054 Depth=2
	v_or_b32_sdwa v10, v10, s68 dst_sel:DWORD dst_unused:UNUSED_PAD src0_sel:BYTE_3 src1_sel:DWORD
	v_cmp_eq_u64_e32 vcc, 0, v[16:17]
	v_cndmask_b32_e32 v43, v10, v43, vcc
; %bb.5332:                             ;   in Loop: Header=BB2_5054 Depth=2
	s_or_b64 exec, exec, s[22:23]
	v_cmp_lt_u64_e32 vcc, s[42:43], v[12:13]
	v_mov_b32_e32 v11, 0
	s_and_saveexec_b64 s[22:23], vcc
	s_cbranch_execz .LBB2_5338
; %bb.5333:                             ;   in Loop: Header=BB2_5054 Depth=2
	v_lshrrev_b32_e32 v10, 24, v13
	v_cmp_ne_u32_e32 vcc, s69, v10
	v_bfrev_b32_e32 v11, 1
	s_and_saveexec_b64 s[54:55], vcc
	s_cbranch_execz .LBB2_5337
; %bb.5334:                             ;   in Loop: Header=BB2_5054 Depth=2
	v_bfe_u32 v12, v13, 24, 7
	v_cmp_ne_u32_e32 vcc, s68, v12
	v_mov_b32_e32 v11, 0x7f800001
	s_and_saveexec_b64 s[56:57], vcc
	s_cbranch_execz .LBB2_5336
; %bb.5335:                             ;   in Loop: Header=BB2_5054 Depth=2
	v_and_b32_e32 v11, 7, v10
	v_ffbh_u32_e32 v16, v11
	v_min_u32_e32 v16, 32, v16
	v_subrev_u32_e32 v22, 28, v16
	v_lshlrev_b64 v[22:23], v22, v[10:11]
	v_lshrrev_b32_e32 v13, 3, v12
	v_sub_u32_e32 v16, 29, v16
	v_and_b32_e32 v22, 7, v22
	v_cmp_gt_u32_e32 vcc, 8, v12
	v_cndmask_b32_e32 v12, v13, v16, vcc
	v_cndmask_b32_e32 v11, v11, v22, vcc
	v_lshlrev_b32_e32 v10, 24, v10
	v_lshlrev_b32_e32 v11, 20, v11
	v_and_b32_e32 v10, 0x80000000, v10
	v_lshl_add_u32 v12, v12, 23, v47
	v_or3_b32 v11, v10, v12, v11
.LBB2_5336:                             ;   in Loop: Header=BB2_5054 Depth=2
	s_or_b64 exec, exec, s[56:57]
.LBB2_5337:                             ;   in Loop: Header=BB2_5054 Depth=2
	s_or_b64 exec, exec, s[54:55]
.LBB2_5338:                             ;   in Loop: Header=BB2_5054 Depth=2
	s_or_b64 exec, exec, s[22:23]
	v_mul_f32_e32 v11, v7, v11
	v_and_b32_sdwa v7, v11, s69 dst_sel:DWORD dst_unused:UNUSED_PAD src0_sel:BYTE_3 src1_sel:DWORD
	v_and_b32_e32 v12, 0x7f800000, v11
	v_mov_b32_e32 v13, v17
	v_and_b32_e32 v16, 0x7fffff, v11
	v_or_b32_e32 v10, 0x7e, v7
	v_cmp_ne_u64_e32 vcc, s[38:39], v[12:13]
	s_and_saveexec_b64 s[22:23], vcc
	s_xor_b64 s[54:55], exec, s[22:23]
	s_cbranch_execz .LBB2_5348
; %bb.5339:                             ;   in Loop: Header=BB2_5054 Depth=2
	v_and_b32_e32 v12, 0x7fffffff, v11
	v_mov_b32_e32 v13, v17
	v_cmp_gt_u64_e32 vcc, s[40:41], v[12:13]
	s_and_saveexec_b64 s[56:57], vcc
	s_cbranch_execz .LBB2_5347
; %bb.5340:                             ;   in Loop: Header=BB2_5054 Depth=2
	v_cmp_ne_u32_e32 vcc, 0, v11
	v_mov_b32_e32 v10, 0
	s_and_saveexec_b64 s[58:59], vcc
	s_cbranch_execz .LBB2_5346
; %bb.5341:                             ;   in Loop: Header=BB2_5054 Depth=2
	v_bfe_u32 v10, v11, 23, 8
	v_sub_u32_e32 v12, 0x79, v10
	v_cmp_gt_u32_e32 vcc, s70, v10
	v_cndmask_b32_e32 v12, 0, v12, vcc
	v_cmp_eq_u32_e32 vcc, 0, v10
	v_or_b32_e32 v13, 0x800000, v16
	v_cndmask_b32_e32 v12, v12, v57, vcc
	v_add_u32_e32 v11, 0xffffff81, v10
	v_cndmask_b32_e32 v16, v13, v16, vcc
	v_add_u32_e32 v10, 20, v12
	v_cndmask_b32_e32 v46, v11, v56, vcc
	v_lshlrev_b64 v[10:11], v10, -1
	v_add_u32_e32 v13, 19, v12
	v_lshrrev_b64 v[38:39], v12, v[16:17]
	v_not_b32_e32 v11, v11
	v_not_b32_e32 v10, v10
	v_lshlrev_b64 v[22:23], v13, 1
	v_lshrrev_b32_e32 v13, 23, v38
	v_and_b32_e32 v11, 0, v11
	v_and_b32_e32 v10, v16, v10
	v_add3_u32 v16, v12, v46, v13
	v_bfe_u32 v12, v38, 20, 1
	v_add_u32_e32 v12, -1, v12
	v_cmp_eq_u64_e32 vcc, v[10:11], v[22:23]
	v_cndmask_b32_e32 v10, 0, v12, vcc
	v_add_u32_e32 v10, v10, v38
	v_and_b32_e32 v10, 0xfffff, v10
	v_add_co_u32_e32 v10, vcc, v10, v38
	v_add_u32_e32 v13, 6, v16
	v_addc_co_u32_e32 v11, vcc, 0, v39, vcc
	v_cmp_ne_u32_e32 vcc, 0, v13
                                        ; implicit-def: $vgpr12
	s_and_saveexec_b64 s[22:23], vcc
	s_xor_b64 s[22:23], exec, s[22:23]
; %bb.5342:                             ;   in Loop: Header=BB2_5054 Depth=2
	v_add_u32_e32 v12, 7, v16
	v_cmp_lt_u64_e32 vcc, s[44:45], v[10:11]
	v_cndmask_b32_e32 v12, v13, v12, vcc
	v_cndmask_b32_e64 v13, 0, 1, vcc
	v_lshrrev_b64 v[10:11], v13, v[10:11]
; %bb.5343:                             ;   in Loop: Header=BB2_5054 Depth=2
	s_andn2_saveexec_b64 s[22:23], s[22:23]
; %bb.5344:                             ;   in Loop: Header=BB2_5054 Depth=2
	v_bfe_u32 v12, v10, 23, 1
; %bb.5345:                             ;   in Loop: Header=BB2_5054 Depth=2
	s_or_b64 exec, exec, s[22:23]
	v_lshrrev_b64 v[10:11], 20, v[10:11]
	v_cmp_gt_i32_e32 vcc, 16, v12
	v_cndmask_b32_e32 v11, 0, v11, vcc
	v_cndmask_b32_e32 v10, 7, v10, vcc
	v_cmp_eq_u64_e64 s[22:23], 0, v[10:11]
	v_min_i32_e32 v11, 15, v12
	v_lshlrev_b32_e32 v11, 3, v11
	v_cmp_eq_u32_e32 vcc, 0, v12
	v_and_b32_e32 v11, 0xf8, v11
	v_and_or_b32 v10, v10, 7, v11
	s_and_b64 s[22:23], vcc, s[22:23]
	v_cndmask_b32_e64 v10, v10, 0, s[22:23]
	v_or_b32_e32 v10, v10, v7
.LBB2_5346:                             ;   in Loop: Header=BB2_5054 Depth=2
	s_or_b64 exec, exec, s[58:59]
.LBB2_5347:                             ;   in Loop: Header=BB2_5054 Depth=2
	s_or_b64 exec, exec, s[56:57]
                                        ; implicit-def: $vgpr11
.LBB2_5348:                             ;   in Loop: Header=BB2_5054 Depth=2
	s_andn2_saveexec_b64 s[22:23], s[54:55]
	s_cbranch_execz .LBB2_5053
; %bb.5349:                             ;   in Loop: Header=BB2_5054 Depth=2
	v_or_b32_sdwa v7, v11, s68 dst_sel:DWORD dst_unused:UNUSED_PAD src0_sel:BYTE_3 src1_sel:DWORD
	v_cmp_eq_u64_e32 vcc, 0, v[16:17]
	v_cndmask_b32_e32 v10, v7, v10, vcc
	s_branch .LBB2_5053
.LBB2_5350:                             ;   in Loop: Header=BB2_4981 Depth=1
	s_or_b64 exec, exec, s[52:53]
.LBB2_5351:                             ;   in Loop: Header=BB2_4981 Depth=1
	s_or_b64 exec, exec, s[50:51]
	v_and_b32_e32 v2, 15, v51
	v_cndmask_b32_e64 v0, v4, v2, s[20:21]
	v_cmp_ne_u32_e32 vcc, 0, v0
	s_mov_b64 s[50:51], 0
	v_mov_b32_e32 v1, 0
                                        ; implicit-def: $vgpr6
	s_and_saveexec_b64 s[22:23], vcc
	s_cbranch_execz .LBB2_5653
; %bb.5352:                             ;   in Loop: Header=BB2_4981 Depth=1
	v_sub_u32_e32 v2, v4, v2
	v_cmp_lt_i32_e32 vcc, 0, v5
	v_cndmask_b32_e64 v4, 0, v2, s[20:21]
	v_cndmask_b32_e32 v2, 0, v14, vcc
	v_sub_u32_e32 v2, v2, v5
	v_lshl_add_u32 v2, v2, 6, v18
	v_ashrrev_i32_e32 v3, 31, v2
	v_lshrrev_b32_e32 v3, 26, v3
	v_add_u32_e32 v3, v2, v3
	v_ashrrev_i32_e32 v7, 6, v3
	v_and_b32_e32 v3, 0xffffffc0, v3
	v_sub_u32_e32 v6, v2, v3
	v_lshlrev_b32_e32 v2, 4, v6
	v_lshl_add_u32 v9, v7, 10, v2
	v_sub_u32_e32 v5, 0, v7
	v_sub_u32_e32 v7, v0, v9
	v_and_b32_e32 v1, 0x3ffffc00, v51
	v_cmp_lt_i32_e32 vcc, 15, v7
	s_and_saveexec_b64 s[50:51], vcc
	s_cbranch_execz .LBB2_5652
; %bb.5353:                             ;   in Loop: Header=BB2_4981 Depth=1
	s_trap 2
	ds_read_b64 v[2:3], v0
	v_add3_u32 v54, v4, v1, v9
	v_ashrrev_i32_e32 v25, 31, v54
	s_waitcnt lgkmcnt(0)
	v_readfirstlane_b32 s20, v2
	s_and_b32 s21, s20, 7
	s_flbit_i32_b32 s21, s21
	s_min_u32 s21, s21, 32
	s_and_b32 vcc_lo, s20, 0x7f
	s_bfe_u32 vcc_hi, s20, 0x40003
	s_sub_i32 s52, s21, 28
	s_sub_i32 s21, 29, s21
	s_cmp_lt_u32 vcc_lo, 8
	s_cselect_b32 s21, s21, vcc_hi
	s_cselect_b32 vcc_hi, s52, 0
	s_lshl_b32 s20, s20, 24
	s_lshl_b32 s21, s21, 23
	v_lshlrev_b64 v[10:11], vcc_hi, v[2:3]
	s_and_b32 s20, s20, 0x80000000
	s_add_i32 s21, s21, 0x3c000000
	v_lshlrev_b32_e32 v8, 20, v10
	s_or_b32 s20, s20, s21
	v_and_b32_e32 v8, 0x700000, v8
	s_cmpk_lg_i32 vcc_lo, 0x7f
	v_or_b32_e32 v8, s20, v8
	s_cselect_b64 vcc, -1, 0
	v_mov_b32_e32 v10, 0x7f800001
	v_cndmask_b32_e32 v8, v10, v8, vcc
	s_mov_b64 s[52:53], 0
	s_branch .LBB2_5355
.LBB2_5354:                             ;   in Loop: Header=BB2_5355 Depth=2
	s_or_b64 exec, exec, s[20:21]
	v_lshlrev_b32_e32 v11, 16, v34
	v_perm_b32 v12, v24, v33, s71
	v_lshlrev_b32_e32 v13, 24, v35
	v_or3_b32 v33, v11, v12, v13
	v_and_b32_e32 v11, 0xff, v27
	v_lshlrev_b32_e32 v13, 8, v26
	v_lshlrev_b32_e32 v12, 24, v32
	;; [unrolled: 1-line block ×3, first 2 shown]
	v_perm_b32 v9, v13, v9, s72
	v_or3_b32 v32, v12, v11, v9
	v_and_b32_e32 v9, 0xff, v42
	v_lshlrev_b32_e32 v12, 8, v55
	v_sub_u32_e32 v7, v7, v21
	v_lshlrev_b32_e32 v11, 24, v43
	v_lshlrev_b32_e32 v9, 16, v9
	v_perm_b32 v12, v12, v53, s72
	v_cmp_gt_i32_e32 vcc, 16, v7
	v_or3_b32 v34, v11, v9, v12
	v_perm_b32 v9, v60, v58, s71
	v_lshlrev_b32_e32 v10, 24, v10
	v_lshlrev_b32_e32 v11, 16, v61
	s_or_b64 s[52:53], vcc, s[52:53]
	v_add_co_u32_e32 v54, vcc, v54, v31
	v_or3_b32 v35, v11, v9, v10
	v_sub_u32_e32 v5, v5, v14
	v_addc_co_u32_e32 v25, vcc, v25, v36, vcc
	global_store_dwordx4 v[40:41], v[32:35], off glc slc
	s_andn2_b64 exec, exec, s[52:53]
	s_cbranch_execz .LBB2_5651
.LBB2_5355:                             ;   Parent Loop BB2_4981 Depth=1
                                        ; =>  This Inner Loop Header: Depth=2
	v_cmp_lt_i16_sdwa s[20:21], v2, s69 src0_sel:BYTE_0 src1_sel:DWORD
	s_and_b64 vcc, exec, s[20:21]
	s_cbranch_vccnz .LBB2_5359
; %bb.5356:                             ;   in Loop: Header=BB2_5355 Depth=2
	v_cmp_eq_u16_sdwa vcc, v2, s69 src0_sel:BYTE_0 src1_sel:DWORD
	s_mov_b64 s[20:21], -1
	s_and_b64 vcc, exec, vcc
                                        ; implicit-def: $sgpr54
	s_cbranch_vccz .LBB2_5358
; %bb.5357:                             ;   in Loop: Header=BB2_5355 Depth=2
	s_mov_b64 s[20:21], 0
	s_brev_b32 s54, 1
.LBB2_5358:                             ;   in Loop: Header=BB2_5355 Depth=2
	s_branch .LBB2_5361
.LBB2_5359:                             ;   in Loop: Header=BB2_5355 Depth=2
	s_mov_b64 s[20:21], 0
                                        ; implicit-def: $sgpr54
	s_cbranch_execz .LBB2_5361
; %bb.5360:                             ;   in Loop: Header=BB2_5355 Depth=2
	v_cmp_ne_u16_sdwa s[20:21], v2, v17 src0_sel:BYTE_0 src1_sel:DWORD
	s_mov_b32 s54, 0
.LBB2_5361:                             ;   in Loop: Header=BB2_5355 Depth=2
	s_andn2_b64 vcc, exec, s[20:21]
	v_mov_b32_e32 v19, s54
	s_cbranch_vccnz .LBB2_5363
; %bb.5362:                             ;   in Loop: Header=BB2_5355 Depth=2
	v_mov_b32_e32 v19, v8
.LBB2_5363:                             ;   in Loop: Header=BB2_5355 Depth=2
	v_add_co_u32_e32 v40, vcc, v2, v54
	v_addc_co_u32_e32 v41, vcc, v3, v25, vcc
	global_load_dwordx4 v[10:13], v[40:41], off glc slc
	v_mov_b32_e32 v9, 0
	s_waitcnt vmcnt(0)
	v_cmp_ne_u16_sdwa vcc, v10, v17 src0_sel:BYTE_0 src1_sel:DWORD
	s_and_saveexec_b64 s[20:21], vcc
	s_cbranch_execz .LBB2_5369
; %bb.5364:                             ;   in Loop: Header=BB2_5355 Depth=2
	v_cmp_ne_u16_sdwa vcc, v10, s69 src0_sel:BYTE_0 src1_sel:DWORD
	v_bfrev_b32_e32 v9, 1
	s_and_saveexec_b64 s[54:55], vcc
	s_cbranch_execz .LBB2_5368
; %bb.5365:                             ;   in Loop: Header=BB2_5355 Depth=2
	v_and_b32_e32 v16, 0x7f, v10
	v_cmp_ne_u32_e32 vcc, s68, v16
	v_mov_b32_e32 v9, 0x7f800001
	s_and_saveexec_b64 s[56:57], vcc
	s_cbranch_execz .LBB2_5367
; %bb.5366:                             ;   in Loop: Header=BB2_5355 Depth=2
	v_and_b32_e32 v9, 7, v10
	v_ffbh_u32_e32 v9, v9
	v_min_u32_e32 v9, 32, v9
	v_subrev_u32_e32 v23, 28, v9
	v_cmp_gt_u32_e32 vcc, 8, v16
	v_lshrrev_b32_e32 v22, 3, v16
	v_sub_u32_e32 v9, 29, v9
	v_cndmask_b32_e32 v16, 0, v23, vcc
	v_cndmask_b32_e32 v9, v22, v9, vcc
	v_lshlrev_b64 v[22:23], v16, v[10:11]
	v_lshlrev_b32_e32 v16, 20, v22
	v_lshlrev_b32_e32 v22, 24, v10
	v_and_b32_e32 v16, 0x700000, v16
	v_and_b32_e32 v22, 0x80000000, v22
	v_lshl_add_u32 v9, v9, 23, v47
	v_or3_b32 v9, v22, v9, v16
.LBB2_5367:                             ;   in Loop: Header=BB2_5355 Depth=2
	s_or_b64 exec, exec, s[56:57]
.LBB2_5368:                             ;   in Loop: Header=BB2_5355 Depth=2
	s_or_b64 exec, exec, s[54:55]
.LBB2_5369:                             ;   in Loop: Header=BB2_5355 Depth=2
	s_or_b64 exec, exec, s[20:21]
	v_mul_f32_e32 v26, v19, v9
	v_and_b32_sdwa v24, v26, s69 dst_sel:DWORD dst_unused:UNUSED_PAD src0_sel:BYTE_3 src1_sel:DWORD
	v_and_b32_e32 v22, 0x7f800000, v26
	v_mov_b32_e32 v23, v17
	v_and_b32_e32 v16, 0x7fffff, v26
	v_or_b32_e32 v9, 0x7e, v24
	v_cmp_ne_u64_e32 vcc, s[38:39], v[22:23]
	s_and_saveexec_b64 s[20:21], vcc
	s_xor_b64 s[54:55], exec, s[20:21]
	s_cbranch_execz .LBB2_5379
; %bb.5370:                             ;   in Loop: Header=BB2_5355 Depth=2
	v_and_b32_e32 v22, 0x7fffffff, v26
	v_mov_b32_e32 v23, v17
	v_cmp_gt_u64_e32 vcc, s[40:41], v[22:23]
	s_and_saveexec_b64 s[56:57], vcc
	s_cbranch_execz .LBB2_5378
; %bb.5371:                             ;   in Loop: Header=BB2_5355 Depth=2
	v_cmp_ne_u32_e32 vcc, 0, v26
	v_mov_b32_e32 v9, 0
	s_and_saveexec_b64 s[58:59], vcc
	s_cbranch_execz .LBB2_5377
; %bb.5372:                             ;   in Loop: Header=BB2_5355 Depth=2
	v_bfe_u32 v9, v26, 23, 8
	v_sub_u32_e32 v23, 0x79, v9
	v_cmp_gt_u32_e32 vcc, s70, v9
	v_cndmask_b32_e32 v23, 0, v23, vcc
	v_cmp_eq_u32_e32 vcc, 0, v9
	v_add_u32_e32 v22, 0xffffff81, v9
	v_cndmask_b32_e32 v27, v23, v57, vcc
	v_or_b32_e32 v26, 0x800000, v16
	v_cndmask_b32_e32 v9, v22, v56, vcc
	v_add_u32_e32 v22, 20, v27
	v_cndmask_b32_e32 v16, v26, v16, vcc
	v_lshlrev_b64 v[22:23], v22, -1
	v_not_b32_e32 v22, v22
	v_lshrrev_b64 v[34:35], v27, v[16:17]
	v_not_b32_e32 v23, v23
	v_and_b32_e32 v22, v16, v22
	v_add_u32_e32 v26, 19, v27
	v_lshrrev_b32_e32 v16, 23, v34
	v_and_b32_e32 v23, 0, v23
	v_lshlrev_b64 v[32:33], v26, 1
	v_add3_u32 v26, v27, v9, v16
	v_bfe_u32 v9, v34, 20, 1
	v_add_u32_e32 v9, -1, v9
	v_cmp_eq_u64_e32 vcc, v[22:23], v[32:33]
	v_cndmask_b32_e32 v9, 0, v9, vcc
	v_add_u32_e32 v9, v9, v34
	v_and_b32_e32 v9, 0xfffff, v9
	v_add_co_u32_e32 v42, vcc, v9, v34
	v_add_u32_e32 v16, 6, v26
	v_addc_co_u32_e32 v43, vcc, 0, v35, vcc
	v_cmp_ne_u32_e32 vcc, 0, v16
                                        ; implicit-def: $vgpr9
	s_and_saveexec_b64 s[20:21], vcc
	s_xor_b64 s[20:21], exec, s[20:21]
; %bb.5373:                             ;   in Loop: Header=BB2_5355 Depth=2
	v_add_u32_e32 v9, 7, v26
	v_cmp_lt_u64_e32 vcc, s[44:45], v[42:43]
	v_cndmask_b32_e32 v9, v16, v9, vcc
	v_cndmask_b32_e64 v16, 0, 1, vcc
	v_lshrrev_b64 v[42:43], v16, v[42:43]
; %bb.5374:                             ;   in Loop: Header=BB2_5355 Depth=2
	s_andn2_saveexec_b64 s[20:21], s[20:21]
; %bb.5375:                             ;   in Loop: Header=BB2_5355 Depth=2
	v_bfe_u32 v9, v42, 23, 1
; %bb.5376:                             ;   in Loop: Header=BB2_5355 Depth=2
	s_or_b64 exec, exec, s[20:21]
	v_lshrrev_b64 v[22:23], 20, v[42:43]
	v_cmp_gt_i32_e32 vcc, 16, v9
	v_cndmask_b32_e32 v23, 0, v23, vcc
	v_cndmask_b32_e32 v22, 7, v22, vcc
	v_cmp_eq_u32_e32 vcc, 0, v9
	v_min_i32_e32 v9, 15, v9
	v_cmp_eq_u64_e64 s[20:21], 0, v[22:23]
	v_lshlrev_b32_e32 v9, 3, v9
	v_and_or_b32 v9, v22, 7, v9
	s_and_b64 s[20:21], vcc, s[20:21]
	v_cndmask_b32_e64 v9, v9, 0, s[20:21]
	v_or_b32_e32 v9, v9, v24
.LBB2_5377:                             ;   in Loop: Header=BB2_5355 Depth=2
	s_or_b64 exec, exec, s[58:59]
.LBB2_5378:                             ;   in Loop: Header=BB2_5355 Depth=2
	s_or_b64 exec, exec, s[56:57]
                                        ; implicit-def: $vgpr26
.LBB2_5379:                             ;   in Loop: Header=BB2_5355 Depth=2
	s_andn2_saveexec_b64 s[20:21], s[54:55]
; %bb.5380:                             ;   in Loop: Header=BB2_5355 Depth=2
	v_or_b32_sdwa v22, v26, s68 dst_sel:DWORD dst_unused:UNUSED_PAD src0_sel:BYTE_3 src1_sel:DWORD
	v_cmp_eq_u64_e32 vcc, 0, v[16:17]
	v_cndmask_b32_e32 v9, v22, v9, vcc
; %bb.5381:                             ;   in Loop: Header=BB2_5355 Depth=2
	s_or_b64 exec, exec, s[20:21]
	v_lshrrev_b16_e32 v16, 8, v10
	v_cmp_ne_u16_e32 vcc, 0, v16
	v_mov_b32_e32 v24, 0
	s_and_saveexec_b64 s[20:21], vcc
	s_cbranch_execz .LBB2_5387
; %bb.5382:                             ;   in Loop: Header=BB2_5355 Depth=2
	v_cmp_ne_u16_e32 vcc, s69, v16
	v_bfrev_b32_e32 v24, 1
	s_and_saveexec_b64 s[54:55], vcc
	s_cbranch_execz .LBB2_5386
; %bb.5383:                             ;   in Loop: Header=BB2_5355 Depth=2
	v_and_b32_e32 v26, 0x7f, v16
	v_cmp_ne_u32_e32 vcc, s68, v26
	v_mov_b32_e32 v24, 0x7f800001
	s_and_saveexec_b64 s[56:57], vcc
	s_cbranch_execz .LBB2_5385
; %bb.5384:                             ;   in Loop: Header=BB2_5355 Depth=2
	v_and_b32_e32 v24, 7, v16
	v_ffbh_u32_e32 v22, v24
	v_min_u32_e32 v32, 32, v22
	v_subrev_u32_e32 v22, 28, v32
	v_lshlrev_b64 v[22:23], v22, v[16:17]
	v_lshrrev_b32_e32 v27, 3, v26
	v_sub_u32_e32 v16, 29, v32
	v_and_b32_e32 v22, 7, v22
	v_cmp_gt_u32_e32 vcc, 8, v26
	v_cndmask_b32_e32 v16, v27, v16, vcc
	v_cndmask_b32_e32 v22, v24, v22, vcc
	v_lshlrev_b32_e32 v23, 16, v10
	v_lshlrev_b32_e32 v22, 20, v22
	v_and_b32_e32 v23, 0x80000000, v23
	v_lshl_add_u32 v16, v16, 23, v47
	v_or3_b32 v24, v23, v16, v22
.LBB2_5385:                             ;   in Loop: Header=BB2_5355 Depth=2
	s_or_b64 exec, exec, s[56:57]
.LBB2_5386:                             ;   in Loop: Header=BB2_5355 Depth=2
	s_or_b64 exec, exec, s[54:55]
.LBB2_5387:                             ;   in Loop: Header=BB2_5355 Depth=2
	s_or_b64 exec, exec, s[20:21]
	v_mul_f32_e32 v27, v19, v24
	v_and_b32_sdwa v24, v27, s69 dst_sel:DWORD dst_unused:UNUSED_PAD src0_sel:BYTE_3 src1_sel:DWORD
	v_and_b32_e32 v22, 0x7f800000, v27
	v_mov_b32_e32 v23, v17
	v_and_b32_e32 v16, 0x7fffff, v27
	v_or_b32_e32 v26, 0x7e, v24
	v_cmp_ne_u64_e32 vcc, s[38:39], v[22:23]
	s_and_saveexec_b64 s[20:21], vcc
	s_xor_b64 s[54:55], exec, s[20:21]
	s_cbranch_execz .LBB2_5397
; %bb.5388:                             ;   in Loop: Header=BB2_5355 Depth=2
	v_and_b32_e32 v22, 0x7fffffff, v27
	v_mov_b32_e32 v23, v17
	v_cmp_gt_u64_e32 vcc, s[40:41], v[22:23]
	s_and_saveexec_b64 s[56:57], vcc
	s_cbranch_execz .LBB2_5396
; %bb.5389:                             ;   in Loop: Header=BB2_5355 Depth=2
	v_cmp_ne_u32_e32 vcc, 0, v27
	v_mov_b32_e32 v26, 0
	s_and_saveexec_b64 s[58:59], vcc
	s_cbranch_execz .LBB2_5395
; %bb.5390:                             ;   in Loop: Header=BB2_5355 Depth=2
	v_bfe_u32 v22, v27, 23, 8
	v_sub_u32_e32 v26, 0x79, v22
	v_cmp_gt_u32_e32 vcc, s70, v22
	v_cndmask_b32_e32 v26, 0, v26, vcc
	v_cmp_eq_u32_e32 vcc, 0, v22
	v_cndmask_b32_e32 v26, v26, v57, vcc
	v_add_u32_e32 v23, 0xffffff81, v22
	v_or_b32_e32 v27, 0x800000, v16
	v_add_u32_e32 v22, 20, v26
	v_cndmask_b32_e32 v38, v23, v56, vcc
	v_cndmask_b32_e32 v16, v27, v16, vcc
	v_lshlrev_b64 v[22:23], v22, -1
	v_not_b32_e32 v22, v22
	v_lshrrev_b64 v[34:35], v26, v[16:17]
	v_not_b32_e32 v23, v23
	v_and_b32_e32 v22, v16, v22
	v_add_u32_e32 v27, 19, v26
	v_lshrrev_b32_e32 v16, 23, v34
	v_and_b32_e32 v23, 0, v23
	v_lshlrev_b64 v[32:33], v27, 1
	v_add3_u32 v27, v26, v38, v16
	v_bfe_u32 v16, v34, 20, 1
	v_add_u32_e32 v16, -1, v16
	v_cmp_eq_u64_e32 vcc, v[22:23], v[32:33]
	v_cndmask_b32_e32 v16, 0, v16, vcc
	v_add_u32_e32 v16, v16, v34
	v_and_b32_e32 v16, 0xfffff, v16
	v_add_co_u32_e32 v42, vcc, v16, v34
	v_add_u32_e32 v26, 6, v27
	v_addc_co_u32_e32 v43, vcc, 0, v35, vcc
	v_cmp_ne_u32_e32 vcc, 0, v26
                                        ; implicit-def: $vgpr16
	s_and_saveexec_b64 s[20:21], vcc
	s_xor_b64 s[20:21], exec, s[20:21]
; %bb.5391:                             ;   in Loop: Header=BB2_5355 Depth=2
	v_cmp_lt_u64_e32 vcc, s[44:45], v[42:43]
	v_add_u32_e32 v16, 7, v27
	v_cndmask_b32_e64 v22, 0, 1, vcc
	v_cndmask_b32_e32 v16, v26, v16, vcc
	v_lshrrev_b64 v[42:43], v22, v[42:43]
; %bb.5392:                             ;   in Loop: Header=BB2_5355 Depth=2
	s_andn2_saveexec_b64 s[20:21], s[20:21]
; %bb.5393:                             ;   in Loop: Header=BB2_5355 Depth=2
	v_bfe_u32 v16, v42, 23, 1
; %bb.5394:                             ;   in Loop: Header=BB2_5355 Depth=2
	s_or_b64 exec, exec, s[20:21]
	v_lshrrev_b64 v[22:23], 20, v[42:43]
	v_cmp_gt_i32_e32 vcc, 16, v16
	v_cndmask_b32_e32 v23, 0, v23, vcc
	v_cndmask_b32_e32 v22, 7, v22, vcc
	v_cmp_eq_u32_e32 vcc, 0, v16
	v_min_i32_e32 v16, 15, v16
	v_cmp_eq_u64_e64 s[20:21], 0, v[22:23]
	v_lshlrev_b32_e32 v16, 3, v16
	v_and_or_b32 v16, v22, 7, v16
	s_and_b64 s[20:21], vcc, s[20:21]
	v_cndmask_b32_e64 v16, v16, 0, s[20:21]
	v_or_b32_e32 v26, v16, v24
.LBB2_5395:                             ;   in Loop: Header=BB2_5355 Depth=2
	s_or_b64 exec, exec, s[58:59]
.LBB2_5396:                             ;   in Loop: Header=BB2_5355 Depth=2
	s_or_b64 exec, exec, s[56:57]
                                        ; implicit-def: $vgpr27
.LBB2_5397:                             ;   in Loop: Header=BB2_5355 Depth=2
	s_andn2_saveexec_b64 s[20:21], s[54:55]
; %bb.5398:                             ;   in Loop: Header=BB2_5355 Depth=2
	v_or_b32_sdwa v22, v27, s68 dst_sel:DWORD dst_unused:UNUSED_PAD src0_sel:BYTE_3 src1_sel:DWORD
	v_cmp_eq_u64_e32 vcc, 0, v[16:17]
	v_cndmask_b32_e32 v26, v22, v26, vcc
; %bb.5399:                             ;   in Loop: Header=BB2_5355 Depth=2
	s_or_b64 exec, exec, s[20:21]
	v_lshrrev_b32_e32 v16, 16, v10
	v_cmp_ne_u16_sdwa vcc, v16, v17 src0_sel:BYTE_0 src1_sel:DWORD
	v_mov_b32_e32 v24, 0
	s_and_saveexec_b64 s[20:21], vcc
	s_cbranch_execz .LBB2_5405
; %bb.5400:                             ;   in Loop: Header=BB2_5355 Depth=2
	v_cmp_ne_u16_sdwa vcc, v16, s69 src0_sel:BYTE_0 src1_sel:DWORD
	v_bfrev_b32_e32 v24, 1
	s_and_saveexec_b64 s[54:55], vcc
	s_cbranch_execz .LBB2_5404
; %bb.5401:                             ;   in Loop: Header=BB2_5355 Depth=2
	v_bfe_u32 v27, v10, 16, 7
	v_cmp_ne_u32_e32 vcc, s68, v27
	v_mov_b32_e32 v24, 0x7f800001
	s_and_saveexec_b64 s[56:57], vcc
	s_cbranch_execz .LBB2_5403
; %bb.5402:                             ;   in Loop: Header=BB2_5355 Depth=2
	v_and_b32_e32 v24, 7, v16
	v_ffbh_u32_e32 v22, v24
	v_min_u32_e32 v33, 32, v22
	v_subrev_u32_e32 v22, 28, v33
	v_lshlrev_b64 v[22:23], v22, v[16:17]
	v_lshrrev_b32_e32 v32, 3, v27
	v_sub_u32_e32 v23, 29, v33
	v_and_b32_e32 v22, 7, v22
	v_cmp_gt_u32_e32 vcc, 8, v27
	v_cndmask_b32_e32 v23, v32, v23, vcc
	v_cndmask_b32_e32 v22, v24, v22, vcc
	v_lshlrev_b32_e32 v16, 24, v16
	v_lshlrev_b32_e32 v22, 20, v22
	v_and_b32_e32 v16, 0x80000000, v16
	v_lshl_add_u32 v23, v23, 23, v47
	v_or3_b32 v24, v16, v23, v22
.LBB2_5403:                             ;   in Loop: Header=BB2_5355 Depth=2
	s_or_b64 exec, exec, s[56:57]
.LBB2_5404:                             ;   in Loop: Header=BB2_5355 Depth=2
	s_or_b64 exec, exec, s[54:55]
.LBB2_5405:                             ;   in Loop: Header=BB2_5355 Depth=2
	s_or_b64 exec, exec, s[20:21]
	v_mul_f32_e32 v32, v19, v24
	v_and_b32_sdwa v24, v32, s69 dst_sel:DWORD dst_unused:UNUSED_PAD src0_sel:BYTE_3 src1_sel:DWORD
	v_and_b32_e32 v22, 0x7f800000, v32
	v_mov_b32_e32 v23, v17
	v_and_b32_e32 v16, 0x7fffff, v32
	v_or_b32_e32 v27, 0x7e, v24
	v_cmp_ne_u64_e32 vcc, s[38:39], v[22:23]
	s_and_saveexec_b64 s[20:21], vcc
	s_xor_b64 s[54:55], exec, s[20:21]
	s_cbranch_execz .LBB2_5415
; %bb.5406:                             ;   in Loop: Header=BB2_5355 Depth=2
	v_and_b32_e32 v22, 0x7fffffff, v32
	v_mov_b32_e32 v23, v17
	v_cmp_gt_u64_e32 vcc, s[40:41], v[22:23]
	s_and_saveexec_b64 s[56:57], vcc
	s_cbranch_execz .LBB2_5414
; %bb.5407:                             ;   in Loop: Header=BB2_5355 Depth=2
	v_cmp_ne_u32_e32 vcc, 0, v32
	v_mov_b32_e32 v27, 0
	s_and_saveexec_b64 s[58:59], vcc
	s_cbranch_execz .LBB2_5413
; %bb.5408:                             ;   in Loop: Header=BB2_5355 Depth=2
	v_bfe_u32 v22, v32, 23, 8
	v_sub_u32_e32 v27, 0x79, v22
	v_cmp_gt_u32_e32 vcc, s70, v22
	v_cndmask_b32_e32 v27, 0, v27, vcc
	v_cmp_eq_u32_e32 vcc, 0, v22
	v_cndmask_b32_e32 v27, v27, v57, vcc
	v_add_u32_e32 v23, 0xffffff81, v22
	v_or_b32_e32 v32, 0x800000, v16
	v_add_u32_e32 v22, 20, v27
	v_cndmask_b32_e32 v33, v23, v56, vcc
	v_cndmask_b32_e32 v16, v32, v16, vcc
	v_lshlrev_b64 v[22:23], v22, -1
	v_not_b32_e32 v22, v22
	v_lshrrev_b64 v[38:39], v27, v[16:17]
	v_not_b32_e32 v23, v23
	v_and_b32_e32 v22, v16, v22
	v_add_u32_e32 v32, 19, v27
	v_lshrrev_b32_e32 v16, 23, v38
	v_and_b32_e32 v23, 0, v23
	v_lshlrev_b64 v[34:35], v32, 1
	v_add3_u32 v32, v27, v33, v16
	v_bfe_u32 v16, v38, 20, 1
	v_add_u32_e32 v16, -1, v16
	v_cmp_eq_u64_e32 vcc, v[22:23], v[34:35]
	v_cndmask_b32_e32 v16, 0, v16, vcc
	v_add_u32_e32 v16, v16, v38
	v_and_b32_e32 v16, 0xfffff, v16
	v_add_co_u32_e32 v42, vcc, v16, v38
	v_add_u32_e32 v27, 6, v32
	v_addc_co_u32_e32 v43, vcc, 0, v39, vcc
	v_cmp_ne_u32_e32 vcc, 0, v27
                                        ; implicit-def: $vgpr16
	s_and_saveexec_b64 s[20:21], vcc
	s_xor_b64 s[20:21], exec, s[20:21]
; %bb.5409:                             ;   in Loop: Header=BB2_5355 Depth=2
	v_cmp_lt_u64_e32 vcc, s[44:45], v[42:43]
	v_add_u32_e32 v16, 7, v32
	v_cndmask_b32_e64 v22, 0, 1, vcc
	v_cndmask_b32_e32 v16, v27, v16, vcc
	v_lshrrev_b64 v[42:43], v22, v[42:43]
; %bb.5410:                             ;   in Loop: Header=BB2_5355 Depth=2
	s_andn2_saveexec_b64 s[20:21], s[20:21]
; %bb.5411:                             ;   in Loop: Header=BB2_5355 Depth=2
	v_bfe_u32 v16, v42, 23, 1
; %bb.5412:                             ;   in Loop: Header=BB2_5355 Depth=2
	s_or_b64 exec, exec, s[20:21]
	v_lshrrev_b64 v[22:23], 20, v[42:43]
	v_cmp_gt_i32_e32 vcc, 16, v16
	v_cndmask_b32_e32 v23, 0, v23, vcc
	v_cndmask_b32_e32 v22, 7, v22, vcc
	v_cmp_eq_u32_e32 vcc, 0, v16
	v_min_i32_e32 v16, 15, v16
	v_cmp_eq_u64_e64 s[20:21], 0, v[22:23]
	v_lshlrev_b32_e32 v16, 3, v16
	v_and_or_b32 v16, v22, 7, v16
	s_and_b64 s[20:21], vcc, s[20:21]
	v_cndmask_b32_e64 v16, v16, 0, s[20:21]
	v_or_b32_e32 v27, v16, v24
.LBB2_5413:                             ;   in Loop: Header=BB2_5355 Depth=2
	s_or_b64 exec, exec, s[58:59]
.LBB2_5414:                             ;   in Loop: Header=BB2_5355 Depth=2
	s_or_b64 exec, exec, s[56:57]
                                        ; implicit-def: $vgpr32
.LBB2_5415:                             ;   in Loop: Header=BB2_5355 Depth=2
	s_andn2_saveexec_b64 s[20:21], s[54:55]
; %bb.5416:                             ;   in Loop: Header=BB2_5355 Depth=2
	v_or_b32_sdwa v22, v32, s68 dst_sel:DWORD dst_unused:UNUSED_PAD src0_sel:BYTE_3 src1_sel:DWORD
	v_cmp_eq_u64_e32 vcc, 0, v[16:17]
	v_cndmask_b32_e32 v27, v22, v27, vcc
; %bb.5417:                             ;   in Loop: Header=BB2_5355 Depth=2
	s_or_b64 exec, exec, s[20:21]
	v_cmp_lt_u32_e32 vcc, s43, v10
	v_mov_b32_e32 v24, 0
	s_and_saveexec_b64 s[20:21], vcc
	s_cbranch_execz .LBB2_5423
; %bb.5418:                             ;   in Loop: Header=BB2_5355 Depth=2
	v_lshrrev_b32_e32 v16, 24, v10
	v_cmp_ne_u32_e32 vcc, s69, v16
	v_bfrev_b32_e32 v24, 1
	s_and_saveexec_b64 s[54:55], vcc
	s_cbranch_execz .LBB2_5422
; %bb.5419:                             ;   in Loop: Header=BB2_5355 Depth=2
	v_bfe_u32 v32, v10, 24, 7
	v_cmp_ne_u32_e32 vcc, s68, v32
	v_mov_b32_e32 v24, 0x7f800001
	s_and_saveexec_b64 s[56:57], vcc
	s_cbranch_execz .LBB2_5421
; %bb.5420:                             ;   in Loop: Header=BB2_5355 Depth=2
	v_and_b32_e32 v24, 7, v16
	v_ffbh_u32_e32 v22, v24
	v_min_u32_e32 v34, 32, v22
	v_subrev_u32_e32 v22, 28, v34
	v_lshlrev_b64 v[22:23], v22, v[16:17]
	v_lshrrev_b32_e32 v33, 3, v32
	v_sub_u32_e32 v23, 29, v34
	v_and_b32_e32 v22, 7, v22
	v_cmp_gt_u32_e32 vcc, 8, v32
	v_cndmask_b32_e32 v23, v33, v23, vcc
	v_cndmask_b32_e32 v22, v24, v22, vcc
	v_lshlrev_b32_e32 v16, 24, v16
	v_lshlrev_b32_e32 v22, 20, v22
	v_and_b32_e32 v16, 0x80000000, v16
	v_lshl_add_u32 v23, v23, 23, v47
	v_or3_b32 v24, v16, v23, v22
.LBB2_5421:                             ;   in Loop: Header=BB2_5355 Depth=2
	s_or_b64 exec, exec, s[56:57]
.LBB2_5422:                             ;   in Loop: Header=BB2_5355 Depth=2
	s_or_b64 exec, exec, s[54:55]
.LBB2_5423:                             ;   in Loop: Header=BB2_5355 Depth=2
	s_or_b64 exec, exec, s[20:21]
	v_mul_f32_e32 v33, v19, v24
	v_and_b32_sdwa v24, v33, s69 dst_sel:DWORD dst_unused:UNUSED_PAD src0_sel:BYTE_3 src1_sel:DWORD
	v_and_b32_e32 v22, 0x7f800000, v33
	v_mov_b32_e32 v23, v17
	v_and_b32_e32 v16, 0x7fffff, v33
	v_or_b32_e32 v32, 0x7e, v24
	v_cmp_ne_u64_e32 vcc, s[38:39], v[22:23]
	s_and_saveexec_b64 s[20:21], vcc
	s_xor_b64 s[54:55], exec, s[20:21]
	s_cbranch_execz .LBB2_5433
; %bb.5424:                             ;   in Loop: Header=BB2_5355 Depth=2
	v_and_b32_e32 v22, 0x7fffffff, v33
	v_mov_b32_e32 v23, v17
	v_cmp_gt_u64_e32 vcc, s[40:41], v[22:23]
	s_and_saveexec_b64 s[56:57], vcc
	s_cbranch_execz .LBB2_5432
; %bb.5425:                             ;   in Loop: Header=BB2_5355 Depth=2
	v_cmp_ne_u32_e32 vcc, 0, v33
	v_mov_b32_e32 v32, 0
	s_and_saveexec_b64 s[58:59], vcc
	s_cbranch_execz .LBB2_5431
; %bb.5426:                             ;   in Loop: Header=BB2_5355 Depth=2
	v_bfe_u32 v22, v33, 23, 8
	v_sub_u32_e32 v32, 0x79, v22
	v_cmp_gt_u32_e32 vcc, s70, v22
	v_cndmask_b32_e32 v32, 0, v32, vcc
	v_cmp_eq_u32_e32 vcc, 0, v22
	v_cndmask_b32_e32 v32, v32, v57, vcc
	v_add_u32_e32 v23, 0xffffff81, v22
	v_or_b32_e32 v33, 0x800000, v16
	v_add_u32_e32 v22, 20, v32
	v_cndmask_b32_e32 v53, v23, v56, vcc
	v_cndmask_b32_e32 v16, v33, v16, vcc
	v_lshlrev_b64 v[22:23], v22, -1
	v_not_b32_e32 v22, v22
	v_lshrrev_b64 v[38:39], v32, v[16:17]
	v_not_b32_e32 v23, v23
	v_and_b32_e32 v22, v16, v22
	v_add_u32_e32 v33, 19, v32
	v_lshrrev_b32_e32 v16, 23, v38
	v_and_b32_e32 v23, 0, v23
	v_lshlrev_b64 v[34:35], v33, 1
	v_add3_u32 v33, v32, v53, v16
	v_bfe_u32 v16, v38, 20, 1
	v_add_u32_e32 v16, -1, v16
	v_cmp_eq_u64_e32 vcc, v[22:23], v[34:35]
	v_cndmask_b32_e32 v16, 0, v16, vcc
	v_add_u32_e32 v16, v16, v38
	v_and_b32_e32 v16, 0xfffff, v16
	v_add_co_u32_e32 v42, vcc, v16, v38
	v_add_u32_e32 v32, 6, v33
	v_addc_co_u32_e32 v43, vcc, 0, v39, vcc
	v_cmp_ne_u32_e32 vcc, 0, v32
                                        ; implicit-def: $vgpr16
	s_and_saveexec_b64 s[20:21], vcc
	s_xor_b64 s[20:21], exec, s[20:21]
; %bb.5427:                             ;   in Loop: Header=BB2_5355 Depth=2
	v_cmp_lt_u64_e32 vcc, s[44:45], v[42:43]
	v_add_u32_e32 v16, 7, v33
	v_cndmask_b32_e64 v22, 0, 1, vcc
	v_cndmask_b32_e32 v16, v32, v16, vcc
	v_lshrrev_b64 v[42:43], v22, v[42:43]
; %bb.5428:                             ;   in Loop: Header=BB2_5355 Depth=2
	s_andn2_saveexec_b64 s[20:21], s[20:21]
; %bb.5429:                             ;   in Loop: Header=BB2_5355 Depth=2
	v_bfe_u32 v16, v42, 23, 1
; %bb.5430:                             ;   in Loop: Header=BB2_5355 Depth=2
	s_or_b64 exec, exec, s[20:21]
	v_lshrrev_b64 v[22:23], 20, v[42:43]
	v_cmp_gt_i32_e32 vcc, 16, v16
	v_cndmask_b32_e32 v23, 0, v23, vcc
	v_cndmask_b32_e32 v22, 7, v22, vcc
	v_cmp_eq_u32_e32 vcc, 0, v16
	v_min_i32_e32 v16, 15, v16
	v_cmp_eq_u64_e64 s[20:21], 0, v[22:23]
	v_lshlrev_b32_e32 v16, 3, v16
	v_and_or_b32 v16, v22, 7, v16
	s_and_b64 s[20:21], vcc, s[20:21]
	v_cndmask_b32_e64 v16, v16, 0, s[20:21]
	v_or_b32_e32 v32, v16, v24
.LBB2_5431:                             ;   in Loop: Header=BB2_5355 Depth=2
	s_or_b64 exec, exec, s[58:59]
.LBB2_5432:                             ;   in Loop: Header=BB2_5355 Depth=2
	s_or_b64 exec, exec, s[56:57]
                                        ; implicit-def: $vgpr33
.LBB2_5433:                             ;   in Loop: Header=BB2_5355 Depth=2
	s_andn2_saveexec_b64 s[20:21], s[54:55]
; %bb.5434:                             ;   in Loop: Header=BB2_5355 Depth=2
	v_or_b32_sdwa v22, v33, s68 dst_sel:DWORD dst_unused:UNUSED_PAD src0_sel:BYTE_3 src1_sel:DWORD
	v_cmp_eq_u64_e32 vcc, 0, v[16:17]
	v_cndmask_b32_e32 v32, v22, v32, vcc
; %bb.5435:                             ;   in Loop: Header=BB2_5355 Depth=2
	s_or_b64 exec, exec, s[20:21]
	v_mov_b32_e32 v16, v11
	v_cmp_ne_u16_sdwa vcc, v11, v17 src0_sel:BYTE_0 src1_sel:DWORD
	v_mov_b32_e32 v24, 0
	s_and_saveexec_b64 s[20:21], vcc
	s_cbranch_execz .LBB2_5441
; %bb.5436:                             ;   in Loop: Header=BB2_5355 Depth=2
	v_cmp_ne_u16_sdwa vcc, v11, s69 src0_sel:BYTE_0 src1_sel:DWORD
	v_bfrev_b32_e32 v24, 1
	s_and_saveexec_b64 s[54:55], vcc
	s_cbranch_execz .LBB2_5440
; %bb.5437:                             ;   in Loop: Header=BB2_5355 Depth=2
	v_and_b32_e32 v33, 0x7f, v11
	v_cmp_ne_u32_e32 vcc, s68, v33
	v_mov_b32_e32 v24, 0x7f800001
	s_and_saveexec_b64 s[56:57], vcc
	s_cbranch_execz .LBB2_5439
; %bb.5438:                             ;   in Loop: Header=BB2_5355 Depth=2
	v_and_b32_e32 v22, 7, v11
	v_ffbh_u32_e32 v22, v22
	v_min_u32_e32 v22, 32, v22
	v_lshrrev_b32_e32 v23, 3, v33
	v_subrev_u32_e32 v24, 28, v22
	v_sub_u32_e32 v22, 29, v22
	v_cmp_gt_u32_e32 vcc, 8, v33
	v_cndmask_b32_e32 v33, v23, v22, vcc
	v_cndmask_b32_e32 v22, 0, v24, vcc
	v_lshlrev_b64 v[22:23], v22, v[16:17]
	v_lshlrev_b32_e32 v22, 20, v22
	v_lshlrev_b32_e32 v23, 24, v16
	v_and_b32_e32 v22, 0x700000, v22
	v_and_b32_e32 v23, 0x80000000, v23
	v_lshl_add_u32 v24, v33, 23, v47
	v_or3_b32 v24, v23, v24, v22
.LBB2_5439:                             ;   in Loop: Header=BB2_5355 Depth=2
	s_or_b64 exec, exec, s[56:57]
.LBB2_5440:                             ;   in Loop: Header=BB2_5355 Depth=2
	s_or_b64 exec, exec, s[54:55]
.LBB2_5441:                             ;   in Loop: Header=BB2_5355 Depth=2
	s_or_b64 exec, exec, s[20:21]
	v_mul_f32_e32 v34, v19, v24
	v_and_b32_sdwa v24, v34, s69 dst_sel:DWORD dst_unused:UNUSED_PAD src0_sel:BYTE_3 src1_sel:DWORD
	v_and_b32_e32 v22, 0x7f800000, v34
	v_mov_b32_e32 v23, v17
	v_and_b32_e32 v42, 0x7fffff, v34
	v_mov_b32_e32 v43, v17
	v_or_b32_e32 v33, 0x7e, v24
	v_cmp_ne_u64_e32 vcc, s[38:39], v[22:23]
	s_and_saveexec_b64 s[20:21], vcc
	s_xor_b64 s[54:55], exec, s[20:21]
	s_cbranch_execz .LBB2_5451
; %bb.5442:                             ;   in Loop: Header=BB2_5355 Depth=2
	v_and_b32_e32 v22, 0x7fffffff, v34
	v_mov_b32_e32 v23, v17
	v_cmp_gt_u64_e32 vcc, s[40:41], v[22:23]
	s_and_saveexec_b64 s[56:57], vcc
	s_cbranch_execz .LBB2_5450
; %bb.5443:                             ;   in Loop: Header=BB2_5355 Depth=2
	v_cmp_ne_u32_e32 vcc, 0, v34
	v_mov_b32_e32 v33, 0
	s_and_saveexec_b64 s[58:59], vcc
	s_cbranch_execz .LBB2_5449
; %bb.5444:                             ;   in Loop: Header=BB2_5355 Depth=2
	v_bfe_u32 v22, v34, 23, 8
	v_sub_u32_e32 v33, 0x79, v22
	v_cmp_gt_u32_e32 vcc, s70, v22
	v_cndmask_b32_e32 v33, 0, v33, vcc
	v_cmp_eq_u32_e32 vcc, 0, v22
	v_cndmask_b32_e32 v33, v33, v57, vcc
	v_add_u32_e32 v23, 0xffffff81, v22
	v_add_u32_e32 v22, 20, v33
	v_or_b32_e32 v34, 0x800000, v42
	v_cndmask_b32_e32 v35, v23, v56, vcc
	v_lshlrev_b64 v[22:23], v22, -1
	v_cndmask_b32_e32 v42, v34, v42, vcc
	v_not_b32_e32 v22, v22
	v_and_b32_e32 v22, v42, v22
	v_add_u32_e32 v34, 19, v33
	v_lshrrev_b64 v[42:43], v33, v[42:43]
	v_not_b32_e32 v23, v23
	v_lshlrev_b64 v[38:39], v34, 1
	v_lshrrev_b32_e32 v34, 23, v42
	v_and_b32_e32 v23, 0, v23
	v_add3_u32 v35, v33, v35, v34
	v_bfe_u32 v33, v42, 20, 1
	v_add_u32_e32 v33, -1, v33
	v_cmp_eq_u64_e32 vcc, v[22:23], v[38:39]
	v_cndmask_b32_e32 v22, 0, v33, vcc
	v_add_u32_e32 v22, v22, v42
	v_and_b32_e32 v22, 0xfffff, v22
	v_add_co_u32_e32 v42, vcc, v22, v42
	v_add_u32_e32 v34, 6, v35
	v_addc_co_u32_e32 v43, vcc, 0, v43, vcc
	v_cmp_ne_u32_e32 vcc, 0, v34
                                        ; implicit-def: $vgpr33
	s_and_saveexec_b64 s[20:21], vcc
	s_xor_b64 s[20:21], exec, s[20:21]
; %bb.5445:                             ;   in Loop: Header=BB2_5355 Depth=2
	v_add_u32_e32 v22, 7, v35
	v_cmp_lt_u64_e32 vcc, s[44:45], v[42:43]
	v_cndmask_b32_e32 v33, v34, v22, vcc
	v_cndmask_b32_e64 v22, 0, 1, vcc
	v_lshrrev_b64 v[42:43], v22, v[42:43]
; %bb.5446:                             ;   in Loop: Header=BB2_5355 Depth=2
	s_andn2_saveexec_b64 s[20:21], s[20:21]
; %bb.5447:                             ;   in Loop: Header=BB2_5355 Depth=2
	v_bfe_u32 v33, v42, 23, 1
; %bb.5448:                             ;   in Loop: Header=BB2_5355 Depth=2
	s_or_b64 exec, exec, s[20:21]
	v_lshrrev_b64 v[22:23], 20, v[42:43]
	v_cmp_gt_i32_e32 vcc, 16, v33
	v_cndmask_b32_e32 v23, 0, v23, vcc
	v_cndmask_b32_e32 v22, 7, v22, vcc
	v_cmp_eq_u64_e64 s[20:21], 0, v[22:23]
	v_min_i32_e32 v23, 15, v33
	v_cmp_eq_u32_e32 vcc, 0, v33
	v_lshlrev_b32_e32 v23, 3, v23
	v_and_or_b32 v22, v22, 7, v23
	s_and_b64 s[20:21], vcc, s[20:21]
	v_cndmask_b32_e64 v22, v22, 0, s[20:21]
	v_or_b32_e32 v33, v22, v24
.LBB2_5449:                             ;   in Loop: Header=BB2_5355 Depth=2
	s_or_b64 exec, exec, s[58:59]
.LBB2_5450:                             ;   in Loop: Header=BB2_5355 Depth=2
	s_or_b64 exec, exec, s[56:57]
                                        ; implicit-def: $vgpr34
                                        ; implicit-def: $vgpr42_vgpr43
.LBB2_5451:                             ;   in Loop: Header=BB2_5355 Depth=2
	s_andn2_saveexec_b64 s[20:21], s[54:55]
; %bb.5452:                             ;   in Loop: Header=BB2_5355 Depth=2
	v_or_b32_sdwa v22, v34, s68 dst_sel:DWORD dst_unused:UNUSED_PAD src0_sel:BYTE_3 src1_sel:DWORD
	v_cmp_eq_u64_e32 vcc, 0, v[42:43]
	v_cndmask_b32_e32 v33, v22, v33, vcc
; %bb.5453:                             ;   in Loop: Header=BB2_5355 Depth=2
	s_or_b64 exec, exec, s[20:21]
	v_lshrrev_b16_e32 v24, 8, v16
	v_cmp_ne_u16_e32 vcc, 0, v24
	v_mov_b32_e32 v34, 0
	s_and_saveexec_b64 s[20:21], vcc
	s_cbranch_execz .LBB2_5459
; %bb.5454:                             ;   in Loop: Header=BB2_5355 Depth=2
	v_cmp_ne_u16_e32 vcc, s69, v24
	v_bfrev_b32_e32 v34, 1
	s_and_saveexec_b64 s[54:55], vcc
	s_cbranch_execz .LBB2_5458
; %bb.5455:                             ;   in Loop: Header=BB2_5355 Depth=2
	v_and_b32_e32 v35, 0x7f, v24
	v_cmp_ne_u32_e32 vcc, s68, v35
	v_mov_b32_e32 v34, 0x7f800001
	s_and_saveexec_b64 s[56:57], vcc
	s_cbranch_execz .LBB2_5457
; %bb.5456:                             ;   in Loop: Header=BB2_5355 Depth=2
	v_and_b32_e32 v34, 7, v24
	v_ffbh_u32_e32 v22, v34
	v_min_u32_e32 v39, 32, v22
	v_subrev_u32_e32 v22, 28, v39
	v_lshlrev_b64 v[22:23], v22, v[24:25]
	v_lshrrev_b32_e32 v38, 3, v35
	v_sub_u32_e32 v23, 29, v39
	v_and_b32_e32 v22, 7, v22
	v_cmp_gt_u32_e32 vcc, 8, v35
	v_cndmask_b32_e32 v23, v38, v23, vcc
	v_cndmask_b32_e32 v22, v34, v22, vcc
	v_lshlrev_b32_e32 v16, 16, v16
	v_lshlrev_b32_e32 v22, 20, v22
	v_and_b32_e32 v16, 0x80000000, v16
	v_lshl_add_u32 v23, v23, 23, v47
	v_or3_b32 v34, v16, v23, v22
.LBB2_5457:                             ;   in Loop: Header=BB2_5355 Depth=2
	s_or_b64 exec, exec, s[56:57]
.LBB2_5458:                             ;   in Loop: Header=BB2_5355 Depth=2
	s_or_b64 exec, exec, s[54:55]
.LBB2_5459:                             ;   in Loop: Header=BB2_5355 Depth=2
	s_or_b64 exec, exec, s[20:21]
	v_mul_f32_e32 v35, v19, v34
	v_and_b32_sdwa v34, v35, s69 dst_sel:DWORD dst_unused:UNUSED_PAD src0_sel:BYTE_3 src1_sel:DWORD
	v_and_b32_e32 v22, 0x7f800000, v35
	v_mov_b32_e32 v23, v17
	v_and_b32_e32 v16, 0x7fffff, v35
	v_or_b32_e32 v24, 0x7e, v34
	v_cmp_ne_u64_e32 vcc, s[38:39], v[22:23]
	s_and_saveexec_b64 s[20:21], vcc
	s_xor_b64 s[54:55], exec, s[20:21]
	s_cbranch_execz .LBB2_5469
; %bb.5460:                             ;   in Loop: Header=BB2_5355 Depth=2
	v_and_b32_e32 v22, 0x7fffffff, v35
	v_mov_b32_e32 v23, v17
	v_cmp_gt_u64_e32 vcc, s[40:41], v[22:23]
	s_and_saveexec_b64 s[56:57], vcc
	s_cbranch_execz .LBB2_5468
; %bb.5461:                             ;   in Loop: Header=BB2_5355 Depth=2
	v_cmp_ne_u32_e32 vcc, 0, v35
	v_mov_b32_e32 v24, 0
	s_and_saveexec_b64 s[58:59], vcc
	s_cbranch_execz .LBB2_5467
; %bb.5462:                             ;   in Loop: Header=BB2_5355 Depth=2
	v_bfe_u32 v22, v35, 23, 8
	v_sub_u32_e32 v24, 0x79, v22
	v_cmp_gt_u32_e32 vcc, s70, v22
	v_cndmask_b32_e32 v24, 0, v24, vcc
	v_cmp_eq_u32_e32 vcc, 0, v22
	v_cndmask_b32_e32 v24, v24, v57, vcc
	v_add_u32_e32 v23, 0xffffff81, v22
	v_or_b32_e32 v35, 0x800000, v16
	v_add_u32_e32 v22, 20, v24
	v_cndmask_b32_e32 v53, v23, v56, vcc
	v_cndmask_b32_e32 v16, v35, v16, vcc
	v_lshlrev_b64 v[22:23], v22, -1
	v_not_b32_e32 v22, v22
	v_lshrrev_b64 v[42:43], v24, v[16:17]
	v_not_b32_e32 v23, v23
	v_and_b32_e32 v22, v16, v22
	v_add_u32_e32 v35, 19, v24
	v_lshrrev_b32_e32 v16, 23, v42
	v_and_b32_e32 v23, 0, v23
	v_lshlrev_b64 v[38:39], v35, 1
	v_add3_u32 v35, v24, v53, v16
	v_bfe_u32 v16, v42, 20, 1
	v_add_u32_e32 v16, -1, v16
	v_cmp_eq_u64_e32 vcc, v[22:23], v[38:39]
	v_cndmask_b32_e32 v16, 0, v16, vcc
	v_add_u32_e32 v16, v16, v42
	v_and_b32_e32 v16, 0xfffff, v16
	v_add_co_u32_e32 v42, vcc, v16, v42
	v_add_u32_e32 v24, 6, v35
	v_addc_co_u32_e32 v43, vcc, 0, v43, vcc
	v_cmp_ne_u32_e32 vcc, 0, v24
                                        ; implicit-def: $vgpr16
	s_and_saveexec_b64 s[20:21], vcc
	s_xor_b64 s[20:21], exec, s[20:21]
; %bb.5463:                             ;   in Loop: Header=BB2_5355 Depth=2
	v_cmp_lt_u64_e32 vcc, s[44:45], v[42:43]
	v_add_u32_e32 v16, 7, v35
	v_cndmask_b32_e64 v22, 0, 1, vcc
	v_cndmask_b32_e32 v16, v24, v16, vcc
	v_lshrrev_b64 v[42:43], v22, v[42:43]
; %bb.5464:                             ;   in Loop: Header=BB2_5355 Depth=2
	s_andn2_saveexec_b64 s[20:21], s[20:21]
; %bb.5465:                             ;   in Loop: Header=BB2_5355 Depth=2
	v_bfe_u32 v16, v42, 23, 1
; %bb.5466:                             ;   in Loop: Header=BB2_5355 Depth=2
	s_or_b64 exec, exec, s[20:21]
	v_lshrrev_b64 v[22:23], 20, v[42:43]
	v_cmp_gt_i32_e32 vcc, 16, v16
	v_cndmask_b32_e32 v23, 0, v23, vcc
	v_cndmask_b32_e32 v22, 7, v22, vcc
	v_cmp_eq_u32_e32 vcc, 0, v16
	v_min_i32_e32 v16, 15, v16
	v_lshlrev_b32_e32 v16, 3, v16
	v_cmp_eq_u64_e64 s[20:21], 0, v[22:23]
	v_and_b32_e32 v16, 0xf8, v16
	v_and_or_b32 v16, v22, 7, v16
	s_and_b64 s[20:21], vcc, s[20:21]
	v_cndmask_b32_e64 v16, v16, 0, s[20:21]
	v_or_b32_e32 v24, v16, v34
.LBB2_5467:                             ;   in Loop: Header=BB2_5355 Depth=2
	s_or_b64 exec, exec, s[58:59]
.LBB2_5468:                             ;   in Loop: Header=BB2_5355 Depth=2
	s_or_b64 exec, exec, s[56:57]
                                        ; implicit-def: $vgpr35
.LBB2_5469:                             ;   in Loop: Header=BB2_5355 Depth=2
	s_andn2_saveexec_b64 s[20:21], s[54:55]
; %bb.5470:                             ;   in Loop: Header=BB2_5355 Depth=2
	v_or_b32_sdwa v22, v35, s68 dst_sel:DWORD dst_unused:UNUSED_PAD src0_sel:BYTE_3 src1_sel:DWORD
	v_cmp_eq_u64_e32 vcc, 0, v[16:17]
	v_cndmask_b32_e32 v24, v22, v24, vcc
; %bb.5471:                             ;   in Loop: Header=BB2_5355 Depth=2
	s_or_b64 exec, exec, s[20:21]
	v_lshrrev_b32_e32 v16, 16, v11
	v_cmp_ne_u16_sdwa vcc, v16, v17 src0_sel:BYTE_0 src1_sel:DWORD
	v_mov_b32_e32 v34, 0
	s_and_saveexec_b64 s[20:21], vcc
	s_cbranch_execz .LBB2_5477
; %bb.5472:                             ;   in Loop: Header=BB2_5355 Depth=2
	v_cmp_ne_u16_sdwa vcc, v16, s69 src0_sel:BYTE_0 src1_sel:DWORD
	v_bfrev_b32_e32 v34, 1
	s_and_saveexec_b64 s[54:55], vcc
	s_cbranch_execz .LBB2_5476
; %bb.5473:                             ;   in Loop: Header=BB2_5355 Depth=2
	v_bfe_u32 v35, v11, 16, 7
	v_cmp_ne_u32_e32 vcc, s68, v35
	v_mov_b32_e32 v34, 0x7f800001
	s_and_saveexec_b64 s[56:57], vcc
	s_cbranch_execz .LBB2_5475
; %bb.5474:                             ;   in Loop: Header=BB2_5355 Depth=2
	v_and_b32_e32 v34, 7, v16
	v_ffbh_u32_e32 v22, v34
	v_min_u32_e32 v39, 32, v22
	v_subrev_u32_e32 v22, 28, v39
	v_lshlrev_b64 v[22:23], v22, v[16:17]
	v_lshrrev_b32_e32 v38, 3, v35
	v_sub_u32_e32 v23, 29, v39
	v_and_b32_e32 v22, 7, v22
	v_cmp_gt_u32_e32 vcc, 8, v35
	v_cndmask_b32_e32 v23, v38, v23, vcc
	v_cndmask_b32_e32 v22, v34, v22, vcc
	v_lshlrev_b32_e32 v16, 24, v16
	v_lshlrev_b32_e32 v22, 20, v22
	v_and_b32_e32 v16, 0x80000000, v16
	v_lshl_add_u32 v23, v23, 23, v47
	v_or3_b32 v34, v16, v23, v22
.LBB2_5475:                             ;   in Loop: Header=BB2_5355 Depth=2
	s_or_b64 exec, exec, s[56:57]
.LBB2_5476:                             ;   in Loop: Header=BB2_5355 Depth=2
	s_or_b64 exec, exec, s[54:55]
.LBB2_5477:                             ;   in Loop: Header=BB2_5355 Depth=2
	s_or_b64 exec, exec, s[20:21]
	v_mul_f32_e32 v53, v19, v34
	v_and_b32_sdwa v35, v53, s69 dst_sel:DWORD dst_unused:UNUSED_PAD src0_sel:BYTE_3 src1_sel:DWORD
	v_and_b32_e32 v22, 0x7f800000, v53
	v_mov_b32_e32 v23, v17
	v_and_b32_e32 v16, 0x7fffff, v53
	v_or_b32_e32 v34, 0x7e, v35
	v_cmp_ne_u64_e32 vcc, s[38:39], v[22:23]
	s_and_saveexec_b64 s[20:21], vcc
	s_xor_b64 s[54:55], exec, s[20:21]
	s_cbranch_execz .LBB2_5487
; %bb.5478:                             ;   in Loop: Header=BB2_5355 Depth=2
	v_and_b32_e32 v22, 0x7fffffff, v53
	v_mov_b32_e32 v23, v17
	v_cmp_gt_u64_e32 vcc, s[40:41], v[22:23]
	s_and_saveexec_b64 s[56:57], vcc
	s_cbranch_execz .LBB2_5486
; %bb.5479:                             ;   in Loop: Header=BB2_5355 Depth=2
	v_cmp_ne_u32_e32 vcc, 0, v53
	v_mov_b32_e32 v34, 0
	s_and_saveexec_b64 s[58:59], vcc
	s_cbranch_execz .LBB2_5485
; %bb.5480:                             ;   in Loop: Header=BB2_5355 Depth=2
	v_bfe_u32 v22, v53, 23, 8
	v_sub_u32_e32 v34, 0x79, v22
	v_cmp_gt_u32_e32 vcc, s70, v22
	v_cndmask_b32_e32 v34, 0, v34, vcc
	v_cmp_eq_u32_e32 vcc, 0, v22
	v_cndmask_b32_e32 v34, v34, v57, vcc
	v_add_u32_e32 v23, 0xffffff81, v22
	v_or_b32_e32 v38, 0x800000, v16
	v_add_u32_e32 v22, 20, v34
	v_cndmask_b32_e32 v53, v23, v56, vcc
	v_cndmask_b32_e32 v16, v38, v16, vcc
	v_lshlrev_b64 v[22:23], v22, -1
	v_not_b32_e32 v22, v22
	v_lshrrev_b64 v[42:43], v34, v[16:17]
	v_not_b32_e32 v23, v23
	v_and_b32_e32 v22, v16, v22
	v_add_u32_e32 v38, 19, v34
	v_lshrrev_b32_e32 v16, 23, v42
	v_and_b32_e32 v23, 0, v23
	v_lshlrev_b64 v[38:39], v38, 1
	v_add3_u32 v53, v34, v53, v16
	v_bfe_u32 v16, v42, 20, 1
	v_add_u32_e32 v16, -1, v16
	v_cmp_eq_u64_e32 vcc, v[22:23], v[38:39]
	v_cndmask_b32_e32 v16, 0, v16, vcc
	v_add_u32_e32 v16, v16, v42
	v_and_b32_e32 v16, 0xfffff, v16
	v_add_co_u32_e32 v42, vcc, v16, v42
	v_add_u32_e32 v34, 6, v53
	v_addc_co_u32_e32 v43, vcc, 0, v43, vcc
	v_cmp_ne_u32_e32 vcc, 0, v34
                                        ; implicit-def: $vgpr16
	s_and_saveexec_b64 s[20:21], vcc
	s_xor_b64 s[20:21], exec, s[20:21]
; %bb.5481:                             ;   in Loop: Header=BB2_5355 Depth=2
	v_cmp_lt_u64_e32 vcc, s[44:45], v[42:43]
	v_add_u32_e32 v16, 7, v53
	v_cndmask_b32_e64 v22, 0, 1, vcc
	v_cndmask_b32_e32 v16, v34, v16, vcc
	v_lshrrev_b64 v[42:43], v22, v[42:43]
; %bb.5482:                             ;   in Loop: Header=BB2_5355 Depth=2
	s_andn2_saveexec_b64 s[20:21], s[20:21]
; %bb.5483:                             ;   in Loop: Header=BB2_5355 Depth=2
	v_bfe_u32 v16, v42, 23, 1
; %bb.5484:                             ;   in Loop: Header=BB2_5355 Depth=2
	s_or_b64 exec, exec, s[20:21]
	v_lshrrev_b64 v[22:23], 20, v[42:43]
	v_cmp_gt_i32_e32 vcc, 16, v16
	v_cndmask_b32_e32 v23, 0, v23, vcc
	v_cndmask_b32_e32 v22, 7, v22, vcc
	v_cmp_eq_u32_e32 vcc, 0, v16
	v_min_i32_e32 v16, 15, v16
	v_lshlrev_b32_e32 v16, 3, v16
	v_cmp_eq_u64_e64 s[20:21], 0, v[22:23]
	v_and_b32_e32 v16, 0xf8, v16
	v_and_or_b32 v16, v22, 7, v16
	s_and_b64 s[20:21], vcc, s[20:21]
	v_cndmask_b32_e64 v16, v16, 0, s[20:21]
	v_or_b32_e32 v34, v16, v35
.LBB2_5485:                             ;   in Loop: Header=BB2_5355 Depth=2
	s_or_b64 exec, exec, s[58:59]
.LBB2_5486:                             ;   in Loop: Header=BB2_5355 Depth=2
	s_or_b64 exec, exec, s[56:57]
                                        ; implicit-def: $vgpr53
.LBB2_5487:                             ;   in Loop: Header=BB2_5355 Depth=2
	s_andn2_saveexec_b64 s[20:21], s[54:55]
; %bb.5488:                             ;   in Loop: Header=BB2_5355 Depth=2
	v_or_b32_sdwa v22, v53, s68 dst_sel:DWORD dst_unused:UNUSED_PAD src0_sel:BYTE_3 src1_sel:DWORD
	v_cmp_eq_u64_e32 vcc, 0, v[16:17]
	v_cndmask_b32_e32 v34, v22, v34, vcc
; %bb.5489:                             ;   in Loop: Header=BB2_5355 Depth=2
	s_or_b64 exec, exec, s[20:21]
	v_cmp_lt_u64_e32 vcc, s[42:43], v[10:11]
	v_mov_b32_e32 v16, 0
	s_and_saveexec_b64 s[20:21], vcc
	s_cbranch_execz .LBB2_5495
; %bb.5490:                             ;   in Loop: Header=BB2_5355 Depth=2
	v_lshrrev_b32_e32 v10, 24, v11
	v_cmp_ne_u32_e32 vcc, s69, v10
	v_bfrev_b32_e32 v16, 1
	s_and_saveexec_b64 s[54:55], vcc
	s_cbranch_execz .LBB2_5494
; %bb.5491:                             ;   in Loop: Header=BB2_5355 Depth=2
	v_bfe_u32 v11, v11, 24, 7
	v_cmp_ne_u32_e32 vcc, s68, v11
	v_mov_b32_e32 v16, 0x7f800001
	s_and_saveexec_b64 s[56:57], vcc
	s_cbranch_execz .LBB2_5493
; %bb.5492:                             ;   in Loop: Header=BB2_5355 Depth=2
	v_and_b32_e32 v16, 7, v10
	v_ffbh_u32_e32 v22, v16
	v_min_u32_e32 v38, 32, v22
	v_subrev_u32_e32 v22, 28, v38
	v_lshlrev_b64 v[22:23], v22, v[10:11]
	v_lshrrev_b32_e32 v35, 3, v11
	v_sub_u32_e32 v23, 29, v38
	v_and_b32_e32 v22, 7, v22
	v_cmp_gt_u32_e32 vcc, 8, v11
	v_cndmask_b32_e32 v11, v35, v23, vcc
	v_cndmask_b32_e32 v16, v16, v22, vcc
	v_lshlrev_b32_e32 v10, 24, v10
	v_lshlrev_b32_e32 v16, 20, v16
	v_and_b32_e32 v10, 0x80000000, v10
	v_lshl_add_u32 v11, v11, 23, v47
	v_or3_b32 v16, v10, v11, v16
.LBB2_5493:                             ;   in Loop: Header=BB2_5355 Depth=2
	s_or_b64 exec, exec, s[56:57]
.LBB2_5494:                             ;   in Loop: Header=BB2_5355 Depth=2
	s_or_b64 exec, exec, s[54:55]
.LBB2_5495:                             ;   in Loop: Header=BB2_5355 Depth=2
	s_or_b64 exec, exec, s[20:21]
	v_mul_f32_e32 v10, v19, v16
	v_and_b32_sdwa v53, v10, s69 dst_sel:DWORD dst_unused:UNUSED_PAD src0_sel:BYTE_3 src1_sel:DWORD
	v_and_b32_e32 v22, 0x7f800000, v10
	v_mov_b32_e32 v23, v17
	v_and_b32_e32 v16, 0x7fffff, v10
	v_or_b32_e32 v35, 0x7e, v53
	v_cmp_ne_u64_e32 vcc, s[38:39], v[22:23]
	s_and_saveexec_b64 s[20:21], vcc
	s_xor_b64 s[54:55], exec, s[20:21]
	s_cbranch_execz .LBB2_5505
; %bb.5496:                             ;   in Loop: Header=BB2_5355 Depth=2
	v_and_b32_e32 v22, 0x7fffffff, v10
	v_mov_b32_e32 v23, v17
	v_cmp_gt_u64_e32 vcc, s[40:41], v[22:23]
	s_and_saveexec_b64 s[56:57], vcc
	s_cbranch_execz .LBB2_5504
; %bb.5497:                             ;   in Loop: Header=BB2_5355 Depth=2
	v_cmp_ne_u32_e32 vcc, 0, v10
	v_mov_b32_e32 v35, 0
	s_and_saveexec_b64 s[58:59], vcc
	s_cbranch_execz .LBB2_5503
; %bb.5498:                             ;   in Loop: Header=BB2_5355 Depth=2
	v_bfe_u32 v10, v10, 23, 8
	v_sub_u32_e32 v22, 0x79, v10
	v_cmp_gt_u32_e32 vcc, s70, v10
	v_cndmask_b32_e32 v22, 0, v22, vcc
	v_cmp_eq_u32_e32 vcc, 0, v10
	v_cndmask_b32_e32 v55, v22, v57, vcc
	v_add_u32_e32 v11, 0xffffff81, v10
	v_or_b32_e32 v23, 0x800000, v16
	v_add_u32_e32 v10, 20, v55
	v_cndmask_b32_e32 v35, v11, v56, vcc
	v_cndmask_b32_e32 v16, v23, v16, vcc
	v_lshlrev_b64 v[10:11], v10, -1
	v_not_b32_e32 v10, v10
	v_lshrrev_b64 v[38:39], v55, v[16:17]
	v_not_b32_e32 v11, v11
	v_and_b32_e32 v10, v16, v10
	v_add_u32_e32 v22, 19, v55
	v_lshrrev_b32_e32 v16, 23, v38
	v_and_b32_e32 v11, 0, v11
	v_lshlrev_b64 v[22:23], v22, 1
	v_add3_u32 v55, v55, v35, v16
	v_bfe_u32 v16, v38, 20, 1
	v_add_u32_e32 v16, -1, v16
	v_cmp_eq_u64_e32 vcc, v[10:11], v[22:23]
	v_cndmask_b32_e32 v10, 0, v16, vcc
	v_add_u32_e32 v10, v10, v38
	v_and_b32_e32 v10, 0xfffff, v10
	v_add_co_u32_e32 v10, vcc, v10, v38
	v_add_u32_e32 v35, 6, v55
	v_addc_co_u32_e32 v11, vcc, 0, v39, vcc
	v_cmp_ne_u32_e32 vcc, 0, v35
                                        ; implicit-def: $vgpr16
	s_and_saveexec_b64 s[20:21], vcc
	s_xor_b64 s[20:21], exec, s[20:21]
; %bb.5499:                             ;   in Loop: Header=BB2_5355 Depth=2
	v_cmp_lt_u64_e32 vcc, s[44:45], v[10:11]
	v_add_u32_e32 v16, 7, v55
	v_cndmask_b32_e64 v22, 0, 1, vcc
	v_cndmask_b32_e32 v16, v35, v16, vcc
	v_lshrrev_b64 v[10:11], v22, v[10:11]
; %bb.5500:                             ;   in Loop: Header=BB2_5355 Depth=2
	s_andn2_saveexec_b64 s[20:21], s[20:21]
; %bb.5501:                             ;   in Loop: Header=BB2_5355 Depth=2
	v_bfe_u32 v16, v10, 23, 1
; %bb.5502:                             ;   in Loop: Header=BB2_5355 Depth=2
	s_or_b64 exec, exec, s[20:21]
	v_lshrrev_b64 v[10:11], 20, v[10:11]
	v_cmp_gt_i32_e32 vcc, 16, v16
	v_cndmask_b32_e32 v11, 0, v11, vcc
	v_cndmask_b32_e32 v10, 7, v10, vcc
	v_cmp_eq_u64_e64 s[20:21], 0, v[10:11]
	v_min_i32_e32 v11, 15, v16
	v_lshlrev_b32_e32 v11, 3, v11
	v_cmp_eq_u32_e32 vcc, 0, v16
	v_and_b32_e32 v11, 0xf8, v11
	v_and_or_b32 v10, v10, 7, v11
	s_and_b64 s[20:21], vcc, s[20:21]
	v_cndmask_b32_e64 v10, v10, 0, s[20:21]
	v_or_b32_e32 v35, v10, v53
.LBB2_5503:                             ;   in Loop: Header=BB2_5355 Depth=2
	s_or_b64 exec, exec, s[58:59]
.LBB2_5504:                             ;   in Loop: Header=BB2_5355 Depth=2
	s_or_b64 exec, exec, s[56:57]
                                        ; implicit-def: $vgpr10
.LBB2_5505:                             ;   in Loop: Header=BB2_5355 Depth=2
	s_andn2_saveexec_b64 s[20:21], s[54:55]
; %bb.5506:                             ;   in Loop: Header=BB2_5355 Depth=2
	v_or_b32_sdwa v10, v10, s68 dst_sel:DWORD dst_unused:UNUSED_PAD src0_sel:BYTE_3 src1_sel:DWORD
	v_cmp_eq_u64_e32 vcc, 0, v[16:17]
	v_cndmask_b32_e32 v35, v10, v35, vcc
; %bb.5507:                             ;   in Loop: Header=BB2_5355 Depth=2
	s_or_b64 exec, exec, s[20:21]
	v_cmp_ne_u16_sdwa vcc, v12, v17 src0_sel:BYTE_0 src1_sel:DWORD
	v_mov_b32_e32 v10, 0
	s_and_saveexec_b64 s[20:21], vcc
	s_cbranch_execz .LBB2_5513
; %bb.5508:                             ;   in Loop: Header=BB2_5355 Depth=2
	v_cmp_ne_u16_sdwa vcc, v12, s69 src0_sel:BYTE_0 src1_sel:DWORD
	v_bfrev_b32_e32 v10, 1
	s_and_saveexec_b64 s[54:55], vcc
	s_cbranch_execz .LBB2_5512
; %bb.5509:                             ;   in Loop: Header=BB2_5355 Depth=2
	v_and_b32_e32 v11, 0x7f, v12
	v_cmp_ne_u32_e32 vcc, s68, v11
	v_mov_b32_e32 v10, 0x7f800001
	s_and_saveexec_b64 s[56:57], vcc
	s_cbranch_execz .LBB2_5511
; %bb.5510:                             ;   in Loop: Header=BB2_5355 Depth=2
	v_and_b32_e32 v10, 7, v12
	v_ffbh_u32_e32 v10, v10
	v_min_u32_e32 v10, 32, v10
	v_lshrrev_b32_e32 v16, 3, v11
	v_subrev_u32_e32 v22, 28, v10
	v_sub_u32_e32 v10, 29, v10
	v_cmp_gt_u32_e32 vcc, 8, v11
	v_cndmask_b32_e32 v16, v16, v10, vcc
	v_cndmask_b32_e32 v10, 0, v22, vcc
	v_lshlrev_b64 v[10:11], v10, v[12:13]
	v_lshlrev_b32_e32 v10, 20, v10
	v_lshlrev_b32_e32 v11, 24, v12
	v_and_b32_e32 v10, 0x700000, v10
	v_and_b32_e32 v11, 0x80000000, v11
	v_lshl_add_u32 v16, v16, 23, v47
	v_or3_b32 v10, v11, v16, v10
.LBB2_5511:                             ;   in Loop: Header=BB2_5355 Depth=2
	s_or_b64 exec, exec, s[56:57]
.LBB2_5512:                             ;   in Loop: Header=BB2_5355 Depth=2
	s_or_b64 exec, exec, s[54:55]
.LBB2_5513:                             ;   in Loop: Header=BB2_5355 Depth=2
	s_or_b64 exec, exec, s[20:21]
	v_mul_f32_e32 v10, v19, v10
	v_and_b32_sdwa v55, v10, s69 dst_sel:DWORD dst_unused:UNUSED_PAD src0_sel:BYTE_3 src1_sel:DWORD
	v_and_b32_e32 v22, 0x7f800000, v10
	v_mov_b32_e32 v23, v17
	v_and_b32_e32 v16, 0x7fffff, v10
	v_or_b32_e32 v53, 0x7e, v55
	v_cmp_ne_u64_e32 vcc, s[38:39], v[22:23]
	s_and_saveexec_b64 s[20:21], vcc
	s_xor_b64 s[54:55], exec, s[20:21]
	s_cbranch_execz .LBB2_5523
; %bb.5514:                             ;   in Loop: Header=BB2_5355 Depth=2
	v_and_b32_e32 v22, 0x7fffffff, v10
	v_mov_b32_e32 v23, v17
	v_cmp_gt_u64_e32 vcc, s[40:41], v[22:23]
	s_and_saveexec_b64 s[56:57], vcc
	s_cbranch_execz .LBB2_5522
; %bb.5515:                             ;   in Loop: Header=BB2_5355 Depth=2
	v_cmp_ne_u32_e32 vcc, 0, v10
	v_mov_b32_e32 v53, 0
	s_and_saveexec_b64 s[58:59], vcc
	s_cbranch_execz .LBB2_5521
; %bb.5516:                             ;   in Loop: Header=BB2_5355 Depth=2
	v_bfe_u32 v10, v10, 23, 8
	v_sub_u32_e32 v22, 0x79, v10
	v_cmp_gt_u32_e32 vcc, s70, v10
	v_cndmask_b32_e32 v22, 0, v22, vcc
	v_cmp_eq_u32_e32 vcc, 0, v10
	v_cndmask_b32_e32 v42, v22, v57, vcc
	v_add_u32_e32 v11, 0xffffff81, v10
	v_or_b32_e32 v23, 0x800000, v16
	v_add_u32_e32 v10, 20, v42
	v_cndmask_b32_e32 v53, v11, v56, vcc
	v_cndmask_b32_e32 v16, v23, v16, vcc
	v_lshlrev_b64 v[10:11], v10, -1
	v_not_b32_e32 v10, v10
	v_lshrrev_b64 v[38:39], v42, v[16:17]
	v_not_b32_e32 v11, v11
	v_and_b32_e32 v10, v16, v10
	v_add_u32_e32 v22, 19, v42
	v_lshrrev_b32_e32 v16, 23, v38
	v_and_b32_e32 v11, 0, v11
	v_lshlrev_b64 v[22:23], v22, 1
	v_add3_u32 v42, v42, v53, v16
	v_bfe_u32 v16, v38, 20, 1
	v_add_u32_e32 v16, -1, v16
	v_cmp_eq_u64_e32 vcc, v[10:11], v[22:23]
	v_cndmask_b32_e32 v10, 0, v16, vcc
	v_add_u32_e32 v10, v10, v38
	v_and_b32_e32 v10, 0xfffff, v10
	v_add_co_u32_e32 v10, vcc, v10, v38
	v_add_u32_e32 v53, 6, v42
	v_addc_co_u32_e32 v11, vcc, 0, v39, vcc
	v_cmp_ne_u32_e32 vcc, 0, v53
                                        ; implicit-def: $vgpr16
	s_and_saveexec_b64 s[20:21], vcc
	s_xor_b64 s[20:21], exec, s[20:21]
; %bb.5517:                             ;   in Loop: Header=BB2_5355 Depth=2
	v_cmp_lt_u64_e32 vcc, s[44:45], v[10:11]
	v_add_u32_e32 v16, 7, v42
	v_cndmask_b32_e64 v22, 0, 1, vcc
	v_cndmask_b32_e32 v16, v53, v16, vcc
	v_lshrrev_b64 v[10:11], v22, v[10:11]
; %bb.5518:                             ;   in Loop: Header=BB2_5355 Depth=2
	s_andn2_saveexec_b64 s[20:21], s[20:21]
; %bb.5519:                             ;   in Loop: Header=BB2_5355 Depth=2
	v_bfe_u32 v16, v10, 23, 1
; %bb.5520:                             ;   in Loop: Header=BB2_5355 Depth=2
	s_or_b64 exec, exec, s[20:21]
	v_lshrrev_b64 v[10:11], 20, v[10:11]
	v_cmp_gt_i32_e32 vcc, 16, v16
	v_cndmask_b32_e32 v11, 0, v11, vcc
	v_cndmask_b32_e32 v10, 7, v10, vcc
	v_cmp_eq_u64_e64 s[20:21], 0, v[10:11]
	v_min_i32_e32 v11, 15, v16
	v_cmp_eq_u32_e32 vcc, 0, v16
	v_lshlrev_b32_e32 v11, 3, v11
	v_and_or_b32 v10, v10, 7, v11
	s_and_b64 s[20:21], vcc, s[20:21]
	v_cndmask_b32_e64 v10, v10, 0, s[20:21]
	v_or_b32_e32 v53, v10, v55
.LBB2_5521:                             ;   in Loop: Header=BB2_5355 Depth=2
	s_or_b64 exec, exec, s[58:59]
.LBB2_5522:                             ;   in Loop: Header=BB2_5355 Depth=2
	s_or_b64 exec, exec, s[56:57]
                                        ; implicit-def: $vgpr10
.LBB2_5523:                             ;   in Loop: Header=BB2_5355 Depth=2
	s_andn2_saveexec_b64 s[20:21], s[54:55]
; %bb.5524:                             ;   in Loop: Header=BB2_5355 Depth=2
	v_or_b32_sdwa v10, v10, s68 dst_sel:DWORD dst_unused:UNUSED_PAD src0_sel:BYTE_3 src1_sel:DWORD
	v_cmp_eq_u64_e32 vcc, 0, v[16:17]
	v_cndmask_b32_e32 v53, v10, v53, vcc
; %bb.5525:                             ;   in Loop: Header=BB2_5355 Depth=2
	s_or_b64 exec, exec, s[20:21]
	v_lshrrev_b16_e32 v10, 8, v12
	v_cmp_ne_u16_e32 vcc, 0, v10
	v_mov_b32_e32 v11, 0
	s_and_saveexec_b64 s[20:21], vcc
	s_cbranch_execz .LBB2_5531
; %bb.5526:                             ;   in Loop: Header=BB2_5355 Depth=2
	v_cmp_ne_u16_e32 vcc, s69, v10
	v_bfrev_b32_e32 v11, 1
	s_and_saveexec_b64 s[54:55], vcc
	s_cbranch_execz .LBB2_5530
; %bb.5527:                             ;   in Loop: Header=BB2_5355 Depth=2
	v_and_b32_e32 v16, 0x7f, v10
	v_cmp_ne_u32_e32 vcc, s68, v16
	v_mov_b32_e32 v11, 0x7f800001
	s_and_saveexec_b64 s[56:57], vcc
	s_cbranch_execz .LBB2_5529
; %bb.5528:                             ;   in Loop: Header=BB2_5355 Depth=2
	v_and_b32_e32 v22, 7, v10
	v_ffbh_u32_e32 v11, v22
	v_min_u32_e32 v38, 32, v11
	v_subrev_u32_e32 v11, 28, v38
	v_lshlrev_b64 v[10:11], v11, v[10:11]
	v_lshrrev_b32_e32 v23, 3, v16
	v_sub_u32_e32 v11, 29, v38
	v_and_b32_e32 v10, 7, v10
	v_cmp_gt_u32_e32 vcc, 8, v16
	v_cndmask_b32_e32 v11, v23, v11, vcc
	v_cndmask_b32_e32 v10, v22, v10, vcc
	v_lshlrev_b32_e32 v16, 16, v12
	v_lshlrev_b32_e32 v10, 20, v10
	v_and_b32_e32 v16, 0x80000000, v16
	v_lshl_add_u32 v11, v11, 23, v47
	v_or3_b32 v11, v16, v11, v10
.LBB2_5529:                             ;   in Loop: Header=BB2_5355 Depth=2
	s_or_b64 exec, exec, s[56:57]
.LBB2_5530:                             ;   in Loop: Header=BB2_5355 Depth=2
	s_or_b64 exec, exec, s[54:55]
.LBB2_5531:                             ;   in Loop: Header=BB2_5355 Depth=2
	s_or_b64 exec, exec, s[20:21]
	v_mul_f32_e32 v10, v19, v11
	v_and_b32_sdwa v42, v10, s69 dst_sel:DWORD dst_unused:UNUSED_PAD src0_sel:BYTE_3 src1_sel:DWORD
	v_and_b32_e32 v22, 0x7f800000, v10
	v_mov_b32_e32 v23, v17
	v_and_b32_e32 v16, 0x7fffff, v10
	v_or_b32_e32 v55, 0x7e, v42
	v_cmp_ne_u64_e32 vcc, s[38:39], v[22:23]
	s_and_saveexec_b64 s[20:21], vcc
	s_xor_b64 s[54:55], exec, s[20:21]
	s_cbranch_execz .LBB2_5541
; %bb.5532:                             ;   in Loop: Header=BB2_5355 Depth=2
	v_and_b32_e32 v22, 0x7fffffff, v10
	v_mov_b32_e32 v23, v17
	v_cmp_gt_u64_e32 vcc, s[40:41], v[22:23]
	s_and_saveexec_b64 s[56:57], vcc
	s_cbranch_execz .LBB2_5540
; %bb.5533:                             ;   in Loop: Header=BB2_5355 Depth=2
	v_cmp_ne_u32_e32 vcc, 0, v10
	v_mov_b32_e32 v55, 0
	s_and_saveexec_b64 s[58:59], vcc
	s_cbranch_execz .LBB2_5539
; %bb.5534:                             ;   in Loop: Header=BB2_5355 Depth=2
	v_bfe_u32 v10, v10, 23, 8
	v_sub_u32_e32 v22, 0x79, v10
	v_cmp_gt_u32_e32 vcc, s70, v10
	v_cndmask_b32_e32 v22, 0, v22, vcc
	v_cmp_eq_u32_e32 vcc, 0, v10
	v_cndmask_b32_e32 v43, v22, v57, vcc
	v_add_u32_e32 v11, 0xffffff81, v10
	v_or_b32_e32 v23, 0x800000, v16
	v_add_u32_e32 v10, 20, v43
	v_cndmask_b32_e32 v55, v11, v56, vcc
	v_cndmask_b32_e32 v16, v23, v16, vcc
	v_lshlrev_b64 v[10:11], v10, -1
	v_not_b32_e32 v10, v10
	v_lshrrev_b64 v[38:39], v43, v[16:17]
	v_not_b32_e32 v11, v11
	v_and_b32_e32 v10, v16, v10
	v_add_u32_e32 v22, 19, v43
	v_lshrrev_b32_e32 v16, 23, v38
	v_and_b32_e32 v11, 0, v11
	v_lshlrev_b64 v[22:23], v22, 1
	v_add3_u32 v43, v43, v55, v16
	v_bfe_u32 v16, v38, 20, 1
	v_add_u32_e32 v16, -1, v16
	v_cmp_eq_u64_e32 vcc, v[10:11], v[22:23]
	v_cndmask_b32_e32 v10, 0, v16, vcc
	v_add_u32_e32 v10, v10, v38
	v_and_b32_e32 v10, 0xfffff, v10
	v_add_co_u32_e32 v10, vcc, v10, v38
	v_add_u32_e32 v55, 6, v43
	v_addc_co_u32_e32 v11, vcc, 0, v39, vcc
	v_cmp_ne_u32_e32 vcc, 0, v55
                                        ; implicit-def: $vgpr16
	s_and_saveexec_b64 s[20:21], vcc
	s_xor_b64 s[20:21], exec, s[20:21]
; %bb.5535:                             ;   in Loop: Header=BB2_5355 Depth=2
	v_cmp_lt_u64_e32 vcc, s[44:45], v[10:11]
	v_add_u32_e32 v16, 7, v43
	v_cndmask_b32_e64 v22, 0, 1, vcc
	v_cndmask_b32_e32 v16, v55, v16, vcc
	v_lshrrev_b64 v[10:11], v22, v[10:11]
; %bb.5536:                             ;   in Loop: Header=BB2_5355 Depth=2
	s_andn2_saveexec_b64 s[20:21], s[20:21]
; %bb.5537:                             ;   in Loop: Header=BB2_5355 Depth=2
	v_bfe_u32 v16, v10, 23, 1
; %bb.5538:                             ;   in Loop: Header=BB2_5355 Depth=2
	s_or_b64 exec, exec, s[20:21]
	v_lshrrev_b64 v[10:11], 20, v[10:11]
	v_cmp_gt_i32_e32 vcc, 16, v16
	v_cndmask_b32_e32 v11, 0, v11, vcc
	v_cndmask_b32_e32 v10, 7, v10, vcc
	v_cmp_eq_u64_e64 s[20:21], 0, v[10:11]
	v_min_i32_e32 v11, 15, v16
	v_cmp_eq_u32_e32 vcc, 0, v16
	v_lshlrev_b32_e32 v11, 3, v11
	v_and_or_b32 v10, v10, 7, v11
	s_and_b64 s[20:21], vcc, s[20:21]
	v_cndmask_b32_e64 v10, v10, 0, s[20:21]
	v_or_b32_e32 v55, v10, v42
.LBB2_5539:                             ;   in Loop: Header=BB2_5355 Depth=2
	s_or_b64 exec, exec, s[58:59]
.LBB2_5540:                             ;   in Loop: Header=BB2_5355 Depth=2
	s_or_b64 exec, exec, s[56:57]
                                        ; implicit-def: $vgpr10
.LBB2_5541:                             ;   in Loop: Header=BB2_5355 Depth=2
	s_andn2_saveexec_b64 s[20:21], s[54:55]
; %bb.5542:                             ;   in Loop: Header=BB2_5355 Depth=2
	v_or_b32_sdwa v10, v10, s68 dst_sel:DWORD dst_unused:UNUSED_PAD src0_sel:BYTE_3 src1_sel:DWORD
	v_cmp_eq_u64_e32 vcc, 0, v[16:17]
	v_cndmask_b32_e32 v55, v10, v55, vcc
; %bb.5543:                             ;   in Loop: Header=BB2_5355 Depth=2
	s_or_b64 exec, exec, s[20:21]
	v_lshrrev_b32_e32 v10, 16, v12
	v_cmp_ne_u16_sdwa vcc, v10, v17 src0_sel:BYTE_0 src1_sel:DWORD
	v_mov_b32_e32 v11, 0
	s_and_saveexec_b64 s[20:21], vcc
	s_cbranch_execz .LBB2_5549
; %bb.5544:                             ;   in Loop: Header=BB2_5355 Depth=2
	v_cmp_ne_u16_sdwa vcc, v10, s69 src0_sel:BYTE_0 src1_sel:DWORD
	v_bfrev_b32_e32 v11, 1
	s_and_saveexec_b64 s[54:55], vcc
	s_cbranch_execz .LBB2_5548
; %bb.5545:                             ;   in Loop: Header=BB2_5355 Depth=2
	v_bfe_u32 v16, v12, 16, 7
	v_cmp_ne_u32_e32 vcc, s68, v16
	v_mov_b32_e32 v11, 0x7f800001
	s_and_saveexec_b64 s[56:57], vcc
	s_cbranch_execz .LBB2_5547
; %bb.5546:                             ;   in Loop: Header=BB2_5355 Depth=2
	v_and_b32_e32 v11, 7, v10
	v_ffbh_u32_e32 v22, v11
	v_min_u32_e32 v39, 32, v22
	v_subrev_u32_e32 v22, 28, v39
	v_lshlrev_b64 v[22:23], v22, v[10:11]
	v_lshrrev_b32_e32 v38, 3, v16
	v_sub_u32_e32 v23, 29, v39
	v_and_b32_e32 v22, 7, v22
	v_cmp_gt_u32_e32 vcc, 8, v16
	v_cndmask_b32_e32 v16, v38, v23, vcc
	v_cndmask_b32_e32 v11, v11, v22, vcc
	v_lshlrev_b32_e32 v10, 24, v10
	v_lshlrev_b32_e32 v11, 20, v11
	v_and_b32_e32 v10, 0x80000000, v10
	v_lshl_add_u32 v16, v16, 23, v47
	v_or3_b32 v11, v10, v16, v11
.LBB2_5547:                             ;   in Loop: Header=BB2_5355 Depth=2
	s_or_b64 exec, exec, s[56:57]
.LBB2_5548:                             ;   in Loop: Header=BB2_5355 Depth=2
	s_or_b64 exec, exec, s[54:55]
.LBB2_5549:                             ;   in Loop: Header=BB2_5355 Depth=2
	s_or_b64 exec, exec, s[20:21]
	v_mul_f32_e32 v10, v19, v11
	v_and_b32_sdwa v43, v10, s69 dst_sel:DWORD dst_unused:UNUSED_PAD src0_sel:BYTE_3 src1_sel:DWORD
	v_and_b32_e32 v22, 0x7f800000, v10
	v_mov_b32_e32 v23, v17
	v_and_b32_e32 v16, 0x7fffff, v10
	v_or_b32_e32 v42, 0x7e, v43
	v_cmp_ne_u64_e32 vcc, s[38:39], v[22:23]
	s_and_saveexec_b64 s[20:21], vcc
	s_xor_b64 s[54:55], exec, s[20:21]
	s_cbranch_execz .LBB2_5559
; %bb.5550:                             ;   in Loop: Header=BB2_5355 Depth=2
	v_and_b32_e32 v22, 0x7fffffff, v10
	v_mov_b32_e32 v23, v17
	v_cmp_gt_u64_e32 vcc, s[40:41], v[22:23]
	s_and_saveexec_b64 s[56:57], vcc
	s_cbranch_execz .LBB2_5558
; %bb.5551:                             ;   in Loop: Header=BB2_5355 Depth=2
	v_cmp_ne_u32_e32 vcc, 0, v10
	v_mov_b32_e32 v42, 0
	s_and_saveexec_b64 s[58:59], vcc
	s_cbranch_execz .LBB2_5557
; %bb.5552:                             ;   in Loop: Header=BB2_5355 Depth=2
	v_bfe_u32 v10, v10, 23, 8
	v_sub_u32_e32 v22, 0x79, v10
	v_cmp_gt_u32_e32 vcc, s70, v10
	v_cndmask_b32_e32 v22, 0, v22, vcc
	v_cmp_eq_u32_e32 vcc, 0, v10
	v_cndmask_b32_e32 v46, v22, v57, vcc
	v_add_u32_e32 v11, 0xffffff81, v10
	v_or_b32_e32 v23, 0x800000, v16
	v_add_u32_e32 v10, 20, v46
	v_cndmask_b32_e32 v42, v11, v56, vcc
	v_cndmask_b32_e32 v16, v23, v16, vcc
	v_lshlrev_b64 v[10:11], v10, -1
	v_not_b32_e32 v10, v10
	v_lshrrev_b64 v[38:39], v46, v[16:17]
	v_not_b32_e32 v11, v11
	v_and_b32_e32 v10, v16, v10
	v_add_u32_e32 v22, 19, v46
	v_lshrrev_b32_e32 v16, 23, v38
	v_and_b32_e32 v11, 0, v11
	v_lshlrev_b64 v[22:23], v22, 1
	v_add3_u32 v58, v46, v42, v16
	v_bfe_u32 v16, v38, 20, 1
	v_add_u32_e32 v16, -1, v16
	v_cmp_eq_u64_e32 vcc, v[10:11], v[22:23]
	v_cndmask_b32_e32 v10, 0, v16, vcc
	v_add_u32_e32 v10, v10, v38
	v_and_b32_e32 v10, 0xfffff, v10
	v_add_co_u32_e32 v10, vcc, v10, v38
	v_add_u32_e32 v42, 6, v58
	v_addc_co_u32_e32 v11, vcc, 0, v39, vcc
	v_cmp_ne_u32_e32 vcc, 0, v42
                                        ; implicit-def: $vgpr16
	s_and_saveexec_b64 s[20:21], vcc
	s_xor_b64 s[20:21], exec, s[20:21]
; %bb.5553:                             ;   in Loop: Header=BB2_5355 Depth=2
	v_cmp_lt_u64_e32 vcc, s[44:45], v[10:11]
	v_add_u32_e32 v16, 7, v58
	v_cndmask_b32_e64 v22, 0, 1, vcc
	v_cndmask_b32_e32 v16, v42, v16, vcc
	v_lshrrev_b64 v[10:11], v22, v[10:11]
; %bb.5554:                             ;   in Loop: Header=BB2_5355 Depth=2
	s_andn2_saveexec_b64 s[20:21], s[20:21]
; %bb.5555:                             ;   in Loop: Header=BB2_5355 Depth=2
	v_bfe_u32 v16, v10, 23, 1
; %bb.5556:                             ;   in Loop: Header=BB2_5355 Depth=2
	s_or_b64 exec, exec, s[20:21]
	v_lshrrev_b64 v[10:11], 20, v[10:11]
	v_cmp_gt_i32_e32 vcc, 16, v16
	v_cndmask_b32_e32 v11, 0, v11, vcc
	v_cndmask_b32_e32 v10, 7, v10, vcc
	v_cmp_eq_u64_e64 s[20:21], 0, v[10:11]
	v_min_i32_e32 v11, 15, v16
	v_cmp_eq_u32_e32 vcc, 0, v16
	v_lshlrev_b32_e32 v11, 3, v11
	v_and_or_b32 v10, v10, 7, v11
	s_and_b64 s[20:21], vcc, s[20:21]
	v_cndmask_b32_e64 v10, v10, 0, s[20:21]
	v_or_b32_e32 v42, v10, v43
.LBB2_5557:                             ;   in Loop: Header=BB2_5355 Depth=2
	s_or_b64 exec, exec, s[58:59]
.LBB2_5558:                             ;   in Loop: Header=BB2_5355 Depth=2
	s_or_b64 exec, exec, s[56:57]
                                        ; implicit-def: $vgpr10
.LBB2_5559:                             ;   in Loop: Header=BB2_5355 Depth=2
	s_andn2_saveexec_b64 s[20:21], s[54:55]
; %bb.5560:                             ;   in Loop: Header=BB2_5355 Depth=2
	v_or_b32_sdwa v10, v10, s68 dst_sel:DWORD dst_unused:UNUSED_PAD src0_sel:BYTE_3 src1_sel:DWORD
	v_cmp_eq_u64_e32 vcc, 0, v[16:17]
	v_cndmask_b32_e32 v42, v10, v42, vcc
; %bb.5561:                             ;   in Loop: Header=BB2_5355 Depth=2
	s_or_b64 exec, exec, s[20:21]
	v_cmp_lt_u32_e32 vcc, s43, v12
	v_mov_b32_e32 v11, 0
	s_and_saveexec_b64 s[20:21], vcc
	s_cbranch_execz .LBB2_5567
; %bb.5562:                             ;   in Loop: Header=BB2_5355 Depth=2
	v_lshrrev_b32_e32 v10, 24, v12
	v_cmp_ne_u32_e32 vcc, s69, v10
	v_bfrev_b32_e32 v11, 1
	s_and_saveexec_b64 s[54:55], vcc
	s_cbranch_execz .LBB2_5566
; %bb.5563:                             ;   in Loop: Header=BB2_5355 Depth=2
	v_bfe_u32 v16, v12, 24, 7
	v_cmp_ne_u32_e32 vcc, s68, v16
	v_mov_b32_e32 v11, 0x7f800001
	s_and_saveexec_b64 s[56:57], vcc
	s_cbranch_execz .LBB2_5565
; %bb.5564:                             ;   in Loop: Header=BB2_5355 Depth=2
	v_and_b32_e32 v11, 7, v10
	v_ffbh_u32_e32 v22, v11
	v_min_u32_e32 v39, 32, v22
	v_subrev_u32_e32 v22, 28, v39
	v_lshlrev_b64 v[22:23], v22, v[10:11]
	v_lshrrev_b32_e32 v38, 3, v16
	v_sub_u32_e32 v23, 29, v39
	v_and_b32_e32 v22, 7, v22
	v_cmp_gt_u32_e32 vcc, 8, v16
	v_cndmask_b32_e32 v16, v38, v23, vcc
	v_cndmask_b32_e32 v11, v11, v22, vcc
	v_lshlrev_b32_e32 v10, 24, v10
	v_lshlrev_b32_e32 v11, 20, v11
	v_and_b32_e32 v10, 0x80000000, v10
	v_lshl_add_u32 v16, v16, 23, v47
	v_or3_b32 v11, v10, v16, v11
.LBB2_5565:                             ;   in Loop: Header=BB2_5355 Depth=2
	s_or_b64 exec, exec, s[56:57]
.LBB2_5566:                             ;   in Loop: Header=BB2_5355 Depth=2
	s_or_b64 exec, exec, s[54:55]
.LBB2_5567:                             ;   in Loop: Header=BB2_5355 Depth=2
	s_or_b64 exec, exec, s[20:21]
	v_mul_f32_e32 v10, v19, v11
	v_and_b32_sdwa v58, v10, s69 dst_sel:DWORD dst_unused:UNUSED_PAD src0_sel:BYTE_3 src1_sel:DWORD
	v_and_b32_e32 v22, 0x7f800000, v10
	v_mov_b32_e32 v23, v17
	v_and_b32_e32 v16, 0x7fffff, v10
	v_or_b32_e32 v43, 0x7e, v58
	v_cmp_ne_u64_e32 vcc, s[38:39], v[22:23]
	s_and_saveexec_b64 s[20:21], vcc
	s_xor_b64 s[54:55], exec, s[20:21]
	s_cbranch_execz .LBB2_5577
; %bb.5568:                             ;   in Loop: Header=BB2_5355 Depth=2
	v_and_b32_e32 v22, 0x7fffffff, v10
	v_mov_b32_e32 v23, v17
	v_cmp_gt_u64_e32 vcc, s[40:41], v[22:23]
	s_and_saveexec_b64 s[56:57], vcc
	s_cbranch_execz .LBB2_5576
; %bb.5569:                             ;   in Loop: Header=BB2_5355 Depth=2
	v_cmp_ne_u32_e32 vcc, 0, v10
	v_mov_b32_e32 v43, 0
	s_and_saveexec_b64 s[58:59], vcc
	s_cbranch_execz .LBB2_5575
; %bb.5570:                             ;   in Loop: Header=BB2_5355 Depth=2
	v_bfe_u32 v10, v10, 23, 8
	v_sub_u32_e32 v22, 0x79, v10
	v_cmp_gt_u32_e32 vcc, s70, v10
	v_cndmask_b32_e32 v22, 0, v22, vcc
	v_cmp_eq_u32_e32 vcc, 0, v10
	v_cndmask_b32_e32 v46, v22, v57, vcc
	v_add_u32_e32 v11, 0xffffff81, v10
	v_or_b32_e32 v23, 0x800000, v16
	v_add_u32_e32 v10, 20, v46
	v_cndmask_b32_e32 v43, v11, v56, vcc
	v_cndmask_b32_e32 v16, v23, v16, vcc
	v_lshlrev_b64 v[10:11], v10, -1
	v_not_b32_e32 v10, v10
	v_lshrrev_b64 v[38:39], v46, v[16:17]
	v_not_b32_e32 v11, v11
	v_and_b32_e32 v10, v16, v10
	v_add_u32_e32 v22, 19, v46
	v_lshrrev_b32_e32 v16, 23, v38
	v_and_b32_e32 v11, 0, v11
	v_lshlrev_b64 v[22:23], v22, 1
	v_add3_u32 v60, v46, v43, v16
	v_bfe_u32 v16, v38, 20, 1
	v_add_u32_e32 v16, -1, v16
	v_cmp_eq_u64_e32 vcc, v[10:11], v[22:23]
	v_cndmask_b32_e32 v10, 0, v16, vcc
	v_add_u32_e32 v10, v10, v38
	v_and_b32_e32 v10, 0xfffff, v10
	v_add_co_u32_e32 v10, vcc, v10, v38
	v_add_u32_e32 v43, 6, v60
	v_addc_co_u32_e32 v11, vcc, 0, v39, vcc
	v_cmp_ne_u32_e32 vcc, 0, v43
                                        ; implicit-def: $vgpr16
	s_and_saveexec_b64 s[20:21], vcc
	s_xor_b64 s[20:21], exec, s[20:21]
; %bb.5571:                             ;   in Loop: Header=BB2_5355 Depth=2
	v_cmp_lt_u64_e32 vcc, s[44:45], v[10:11]
	v_add_u32_e32 v16, 7, v60
	v_cndmask_b32_e64 v22, 0, 1, vcc
	v_cndmask_b32_e32 v16, v43, v16, vcc
	v_lshrrev_b64 v[10:11], v22, v[10:11]
; %bb.5572:                             ;   in Loop: Header=BB2_5355 Depth=2
	s_andn2_saveexec_b64 s[20:21], s[20:21]
; %bb.5573:                             ;   in Loop: Header=BB2_5355 Depth=2
	v_bfe_u32 v16, v10, 23, 1
; %bb.5574:                             ;   in Loop: Header=BB2_5355 Depth=2
	s_or_b64 exec, exec, s[20:21]
	v_lshrrev_b64 v[10:11], 20, v[10:11]
	v_cmp_gt_i32_e32 vcc, 16, v16
	v_cndmask_b32_e32 v11, 0, v11, vcc
	v_cndmask_b32_e32 v10, 7, v10, vcc
	v_cmp_eq_u64_e64 s[20:21], 0, v[10:11]
	v_min_i32_e32 v11, 15, v16
	v_cmp_eq_u32_e32 vcc, 0, v16
	v_lshlrev_b32_e32 v11, 3, v11
	v_and_or_b32 v10, v10, 7, v11
	s_and_b64 s[20:21], vcc, s[20:21]
	v_cndmask_b32_e64 v10, v10, 0, s[20:21]
	v_or_b32_e32 v43, v10, v58
.LBB2_5575:                             ;   in Loop: Header=BB2_5355 Depth=2
	s_or_b64 exec, exec, s[58:59]
.LBB2_5576:                             ;   in Loop: Header=BB2_5355 Depth=2
	s_or_b64 exec, exec, s[56:57]
                                        ; implicit-def: $vgpr10
.LBB2_5577:                             ;   in Loop: Header=BB2_5355 Depth=2
	s_andn2_saveexec_b64 s[20:21], s[54:55]
; %bb.5578:                             ;   in Loop: Header=BB2_5355 Depth=2
	v_or_b32_sdwa v10, v10, s68 dst_sel:DWORD dst_unused:UNUSED_PAD src0_sel:BYTE_3 src1_sel:DWORD
	v_cmp_eq_u64_e32 vcc, 0, v[16:17]
	v_cndmask_b32_e32 v43, v10, v43, vcc
; %bb.5579:                             ;   in Loop: Header=BB2_5355 Depth=2
	s_or_b64 exec, exec, s[20:21]
	v_mov_b32_e32 v16, v13
	v_cmp_ne_u16_sdwa vcc, v13, v17 src0_sel:BYTE_0 src1_sel:DWORD
	v_mov_b32_e32 v10, 0
	s_and_saveexec_b64 s[20:21], vcc
	s_cbranch_execz .LBB2_5585
; %bb.5580:                             ;   in Loop: Header=BB2_5355 Depth=2
	v_cmp_ne_u16_sdwa vcc, v13, s69 src0_sel:BYTE_0 src1_sel:DWORD
	v_bfrev_b32_e32 v10, 1
	s_and_saveexec_b64 s[54:55], vcc
	s_cbranch_execz .LBB2_5584
; %bb.5581:                             ;   in Loop: Header=BB2_5355 Depth=2
	v_and_b32_e32 v11, 0x7f, v13
	v_cmp_ne_u32_e32 vcc, s68, v11
	v_mov_b32_e32 v10, 0x7f800001
	s_and_saveexec_b64 s[56:57], vcc
	s_cbranch_execz .LBB2_5583
; %bb.5582:                             ;   in Loop: Header=BB2_5355 Depth=2
	v_and_b32_e32 v10, 7, v13
	v_ffbh_u32_e32 v10, v10
	v_min_u32_e32 v10, 32, v10
	v_lshrrev_b32_e32 v22, 3, v11
	v_subrev_u32_e32 v23, 28, v10
	v_sub_u32_e32 v10, 29, v10
	v_cmp_gt_u32_e32 vcc, 8, v11
	v_cndmask_b32_e32 v22, v22, v10, vcc
	v_cndmask_b32_e32 v10, 0, v23, vcc
	v_lshlrev_b64 v[10:11], v10, v[16:17]
	v_lshlrev_b32_e32 v10, 20, v10
	v_lshlrev_b32_e32 v11, 24, v16
	v_and_b32_e32 v10, 0x700000, v10
	v_and_b32_e32 v11, 0x80000000, v11
	v_lshl_add_u32 v22, v22, 23, v47
	v_or3_b32 v10, v11, v22, v10
.LBB2_5583:                             ;   in Loop: Header=BB2_5355 Depth=2
	s_or_b64 exec, exec, s[56:57]
.LBB2_5584:                             ;   in Loop: Header=BB2_5355 Depth=2
	s_or_b64 exec, exec, s[54:55]
.LBB2_5585:                             ;   in Loop: Header=BB2_5355 Depth=2
	s_or_b64 exec, exec, s[20:21]
	v_mul_f32_e32 v61, v19, v10
	v_and_b32_sdwa v60, v61, s69 dst_sel:DWORD dst_unused:UNUSED_PAD src0_sel:BYTE_3 src1_sel:DWORD
	v_and_b32_e32 v22, 0x7f800000, v61
	v_mov_b32_e32 v23, v17
	v_and_b32_e32 v10, 0x7fffff, v61
	v_mov_b32_e32 v11, v17
	v_or_b32_e32 v58, 0x7e, v60
	v_cmp_ne_u64_e32 vcc, s[38:39], v[22:23]
	s_and_saveexec_b64 s[20:21], vcc
	s_xor_b64 s[54:55], exec, s[20:21]
	s_cbranch_execz .LBB2_5595
; %bb.5586:                             ;   in Loop: Header=BB2_5355 Depth=2
	v_and_b32_e32 v22, 0x7fffffff, v61
	v_mov_b32_e32 v23, v17
	v_cmp_gt_u64_e32 vcc, s[40:41], v[22:23]
	s_and_saveexec_b64 s[56:57], vcc
	s_cbranch_execz .LBB2_5594
; %bb.5587:                             ;   in Loop: Header=BB2_5355 Depth=2
	v_cmp_ne_u32_e32 vcc, 0, v61
	v_mov_b32_e32 v58, 0
	s_and_saveexec_b64 s[58:59], vcc
	s_cbranch_execz .LBB2_5593
; %bb.5588:                             ;   in Loop: Header=BB2_5355 Depth=2
	v_bfe_u32 v22, v61, 23, 8
	v_sub_u32_e32 v38, 0x79, v22
	v_cmp_gt_u32_e32 vcc, s70, v22
	v_cndmask_b32_e32 v38, 0, v38, vcc
	v_cmp_eq_u32_e32 vcc, 0, v22
	v_cndmask_b32_e32 v58, v38, v57, vcc
	v_add_u32_e32 v23, 0xffffff81, v22
	v_add_u32_e32 v22, 20, v58
	v_or_b32_e32 v39, 0x800000, v10
	v_cndmask_b32_e32 v46, v23, v56, vcc
	v_lshlrev_b64 v[22:23], v22, -1
	v_cndmask_b32_e32 v10, v39, v10, vcc
	v_not_b32_e32 v22, v22
	v_and_b32_e32 v22, v10, v22
	v_lshrrev_b64 v[10:11], v58, v[10:11]
	v_not_b32_e32 v23, v23
	v_add_u32_e32 v38, 19, v58
	v_lshrrev_b32_e32 v61, 23, v10
	v_and_b32_e32 v23, 0, v23
	v_lshlrev_b64 v[38:39], v38, 1
	v_add3_u32 v62, v58, v46, v61
	v_bfe_u32 v46, v10, 20, 1
	v_add_u32_e32 v46, -1, v46
	v_cmp_eq_u64_e32 vcc, v[22:23], v[38:39]
	v_cndmask_b32_e32 v22, 0, v46, vcc
	v_add_u32_e32 v22, v22, v10
	v_and_b32_e32 v22, 0xfffff, v22
	v_add_co_u32_e32 v10, vcc, v22, v10
	v_add_u32_e32 v61, 6, v62
	v_addc_co_u32_e32 v11, vcc, 0, v11, vcc
	v_cmp_ne_u32_e32 vcc, 0, v61
                                        ; implicit-def: $vgpr58
	s_and_saveexec_b64 s[20:21], vcc
	s_xor_b64 s[20:21], exec, s[20:21]
; %bb.5589:                             ;   in Loop: Header=BB2_5355 Depth=2
	v_add_u32_e32 v22, 7, v62
	v_cmp_lt_u64_e32 vcc, s[44:45], v[10:11]
	v_cndmask_b32_e32 v58, v61, v22, vcc
	v_cndmask_b32_e64 v22, 0, 1, vcc
	v_lshrrev_b64 v[10:11], v22, v[10:11]
; %bb.5590:                             ;   in Loop: Header=BB2_5355 Depth=2
	s_andn2_saveexec_b64 s[20:21], s[20:21]
; %bb.5591:                             ;   in Loop: Header=BB2_5355 Depth=2
	v_bfe_u32 v58, v10, 23, 1
; %bb.5592:                             ;   in Loop: Header=BB2_5355 Depth=2
	s_or_b64 exec, exec, s[20:21]
	v_lshrrev_b64 v[10:11], 20, v[10:11]
	v_cmp_gt_i32_e32 vcc, 16, v58
	v_cndmask_b32_e32 v11, 0, v11, vcc
	v_cndmask_b32_e32 v10, 7, v10, vcc
	v_cmp_eq_u64_e64 s[20:21], 0, v[10:11]
	v_min_i32_e32 v11, 15, v58
	v_cmp_eq_u32_e32 vcc, 0, v58
	v_lshlrev_b32_e32 v11, 3, v11
	v_and_or_b32 v10, v10, 7, v11
	s_and_b64 s[20:21], vcc, s[20:21]
	v_cndmask_b32_e64 v10, v10, 0, s[20:21]
	v_or_b32_e32 v58, v10, v60
.LBB2_5593:                             ;   in Loop: Header=BB2_5355 Depth=2
	s_or_b64 exec, exec, s[58:59]
.LBB2_5594:                             ;   in Loop: Header=BB2_5355 Depth=2
	s_or_b64 exec, exec, s[56:57]
                                        ; implicit-def: $vgpr61
                                        ; implicit-def: $vgpr10_vgpr11
.LBB2_5595:                             ;   in Loop: Header=BB2_5355 Depth=2
	s_andn2_saveexec_b64 s[20:21], s[54:55]
; %bb.5596:                             ;   in Loop: Header=BB2_5355 Depth=2
	v_or_b32_sdwa v22, v61, s68 dst_sel:DWORD dst_unused:UNUSED_PAD src0_sel:BYTE_3 src1_sel:DWORD
	v_cmp_eq_u64_e32 vcc, 0, v[10:11]
	v_cndmask_b32_e32 v58, v22, v58, vcc
; %bb.5597:                             ;   in Loop: Header=BB2_5355 Depth=2
	s_or_b64 exec, exec, s[20:21]
	v_lshrrev_b16_e32 v10, 8, v16
	v_cmp_ne_u16_e32 vcc, 0, v10
	v_mov_b32_e32 v11, 0
	s_and_saveexec_b64 s[20:21], vcc
	s_cbranch_execz .LBB2_5603
; %bb.5598:                             ;   in Loop: Header=BB2_5355 Depth=2
	v_cmp_ne_u16_e32 vcc, s69, v10
	v_bfrev_b32_e32 v11, 1
	s_and_saveexec_b64 s[54:55], vcc
	s_cbranch_execz .LBB2_5602
; %bb.5599:                             ;   in Loop: Header=BB2_5355 Depth=2
	v_and_b32_e32 v46, 0x7f, v10
	v_cmp_ne_u32_e32 vcc, s68, v46
	v_mov_b32_e32 v11, 0x7f800001
	s_and_saveexec_b64 s[56:57], vcc
	s_cbranch_execz .LBB2_5601
; %bb.5600:                             ;   in Loop: Header=BB2_5355 Depth=2
	v_and_b32_e32 v22, 7, v10
	v_ffbh_u32_e32 v11, v22
	v_min_u32_e32 v38, 32, v11
	v_subrev_u32_e32 v11, 28, v38
	v_lshlrev_b64 v[10:11], v11, v[10:11]
	v_lshrrev_b32_e32 v23, 3, v46
	v_sub_u32_e32 v11, 29, v38
	v_and_b32_e32 v10, 7, v10
	v_cmp_gt_u32_e32 vcc, 8, v46
	v_cndmask_b32_e32 v11, v23, v11, vcc
	v_cndmask_b32_e32 v10, v22, v10, vcc
	v_lshlrev_b32_e32 v16, 16, v16
	v_lshlrev_b32_e32 v10, 20, v10
	v_and_b32_e32 v16, 0x80000000, v16
	v_lshl_add_u32 v11, v11, 23, v47
	v_or3_b32 v11, v16, v11, v10
.LBB2_5601:                             ;   in Loop: Header=BB2_5355 Depth=2
	s_or_b64 exec, exec, s[56:57]
.LBB2_5602:                             ;   in Loop: Header=BB2_5355 Depth=2
	s_or_b64 exec, exec, s[54:55]
.LBB2_5603:                             ;   in Loop: Header=BB2_5355 Depth=2
	s_or_b64 exec, exec, s[20:21]
	v_mul_f32_e32 v10, v19, v11
	v_and_b32_sdwa v61, v10, s69 dst_sel:DWORD dst_unused:UNUSED_PAD src0_sel:BYTE_3 src1_sel:DWORD
	v_and_b32_e32 v22, 0x7f800000, v10
	v_mov_b32_e32 v23, v17
	v_and_b32_e32 v16, 0x7fffff, v10
	v_or_b32_e32 v60, 0x7e, v61
	v_cmp_ne_u64_e32 vcc, s[38:39], v[22:23]
	s_and_saveexec_b64 s[20:21], vcc
	s_xor_b64 s[54:55], exec, s[20:21]
	s_cbranch_execz .LBB2_5613
; %bb.5604:                             ;   in Loop: Header=BB2_5355 Depth=2
	v_and_b32_e32 v22, 0x7fffffff, v10
	v_mov_b32_e32 v23, v17
	v_cmp_gt_u64_e32 vcc, s[40:41], v[22:23]
	s_and_saveexec_b64 s[56:57], vcc
	s_cbranch_execz .LBB2_5612
; %bb.5605:                             ;   in Loop: Header=BB2_5355 Depth=2
	v_cmp_ne_u32_e32 vcc, 0, v10
	v_mov_b32_e32 v60, 0
	s_and_saveexec_b64 s[58:59], vcc
	s_cbranch_execz .LBB2_5611
; %bb.5606:                             ;   in Loop: Header=BB2_5355 Depth=2
	v_bfe_u32 v10, v10, 23, 8
	v_sub_u32_e32 v22, 0x79, v10
	v_cmp_gt_u32_e32 vcc, s70, v10
	v_cndmask_b32_e32 v22, 0, v22, vcc
	v_cmp_eq_u32_e32 vcc, 0, v10
	v_cndmask_b32_e32 v60, v22, v57, vcc
	v_add_u32_e32 v11, 0xffffff81, v10
	v_or_b32_e32 v23, 0x800000, v16
	v_add_u32_e32 v10, 20, v60
	v_cndmask_b32_e32 v46, v11, v56, vcc
	v_cndmask_b32_e32 v16, v23, v16, vcc
	v_lshlrev_b64 v[10:11], v10, -1
	v_not_b32_e32 v10, v10
	v_lshrrev_b64 v[38:39], v60, v[16:17]
	v_not_b32_e32 v11, v11
	v_and_b32_e32 v10, v16, v10
	v_add_u32_e32 v22, 19, v60
	v_lshrrev_b32_e32 v16, 23, v38
	v_and_b32_e32 v11, 0, v11
	v_lshlrev_b64 v[22:23], v22, 1
	v_add3_u32 v62, v60, v46, v16
	v_bfe_u32 v16, v38, 20, 1
	v_add_u32_e32 v16, -1, v16
	v_cmp_eq_u64_e32 vcc, v[10:11], v[22:23]
	v_cndmask_b32_e32 v10, 0, v16, vcc
	v_add_u32_e32 v10, v10, v38
	v_and_b32_e32 v10, 0xfffff, v10
	v_add_co_u32_e32 v10, vcc, v10, v38
	v_add_u32_e32 v60, 6, v62
	v_addc_co_u32_e32 v11, vcc, 0, v39, vcc
	v_cmp_ne_u32_e32 vcc, 0, v60
                                        ; implicit-def: $vgpr16
	s_and_saveexec_b64 s[20:21], vcc
	s_xor_b64 s[20:21], exec, s[20:21]
; %bb.5607:                             ;   in Loop: Header=BB2_5355 Depth=2
	v_cmp_lt_u64_e32 vcc, s[44:45], v[10:11]
	v_add_u32_e32 v16, 7, v62
	v_cndmask_b32_e64 v22, 0, 1, vcc
	v_cndmask_b32_e32 v16, v60, v16, vcc
	v_lshrrev_b64 v[10:11], v22, v[10:11]
; %bb.5608:                             ;   in Loop: Header=BB2_5355 Depth=2
	s_andn2_saveexec_b64 s[20:21], s[20:21]
; %bb.5609:                             ;   in Loop: Header=BB2_5355 Depth=2
	v_bfe_u32 v16, v10, 23, 1
; %bb.5610:                             ;   in Loop: Header=BB2_5355 Depth=2
	s_or_b64 exec, exec, s[20:21]
	v_lshrrev_b64 v[10:11], 20, v[10:11]
	v_cmp_gt_i32_e32 vcc, 16, v16
	v_cndmask_b32_e32 v11, 0, v11, vcc
	v_cndmask_b32_e32 v10, 7, v10, vcc
	v_cmp_eq_u64_e64 s[20:21], 0, v[10:11]
	v_min_i32_e32 v11, 15, v16
	v_lshlrev_b32_e32 v11, 3, v11
	v_cmp_eq_u32_e32 vcc, 0, v16
	v_and_b32_e32 v11, 0xf8, v11
	v_and_or_b32 v10, v10, 7, v11
	s_and_b64 s[20:21], vcc, s[20:21]
	v_cndmask_b32_e64 v10, v10, 0, s[20:21]
	v_or_b32_e32 v60, v10, v61
.LBB2_5611:                             ;   in Loop: Header=BB2_5355 Depth=2
	s_or_b64 exec, exec, s[58:59]
.LBB2_5612:                             ;   in Loop: Header=BB2_5355 Depth=2
	s_or_b64 exec, exec, s[56:57]
                                        ; implicit-def: $vgpr10
.LBB2_5613:                             ;   in Loop: Header=BB2_5355 Depth=2
	s_andn2_saveexec_b64 s[20:21], s[54:55]
; %bb.5614:                             ;   in Loop: Header=BB2_5355 Depth=2
	v_or_b32_sdwa v10, v10, s68 dst_sel:DWORD dst_unused:UNUSED_PAD src0_sel:BYTE_3 src1_sel:DWORD
	v_cmp_eq_u64_e32 vcc, 0, v[16:17]
	v_cndmask_b32_e32 v60, v10, v60, vcc
; %bb.5615:                             ;   in Loop: Header=BB2_5355 Depth=2
	s_or_b64 exec, exec, s[20:21]
	v_lshrrev_b32_e32 v10, 16, v13
	v_cmp_ne_u16_sdwa vcc, v10, v17 src0_sel:BYTE_0 src1_sel:DWORD
	v_mov_b32_e32 v11, 0
	s_and_saveexec_b64 s[20:21], vcc
	s_cbranch_execz .LBB2_5621
; %bb.5616:                             ;   in Loop: Header=BB2_5355 Depth=2
	v_cmp_ne_u16_sdwa vcc, v10, s69 src0_sel:BYTE_0 src1_sel:DWORD
	v_bfrev_b32_e32 v11, 1
	s_and_saveexec_b64 s[54:55], vcc
	s_cbranch_execz .LBB2_5620
; %bb.5617:                             ;   in Loop: Header=BB2_5355 Depth=2
	v_bfe_u32 v16, v13, 16, 7
	v_cmp_ne_u32_e32 vcc, s68, v16
	v_mov_b32_e32 v11, 0x7f800001
	s_and_saveexec_b64 s[56:57], vcc
	s_cbranch_execz .LBB2_5619
; %bb.5618:                             ;   in Loop: Header=BB2_5355 Depth=2
	v_and_b32_e32 v11, 7, v10
	v_ffbh_u32_e32 v22, v11
	v_min_u32_e32 v39, 32, v22
	v_subrev_u32_e32 v22, 28, v39
	v_lshlrev_b64 v[22:23], v22, v[10:11]
	v_lshrrev_b32_e32 v38, 3, v16
	v_sub_u32_e32 v23, 29, v39
	v_and_b32_e32 v22, 7, v22
	v_cmp_gt_u32_e32 vcc, 8, v16
	v_cndmask_b32_e32 v16, v38, v23, vcc
	v_cndmask_b32_e32 v11, v11, v22, vcc
	v_lshlrev_b32_e32 v10, 24, v10
	v_lshlrev_b32_e32 v11, 20, v11
	v_and_b32_e32 v10, 0x80000000, v10
	v_lshl_add_u32 v16, v16, 23, v47
	v_or3_b32 v11, v10, v16, v11
.LBB2_5619:                             ;   in Loop: Header=BB2_5355 Depth=2
	s_or_b64 exec, exec, s[56:57]
.LBB2_5620:                             ;   in Loop: Header=BB2_5355 Depth=2
	s_or_b64 exec, exec, s[54:55]
.LBB2_5621:                             ;   in Loop: Header=BB2_5355 Depth=2
	s_or_b64 exec, exec, s[20:21]
	v_mul_f32_e32 v10, v19, v11
	v_and_b32_sdwa v62, v10, s69 dst_sel:DWORD dst_unused:UNUSED_PAD src0_sel:BYTE_3 src1_sel:DWORD
	v_and_b32_e32 v22, 0x7f800000, v10
	v_mov_b32_e32 v23, v17
	v_and_b32_e32 v16, 0x7fffff, v10
	v_or_b32_e32 v61, 0x7e, v62
	v_cmp_ne_u64_e32 vcc, s[38:39], v[22:23]
	s_and_saveexec_b64 s[20:21], vcc
	s_xor_b64 s[54:55], exec, s[20:21]
	s_cbranch_execz .LBB2_5631
; %bb.5622:                             ;   in Loop: Header=BB2_5355 Depth=2
	v_and_b32_e32 v22, 0x7fffffff, v10
	v_mov_b32_e32 v23, v17
	v_cmp_gt_u64_e32 vcc, s[40:41], v[22:23]
	s_and_saveexec_b64 s[56:57], vcc
	s_cbranch_execz .LBB2_5630
; %bb.5623:                             ;   in Loop: Header=BB2_5355 Depth=2
	v_cmp_ne_u32_e32 vcc, 0, v10
	v_mov_b32_e32 v61, 0
	s_and_saveexec_b64 s[58:59], vcc
	s_cbranch_execz .LBB2_5629
; %bb.5624:                             ;   in Loop: Header=BB2_5355 Depth=2
	v_bfe_u32 v10, v10, 23, 8
	v_sub_u32_e32 v22, 0x79, v10
	v_cmp_gt_u32_e32 vcc, s70, v10
	v_cndmask_b32_e32 v22, 0, v22, vcc
	v_cmp_eq_u32_e32 vcc, 0, v10
	v_cndmask_b32_e32 v61, v22, v57, vcc
	v_add_u32_e32 v11, 0xffffff81, v10
	v_or_b32_e32 v23, 0x800000, v16
	v_add_u32_e32 v10, 20, v61
	v_cndmask_b32_e32 v46, v11, v56, vcc
	v_cndmask_b32_e32 v16, v23, v16, vcc
	v_lshlrev_b64 v[10:11], v10, -1
	v_not_b32_e32 v10, v10
	v_lshrrev_b64 v[38:39], v61, v[16:17]
	v_not_b32_e32 v11, v11
	v_and_b32_e32 v10, v16, v10
	v_add_u32_e32 v22, 19, v61
	v_lshrrev_b32_e32 v16, 23, v38
	v_and_b32_e32 v11, 0, v11
	v_lshlrev_b64 v[22:23], v22, 1
	v_add3_u32 v46, v61, v46, v16
	v_bfe_u32 v16, v38, 20, 1
	v_add_u32_e32 v16, -1, v16
	v_cmp_eq_u64_e32 vcc, v[10:11], v[22:23]
	v_cndmask_b32_e32 v10, 0, v16, vcc
	v_add_u32_e32 v10, v10, v38
	v_and_b32_e32 v10, 0xfffff, v10
	v_add_co_u32_e32 v10, vcc, v10, v38
	v_add_u32_e32 v61, 6, v46
	v_addc_co_u32_e32 v11, vcc, 0, v39, vcc
	v_cmp_ne_u32_e32 vcc, 0, v61
                                        ; implicit-def: $vgpr16
	s_and_saveexec_b64 s[20:21], vcc
	s_xor_b64 s[20:21], exec, s[20:21]
; %bb.5625:                             ;   in Loop: Header=BB2_5355 Depth=2
	v_cmp_lt_u64_e32 vcc, s[44:45], v[10:11]
	v_add_u32_e32 v16, 7, v46
	v_cndmask_b32_e64 v22, 0, 1, vcc
	v_cndmask_b32_e32 v16, v61, v16, vcc
	v_lshrrev_b64 v[10:11], v22, v[10:11]
; %bb.5626:                             ;   in Loop: Header=BB2_5355 Depth=2
	s_andn2_saveexec_b64 s[20:21], s[20:21]
; %bb.5627:                             ;   in Loop: Header=BB2_5355 Depth=2
	v_bfe_u32 v16, v10, 23, 1
; %bb.5628:                             ;   in Loop: Header=BB2_5355 Depth=2
	s_or_b64 exec, exec, s[20:21]
	v_lshrrev_b64 v[10:11], 20, v[10:11]
	v_cmp_gt_i32_e32 vcc, 16, v16
	v_cndmask_b32_e32 v11, 0, v11, vcc
	v_cndmask_b32_e32 v10, 7, v10, vcc
	v_cmp_eq_u64_e64 s[20:21], 0, v[10:11]
	v_min_i32_e32 v11, 15, v16
	v_lshlrev_b32_e32 v11, 3, v11
	v_cmp_eq_u32_e32 vcc, 0, v16
	v_and_b32_e32 v11, 0xf8, v11
	v_and_or_b32 v10, v10, 7, v11
	s_and_b64 s[20:21], vcc, s[20:21]
	v_cndmask_b32_e64 v10, v10, 0, s[20:21]
	v_or_b32_e32 v61, v10, v62
.LBB2_5629:                             ;   in Loop: Header=BB2_5355 Depth=2
	s_or_b64 exec, exec, s[58:59]
.LBB2_5630:                             ;   in Loop: Header=BB2_5355 Depth=2
	s_or_b64 exec, exec, s[56:57]
                                        ; implicit-def: $vgpr10
.LBB2_5631:                             ;   in Loop: Header=BB2_5355 Depth=2
	s_andn2_saveexec_b64 s[20:21], s[54:55]
; %bb.5632:                             ;   in Loop: Header=BB2_5355 Depth=2
	v_or_b32_sdwa v10, v10, s68 dst_sel:DWORD dst_unused:UNUSED_PAD src0_sel:BYTE_3 src1_sel:DWORD
	v_cmp_eq_u64_e32 vcc, 0, v[16:17]
	v_cndmask_b32_e32 v61, v10, v61, vcc
; %bb.5633:                             ;   in Loop: Header=BB2_5355 Depth=2
	s_or_b64 exec, exec, s[20:21]
	v_cmp_lt_u64_e32 vcc, s[42:43], v[12:13]
	v_mov_b32_e32 v11, 0
	s_and_saveexec_b64 s[20:21], vcc
	s_cbranch_execz .LBB2_5639
; %bb.5634:                             ;   in Loop: Header=BB2_5355 Depth=2
	v_lshrrev_b32_e32 v10, 24, v13
	v_cmp_ne_u32_e32 vcc, s69, v10
	v_bfrev_b32_e32 v11, 1
	s_and_saveexec_b64 s[54:55], vcc
	s_cbranch_execz .LBB2_5638
; %bb.5635:                             ;   in Loop: Header=BB2_5355 Depth=2
	v_bfe_u32 v12, v13, 24, 7
	v_cmp_ne_u32_e32 vcc, s68, v12
	v_mov_b32_e32 v11, 0x7f800001
	s_and_saveexec_b64 s[56:57], vcc
	s_cbranch_execz .LBB2_5637
; %bb.5636:                             ;   in Loop: Header=BB2_5355 Depth=2
	v_and_b32_e32 v11, 7, v10
	v_ffbh_u32_e32 v16, v11
	v_min_u32_e32 v16, 32, v16
	v_subrev_u32_e32 v22, 28, v16
	v_lshlrev_b64 v[22:23], v22, v[10:11]
	v_lshrrev_b32_e32 v13, 3, v12
	v_sub_u32_e32 v16, 29, v16
	v_and_b32_e32 v22, 7, v22
	v_cmp_gt_u32_e32 vcc, 8, v12
	v_cndmask_b32_e32 v12, v13, v16, vcc
	v_cndmask_b32_e32 v11, v11, v22, vcc
	v_lshlrev_b32_e32 v10, 24, v10
	v_lshlrev_b32_e32 v11, 20, v11
	v_and_b32_e32 v10, 0x80000000, v10
	v_lshl_add_u32 v12, v12, 23, v47
	v_or3_b32 v11, v10, v12, v11
.LBB2_5637:                             ;   in Loop: Header=BB2_5355 Depth=2
	s_or_b64 exec, exec, s[56:57]
.LBB2_5638:                             ;   in Loop: Header=BB2_5355 Depth=2
	s_or_b64 exec, exec, s[54:55]
.LBB2_5639:                             ;   in Loop: Header=BB2_5355 Depth=2
	s_or_b64 exec, exec, s[20:21]
	v_mul_f32_e32 v11, v19, v11
	v_and_b32_sdwa v12, v11, s69 dst_sel:DWORD dst_unused:UNUSED_PAD src0_sel:BYTE_3 src1_sel:DWORD
	v_and_b32_e32 v22, 0x7f800000, v11
	v_mov_b32_e32 v23, v17
	v_and_b32_e32 v16, 0x7fffff, v11
	v_or_b32_e32 v10, 0x7e, v12
	v_cmp_ne_u64_e32 vcc, s[38:39], v[22:23]
	s_and_saveexec_b64 s[20:21], vcc
	s_xor_b64 s[54:55], exec, s[20:21]
	s_cbranch_execz .LBB2_5649
; %bb.5640:                             ;   in Loop: Header=BB2_5355 Depth=2
	v_and_b32_e32 v22, 0x7fffffff, v11
	v_mov_b32_e32 v23, v17
	v_cmp_gt_u64_e32 vcc, s[40:41], v[22:23]
	s_and_saveexec_b64 s[56:57], vcc
	s_cbranch_execz .LBB2_5648
; %bb.5641:                             ;   in Loop: Header=BB2_5355 Depth=2
	v_cmp_ne_u32_e32 vcc, 0, v11
	v_mov_b32_e32 v10, 0
	s_and_saveexec_b64 s[58:59], vcc
	s_cbranch_execz .LBB2_5647
; %bb.5642:                             ;   in Loop: Header=BB2_5355 Depth=2
	v_bfe_u32 v10, v11, 23, 8
	v_sub_u32_e32 v13, 0x79, v10
	v_cmp_gt_u32_e32 vcc, s70, v10
	v_cndmask_b32_e32 v13, 0, v13, vcc
	v_cmp_eq_u32_e32 vcc, 0, v10
	v_cndmask_b32_e32 v13, v13, v57, vcc
	v_add_u32_e32 v11, 0xffffff81, v10
	v_or_b32_e32 v19, 0x800000, v16
	v_add_u32_e32 v10, 20, v13
	v_cndmask_b32_e32 v46, v11, v56, vcc
	v_cndmask_b32_e32 v16, v19, v16, vcc
	v_lshlrev_b64 v[10:11], v10, -1
	v_not_b32_e32 v10, v10
	v_lshrrev_b64 v[38:39], v13, v[16:17]
	v_not_b32_e32 v11, v11
	v_and_b32_e32 v10, v16, v10
	v_add_u32_e32 v19, 19, v13
	v_lshrrev_b32_e32 v16, 23, v38
	v_and_b32_e32 v11, 0, v11
	v_lshlrev_b64 v[22:23], v19, 1
	v_add3_u32 v19, v13, v46, v16
	v_bfe_u32 v13, v38, 20, 1
	v_add_u32_e32 v13, -1, v13
	v_cmp_eq_u64_e32 vcc, v[10:11], v[22:23]
	v_cndmask_b32_e32 v10, 0, v13, vcc
	v_add_u32_e32 v10, v10, v38
	v_and_b32_e32 v10, 0xfffff, v10
	v_add_co_u32_e32 v10, vcc, v10, v38
	v_add_u32_e32 v16, 6, v19
	v_addc_co_u32_e32 v11, vcc, 0, v39, vcc
	v_cmp_ne_u32_e32 vcc, 0, v16
                                        ; implicit-def: $vgpr13
	s_and_saveexec_b64 s[20:21], vcc
	s_xor_b64 s[20:21], exec, s[20:21]
; %bb.5643:                             ;   in Loop: Header=BB2_5355 Depth=2
	v_add_u32_e32 v13, 7, v19
	v_cmp_lt_u64_e32 vcc, s[44:45], v[10:11]
	v_cndmask_b32_e32 v13, v16, v13, vcc
	v_cndmask_b32_e64 v16, 0, 1, vcc
	v_lshrrev_b64 v[10:11], v16, v[10:11]
; %bb.5644:                             ;   in Loop: Header=BB2_5355 Depth=2
	s_andn2_saveexec_b64 s[20:21], s[20:21]
; %bb.5645:                             ;   in Loop: Header=BB2_5355 Depth=2
	v_bfe_u32 v13, v10, 23, 1
; %bb.5646:                             ;   in Loop: Header=BB2_5355 Depth=2
	s_or_b64 exec, exec, s[20:21]
	v_lshrrev_b64 v[10:11], 20, v[10:11]
	v_cmp_gt_i32_e32 vcc, 16, v13
	v_cndmask_b32_e32 v11, 0, v11, vcc
	v_cndmask_b32_e32 v10, 7, v10, vcc
	v_cmp_eq_u64_e64 s[20:21], 0, v[10:11]
	v_min_i32_e32 v11, 15, v13
	v_lshlrev_b32_e32 v11, 3, v11
	v_cmp_eq_u32_e32 vcc, 0, v13
	v_and_b32_e32 v11, 0xf8, v11
	v_and_or_b32 v10, v10, 7, v11
	s_and_b64 s[20:21], vcc, s[20:21]
	v_cndmask_b32_e64 v10, v10, 0, s[20:21]
	v_or_b32_e32 v10, v10, v12
.LBB2_5647:                             ;   in Loop: Header=BB2_5355 Depth=2
	s_or_b64 exec, exec, s[58:59]
.LBB2_5648:                             ;   in Loop: Header=BB2_5355 Depth=2
	s_or_b64 exec, exec, s[56:57]
                                        ; implicit-def: $vgpr11
.LBB2_5649:                             ;   in Loop: Header=BB2_5355 Depth=2
	s_andn2_saveexec_b64 s[20:21], s[54:55]
	s_cbranch_execz .LBB2_5354
; %bb.5650:                             ;   in Loop: Header=BB2_5355 Depth=2
	v_or_b32_sdwa v11, v11, s68 dst_sel:DWORD dst_unused:UNUSED_PAD src0_sel:BYTE_3 src1_sel:DWORD
	v_cmp_eq_u64_e32 vcc, 0, v[16:17]
	v_cndmask_b32_e32 v10, v11, v10, vcc
	s_branch .LBB2_5354
.LBB2_5651:                             ;   in Loop: Header=BB2_4981 Depth=1
	s_or_b64 exec, exec, s[52:53]
.LBB2_5652:                             ;   in Loop: Header=BB2_4981 Depth=1
	s_or_b64 exec, exec, s[50:51]
	v_cmp_lt_i32_e32 vcc, 0, v5
	v_cndmask_b32_e32 v2, 0, v14, vcc
	v_sub_u32_e32 v2, v2, v5
	s_mov_b64 s[50:51], exec
	v_or_b32_e32 v1, v4, v1
	v_lshl_add_u32 v6, v2, 6, v6
.LBB2_5653:                             ;   in Loop: Header=BB2_4981 Depth=1
	s_or_b64 exec, exec, s[22:23]
	s_and_saveexec_b64 s[22:23], s[50:51]
	s_cbranch_execz .LBB2_5870
.LBB2_5654:                             ;   in Loop: Header=BB2_4981 Depth=1
	v_ashrrev_i32_e32 v2, 31, v6
	v_lshrrev_b32_e32 v2, 26, v2
	v_add_u32_e32 v7, v6, v2
	v_ashrrev_i32_e32 v4, 6, v7
	v_lshrrev_b32_e32 v2, 9, v0
	v_sub_u32_e32 v5, v2, v4
	v_cmp_lt_i32_e32 vcc, 0, v5
	s_and_saveexec_b64 s[50:51], vcc
	s_cbranch_execz .LBB2_5839
; %bb.5655:                             ;   in Loop: Header=BB2_4981 Depth=1
	s_trap 2
	ds_read_b64 v[2:3], v0
	v_and_b32_e32 v7, 0xffffffc0, v7
	v_sub_u32_e32 v7, v6, v7
	v_lshlrev_b32_e32 v8, 9, v4
	v_add3_u32 v10, v1, v7, v8
	v_ashrrev_i32_e32 v11, 31, v10
	s_mov_b64 s[52:53], 0
	s_waitcnt lgkmcnt(0)
	v_pk_mov_b32 v[12:13], v[2:3], v[2:3] op_sel:[0,1]
	s_branch .LBB2_5657
.LBB2_5656:                             ;   in Loop: Header=BB2_5657 Depth=2
	s_or_b64 exec, exec, s[20:21]
	v_add_co_u32_e32 v22, vcc, v10, v2
	v_addc_co_u32_e32 v23, vcc, v11, v3, vcc
	v_add_co_u32_e32 v12, vcc, v12, v37
	v_sub_u32_e32 v5, v5, v14
	v_addc_co_u32_e32 v13, vcc, v13, v44, vcc
	v_cmp_gt_i32_e32 vcc, 1, v5
	s_or_b64 s[52:53], vcc, s[52:53]
	v_add_co_u32_e32 v2, vcc, v2, v37
	v_addc_co_u32_e32 v3, vcc, v3, v44, vcc
	flat_store_byte v[22:23], v7 glc slc
	flat_store_byte v[22:23], v8 offset:64 glc slc
	flat_store_byte v[22:23], v9 offset:128 glc slc
	;; [unrolled: 1-line block ×7, first 2 shown]
	s_andn2_b64 exec, exec, s[52:53]
	s_cbranch_execz .LBB2_5838
.LBB2_5657:                             ;   Parent Loop BB2_4981 Depth=1
                                        ; =>  This Inner Loop Header: Depth=2
	s_trap 2
	ds_read_b64 v[24:25], v0
	s_waitcnt lgkmcnt(0)
	v_cmp_eq_u16_sdwa vcc, v24, v17 src0_sel:BYTE_0 src1_sel:DWORD
	v_readfirstlane_b32 s20, v24
	v_readfirstlane_b32 s21, v25
	s_and_b64 vcc, exec, vcc
	s_cbranch_vccnz .LBB2_5661
; %bb.5658:                             ;   in Loop: Header=BB2_5657 Depth=2
	v_cmp_eq_u32_sdwa vcc, v24, s69 src0_sel:BYTE_0 src1_sel:DWORD
	s_and_b64 vcc, exec, vcc
	s_brev_b32 s60, 1
	s_cbranch_vccnz .LBB2_5662
; %bb.5659:                             ;   in Loop: Header=BB2_5657 Depth=2
	s_and_b32 vcc_lo, s20, 0x7f
	s_cmpk_eq_i32 vcc_lo, 0x7f
	s_mov_b32 s60, 0x7f800001
	s_cbranch_scc1 .LBB2_5662
; %bb.5660:                             ;   in Loop: Header=BB2_5657 Depth=2
	s_and_b32 vcc_hi, s20, 7
	s_flbit_i32_b32 vcc_hi, vcc_hi
	s_min_u32 vcc_hi, vcc_hi, 32
	s_lshr_b32 s54, vcc_lo, 3
	s_sub_i32 s55, vcc_hi, 28
	s_sub_i32 vcc_hi, 29, vcc_hi
	s_cmp_lt_u32 vcc_lo, 8
	s_cselect_b32 vcc_lo, s55, 0
	s_cselect_b32 s54, vcc_hi, s54
	s_lshl_b64 vcc, s[20:21], vcc_lo
	s_lshl_b32 s21, vcc_lo, 20
	s_lshl_b32 s20, s20, 24
	s_lshl_b32 vcc_lo, s54, 23
	s_and_b32 s20, s20, 0x80000000
	s_add_i32 vcc_lo, vcc_lo, 0x3c000000
	s_and_b32 s21, s21, 0x700000
	s_or_b32 s20, s20, vcc_lo
	s_or_b32 s60, s20, s21
	s_branch .LBB2_5662
.LBB2_5661:                             ;   in Loop: Header=BB2_5657 Depth=2
	s_mov_b32 s60, 0
.LBB2_5662:                             ;   in Loop: Header=BB2_5657 Depth=2
	v_add_co_u32_e32 v54, vcc, v10, v12
	v_addc_co_u32_e32 v55, vcc, v11, v13, vcc
	flat_load_ubyte v7, v[54:55] glc slc
	v_mov_b32_e32 v8, 0
	s_waitcnt vmcnt(0) lgkmcnt(0)
	v_cmp_ne_u16_e32 vcc, 0, v7
	s_and_saveexec_b64 s[20:21], vcc
	s_cbranch_execz .LBB2_5668
; %bb.5663:                             ;   in Loop: Header=BB2_5657 Depth=2
	v_cmp_ne_u16_e32 vcc, s69, v7
	v_bfrev_b32_e32 v8, 1
	s_and_saveexec_b64 s[54:55], vcc
	s_cbranch_execz .LBB2_5667
; %bb.5664:                             ;   in Loop: Header=BB2_5657 Depth=2
	v_and_b32_e32 v16, 0xffff, v7
	v_and_b32_e32 v9, 0x7f, v16
	v_cmp_ne_u32_e32 vcc, s68, v9
	v_mov_b32_e32 v8, 0x7f800001
	s_and_saveexec_b64 s[56:57], vcc
	s_cbranch_execz .LBB2_5666
; %bb.5665:                             ;   in Loop: Header=BB2_5657 Depth=2
	v_and_b32_e32 v8, 7, v16
	v_ffbh_u32_e32 v22, v8
	v_min_u32_e32 v24, 32, v22
	v_subrev_u32_e32 v22, 28, v24
	v_lshlrev_b64 v[22:23], v22, v[16:17]
	v_lshrrev_b32_e32 v19, 3, v9
	v_sub_u32_e32 v16, 29, v24
	v_and_b32_e32 v22, 7, v22
	v_cmp_gt_u32_e32 vcc, 8, v9
	v_cndmask_b32_e32 v9, v19, v16, vcc
	v_cndmask_b32_e32 v8, v8, v22, vcc
	v_lshlrev_b32_e32 v7, 24, v7
	v_lshlrev_b32_e32 v8, 20, v8
	v_and_b32_e32 v7, 0x80000000, v7
	v_lshl_add_u32 v9, v9, 23, v47
	v_or3_b32 v8, v7, v9, v8
.LBB2_5666:                             ;   in Loop: Header=BB2_5657 Depth=2
	s_or_b64 exec, exec, s[56:57]
.LBB2_5667:                             ;   in Loop: Header=BB2_5657 Depth=2
	s_or_b64 exec, exec, s[54:55]
.LBB2_5668:                             ;   in Loop: Header=BB2_5657 Depth=2
	s_or_b64 exec, exec, s[20:21]
	v_mul_f32_e32 v9, s60, v8
	v_and_b32_sdwa v8, v9, s69 dst_sel:DWORD dst_unused:UNUSED_PAD src0_sel:BYTE_3 src1_sel:DWORD
	v_and_b32_e32 v22, 0x7f800000, v9
	v_mov_b32_e32 v23, v17
	v_and_b32_e32 v16, 0x7fffff, v9
	v_or_b32_e32 v7, 0x7e, v8
	v_cmp_ne_u64_e32 vcc, s[38:39], v[22:23]
	s_and_saveexec_b64 s[20:21], vcc
	s_xor_b64 s[54:55], exec, s[20:21]
	s_cbranch_execz .LBB2_5682
; %bb.5669:                             ;   in Loop: Header=BB2_5657 Depth=2
	v_and_b32_e32 v22, 0x7fffffff, v9
	v_mov_b32_e32 v23, v17
	v_cmp_gt_u64_e32 vcc, s[40:41], v[22:23]
	s_and_saveexec_b64 s[20:21], vcc
	s_xor_b64 s[56:57], exec, s[20:21]
	s_cbranch_execz .LBB2_5681
; %bb.5670:                             ;   in Loop: Header=BB2_5657 Depth=2
	v_cmp_ne_u32_e32 vcc, 0, v9
	v_mov_b32_e32 v7, 0
	s_and_saveexec_b64 s[58:59], vcc
	s_cbranch_execz .LBB2_5680
; %bb.5671:                             ;   in Loop: Header=BB2_5657 Depth=2
	v_bfe_u32 v7, v9, 23, 8
	v_sub_u32_e32 v19, 0x79, v7
	v_cmp_gt_u32_e32 vcc, s70, v7
	v_add_u32_e32 v9, 0xffffff81, v7
	v_cndmask_b32_e32 v19, 0, v19, vcc
	v_cmp_eq_u32_e32 vcc, 0, v7
	v_cndmask_b32_e32 v7, v9, v56, vcc
	v_cndmask_b32_e32 v9, v19, v57, vcc
	v_or_b32_e32 v22, 0x800000, v16
	v_add_u32_e32 v19, 20, v9
	v_cndmask_b32_e32 v16, v22, v16, vcc
	v_lshlrev_b64 v[22:23], v19, -1
	v_not_b32_e32 v19, v23
	v_not_b32_e32 v22, v22
	v_lshrrev_b64 v[26:27], v9, v[16:17]
	v_and_b32_e32 v23, 0, v19
	v_and_b32_e32 v22, v16, v22
	v_add_u32_e32 v19, 19, v9
	v_lshrrev_b32_e32 v16, 23, v26
	v_lshlrev_b64 v[24:25], v19, 1
	v_add3_u32 v16, v9, v7, v16
	v_bfe_u32 v9, v26, 20, 1
	v_add_u32_e32 v9, -1, v9
	v_cmp_eq_u64_e32 vcc, v[22:23], v[24:25]
	v_cndmask_b32_e32 v9, 0, v9, vcc
	v_add_u32_e32 v9, v9, v26
	v_and_b32_e32 v9, 0xfffff, v9
	v_add_co_u32_e32 v40, vcc, v9, v26
	v_add_u32_e32 v7, 6, v16
	v_addc_co_u32_e32 v41, vcc, 0, v27, vcc
	v_cmp_ne_u32_e32 vcc, 0, v7
                                        ; implicit-def: $vgpr9
	s_and_saveexec_b64 s[20:21], vcc
	s_xor_b64 s[20:21], exec, s[20:21]
; %bb.5672:                             ;   in Loop: Header=BB2_5657 Depth=2
	v_add_u32_e32 v9, 7, v16
	v_cmp_lt_u64_e32 vcc, s[44:45], v[40:41]
	v_cndmask_b32_e32 v9, v7, v9, vcc
	v_cndmask_b32_e64 v7, 0, 1, vcc
	v_lshrrev_b64 v[40:41], v7, v[40:41]
; %bb.5673:                             ;   in Loop: Header=BB2_5657 Depth=2
	s_andn2_saveexec_b64 s[20:21], s[20:21]
; %bb.5674:                             ;   in Loop: Header=BB2_5657 Depth=2
	v_bfe_u32 v9, v40, 23, 1
; %bb.5675:                             ;   in Loop: Header=BB2_5657 Depth=2
	s_or_b64 exec, exec, s[20:21]
	v_lshrrev_b64 v[22:23], 20, v[40:41]
	v_cmp_gt_i32_e32 vcc, 16, v9
	v_cndmask_b32_e32 v25, 0, v23, vcc
	v_cndmask_b32_e32 v24, 7, v22, vcc
	v_cmp_ne_u32_e32 vcc, 0, v9
	v_cmp_ne_u64_e64 s[20:21], 0, v[24:25]
	s_or_b64 s[20:21], vcc, s[20:21]
                                        ; implicit-def: $vgpr7
	s_and_saveexec_b64 vcc, s[20:21]
	s_xor_b64 s[20:21], exec, vcc
; %bb.5676:                             ;   in Loop: Header=BB2_5657 Depth=2
	v_min_i32_e32 v7, 15, v9
	v_lshl_or_b32 v7, v7, 3, v8
	v_and_or_b32 v7, v24, 7, v7
                                        ; implicit-def: $vgpr8
; %bb.5677:                             ;   in Loop: Header=BB2_5657 Depth=2
	s_andn2_saveexec_b64 s[20:21], s[20:21]
; %bb.5678:                             ;   in Loop: Header=BB2_5657 Depth=2
	v_mov_b32_e32 v7, v8
; %bb.5679:                             ;   in Loop: Header=BB2_5657 Depth=2
	s_or_b64 exec, exec, s[20:21]
.LBB2_5680:                             ;   in Loop: Header=BB2_5657 Depth=2
	s_or_b64 exec, exec, s[58:59]
.LBB2_5681:                             ;   in Loop: Header=BB2_5657 Depth=2
	s_andn2_saveexec_b64 s[20:21], s[56:57]
	s_or_b64 exec, exec, s[20:21]
                                        ; implicit-def: $vgpr9
.LBB2_5682:                             ;   in Loop: Header=BB2_5657 Depth=2
	s_andn2_saveexec_b64 s[20:21], s[54:55]
; %bb.5683:                             ;   in Loop: Header=BB2_5657 Depth=2
	v_or_b32_sdwa v8, v9, s68 dst_sel:DWORD dst_unused:UNUSED_PAD src0_sel:BYTE_3 src1_sel:DWORD
	v_cmp_eq_u64_e32 vcc, 0, v[16:17]
	v_cndmask_b32_e32 v7, v8, v7, vcc
; %bb.5684:                             ;   in Loop: Header=BB2_5657 Depth=2
	s_or_b64 exec, exec, s[20:21]
	flat_load_ubyte v8, v[54:55] offset:64 glc slc
	v_mov_b32_e32 v9, 0
	s_waitcnt vmcnt(0) lgkmcnt(0)
	v_cmp_ne_u16_e32 vcc, 0, v8
	s_and_saveexec_b64 s[20:21], vcc
	s_cbranch_execz .LBB2_5690
; %bb.5685:                             ;   in Loop: Header=BB2_5657 Depth=2
	v_cmp_ne_u16_e32 vcc, s69, v8
	v_bfrev_b32_e32 v9, 1
	s_and_saveexec_b64 s[54:55], vcc
	s_cbranch_execz .LBB2_5689
; %bb.5686:                             ;   in Loop: Header=BB2_5657 Depth=2
	v_and_b32_e32 v16, 0xffff, v8
	v_and_b32_e32 v19, 0x7f, v16
	v_cmp_ne_u32_e32 vcc, s68, v19
	v_mov_b32_e32 v9, 0x7f800001
	s_and_saveexec_b64 s[56:57], vcc
	s_cbranch_execz .LBB2_5688
; %bb.5687:                             ;   in Loop: Header=BB2_5657 Depth=2
	v_and_b32_e32 v9, 7, v16
	v_ffbh_u32_e32 v22, v9
	v_min_u32_e32 v25, 32, v22
	v_subrev_u32_e32 v22, 28, v25
	v_lshlrev_b64 v[22:23], v22, v[16:17]
	v_lshrrev_b32_e32 v24, 3, v19
	v_sub_u32_e32 v16, 29, v25
	v_and_b32_e32 v22, 7, v22
	v_cmp_gt_u32_e32 vcc, 8, v19
	v_cndmask_b32_e32 v16, v24, v16, vcc
	v_cndmask_b32_e32 v9, v9, v22, vcc
	v_lshlrev_b32_e32 v8, 24, v8
	v_lshlrev_b32_e32 v9, 20, v9
	v_and_b32_e32 v8, 0x80000000, v8
	v_lshl_add_u32 v16, v16, 23, v47
	v_or3_b32 v9, v8, v16, v9
.LBB2_5688:                             ;   in Loop: Header=BB2_5657 Depth=2
	s_or_b64 exec, exec, s[56:57]
.LBB2_5689:                             ;   in Loop: Header=BB2_5657 Depth=2
	s_or_b64 exec, exec, s[54:55]
.LBB2_5690:                             ;   in Loop: Header=BB2_5657 Depth=2
	s_or_b64 exec, exec, s[20:21]
	v_mul_f32_e32 v19, s60, v9
	v_and_b32_sdwa v9, v19, s69 dst_sel:DWORD dst_unused:UNUSED_PAD src0_sel:BYTE_3 src1_sel:DWORD
	v_and_b32_e32 v22, 0x7f800000, v19
	v_mov_b32_e32 v23, v17
	v_and_b32_e32 v16, 0x7fffff, v19
	v_or_b32_e32 v8, 0x7e, v9
	v_cmp_ne_u64_e32 vcc, s[38:39], v[22:23]
	s_and_saveexec_b64 s[20:21], vcc
	s_xor_b64 s[54:55], exec, s[20:21]
	s_cbranch_execz .LBB2_5704
; %bb.5691:                             ;   in Loop: Header=BB2_5657 Depth=2
	v_and_b32_e32 v22, 0x7fffffff, v19
	v_mov_b32_e32 v23, v17
	v_cmp_gt_u64_e32 vcc, s[40:41], v[22:23]
	s_and_saveexec_b64 s[20:21], vcc
	s_xor_b64 s[56:57], exec, s[20:21]
	s_cbranch_execz .LBB2_5703
; %bb.5692:                             ;   in Loop: Header=BB2_5657 Depth=2
	v_cmp_ne_u32_e32 vcc, 0, v19
	v_mov_b32_e32 v8, 0
	s_and_saveexec_b64 s[58:59], vcc
	s_cbranch_execz .LBB2_5702
; %bb.5693:                             ;   in Loop: Header=BB2_5657 Depth=2
	v_bfe_u32 v8, v19, 23, 8
	v_sub_u32_e32 v22, 0x79, v8
	v_cmp_gt_u32_e32 vcc, s70, v8
	v_add_u32_e32 v19, 0xffffff81, v8
	v_cndmask_b32_e32 v22, 0, v22, vcc
	v_cmp_eq_u32_e32 vcc, 0, v8
	v_cndmask_b32_e32 v8, v19, v56, vcc
	v_cndmask_b32_e32 v19, v22, v57, vcc
	v_or_b32_e32 v23, 0x800000, v16
	v_add_u32_e32 v22, 20, v19
	v_cndmask_b32_e32 v16, v23, v16, vcc
	v_lshlrev_b64 v[22:23], v22, -1
	v_not_b32_e32 v22, v22
	v_lshrrev_b64 v[26:27], v19, v[16:17]
	v_not_b32_e32 v23, v23
	v_and_b32_e32 v22, v16, v22
	v_add_u32_e32 v24, 19, v19
	v_lshrrev_b32_e32 v16, 23, v26
	v_and_b32_e32 v23, 0, v23
	v_lshlrev_b64 v[24:25], v24, 1
	v_add3_u32 v19, v19, v8, v16
	v_bfe_u32 v16, v26, 20, 1
	v_add_u32_e32 v16, -1, v16
	v_cmp_eq_u64_e32 vcc, v[22:23], v[24:25]
	v_cndmask_b32_e32 v16, 0, v16, vcc
	v_add_u32_e32 v16, v16, v26
	v_and_b32_e32 v16, 0xfffff, v16
	v_add_co_u32_e32 v24, vcc, v16, v26
	v_add_u32_e32 v8, 6, v19
	v_addc_co_u32_e32 v25, vcc, 0, v27, vcc
	v_cmp_ne_u32_e32 vcc, 0, v8
                                        ; implicit-def: $vgpr16
	s_and_saveexec_b64 s[20:21], vcc
	s_xor_b64 s[20:21], exec, s[20:21]
; %bb.5694:                             ;   in Loop: Header=BB2_5657 Depth=2
	v_add_u32_e32 v16, 7, v19
	v_cmp_lt_u64_e32 vcc, s[44:45], v[24:25]
	v_cndmask_b32_e32 v16, v8, v16, vcc
	v_cndmask_b32_e64 v8, 0, 1, vcc
	v_lshrrev_b64 v[24:25], v8, v[24:25]
; %bb.5695:                             ;   in Loop: Header=BB2_5657 Depth=2
	s_andn2_saveexec_b64 s[20:21], s[20:21]
; %bb.5696:                             ;   in Loop: Header=BB2_5657 Depth=2
	v_bfe_u32 v16, v24, 23, 1
; %bb.5697:                             ;   in Loop: Header=BB2_5657 Depth=2
	s_or_b64 exec, exec, s[20:21]
	v_lshrrev_b64 v[22:23], 20, v[24:25]
	v_cmp_gt_i32_e32 vcc, 16, v16
	v_cndmask_b32_e32 v25, 0, v23, vcc
	v_cndmask_b32_e32 v24, 7, v22, vcc
	v_cmp_ne_u32_e32 vcc, 0, v16
	v_cmp_ne_u64_e64 s[20:21], 0, v[24:25]
	s_or_b64 s[20:21], vcc, s[20:21]
                                        ; implicit-def: $vgpr8
	s_and_saveexec_b64 vcc, s[20:21]
	s_xor_b64 s[20:21], exec, vcc
; %bb.5698:                             ;   in Loop: Header=BB2_5657 Depth=2
	v_min_i32_e32 v8, 15, v16
	v_lshl_or_b32 v8, v8, 3, v9
	v_and_or_b32 v8, v24, 7, v8
                                        ; implicit-def: $vgpr9
; %bb.5699:                             ;   in Loop: Header=BB2_5657 Depth=2
	s_andn2_saveexec_b64 s[20:21], s[20:21]
; %bb.5700:                             ;   in Loop: Header=BB2_5657 Depth=2
	v_mov_b32_e32 v8, v9
; %bb.5701:                             ;   in Loop: Header=BB2_5657 Depth=2
	s_or_b64 exec, exec, s[20:21]
.LBB2_5702:                             ;   in Loop: Header=BB2_5657 Depth=2
	s_or_b64 exec, exec, s[58:59]
.LBB2_5703:                             ;   in Loop: Header=BB2_5657 Depth=2
	s_andn2_saveexec_b64 s[20:21], s[56:57]
	s_or_b64 exec, exec, s[20:21]
                                        ; implicit-def: $vgpr19
.LBB2_5704:                             ;   in Loop: Header=BB2_5657 Depth=2
	s_andn2_saveexec_b64 s[20:21], s[54:55]
; %bb.5705:                             ;   in Loop: Header=BB2_5657 Depth=2
	v_or_b32_sdwa v9, v19, s68 dst_sel:DWORD dst_unused:UNUSED_PAD src0_sel:BYTE_3 src1_sel:DWORD
	v_cmp_eq_u64_e32 vcc, 0, v[16:17]
	v_cndmask_b32_e32 v8, v9, v8, vcc
; %bb.5706:                             ;   in Loop: Header=BB2_5657 Depth=2
	s_or_b64 exec, exec, s[20:21]
	flat_load_ubyte v9, v[54:55] offset:128 glc slc
	v_mov_b32_e32 v19, 0
	s_waitcnt vmcnt(0) lgkmcnt(0)
	v_cmp_ne_u16_e32 vcc, 0, v9
	s_and_saveexec_b64 s[20:21], vcc
	s_cbranch_execz .LBB2_5712
; %bb.5707:                             ;   in Loop: Header=BB2_5657 Depth=2
	v_cmp_ne_u16_e32 vcc, s69, v9
	v_bfrev_b32_e32 v19, 1
	s_and_saveexec_b64 s[54:55], vcc
	s_cbranch_execz .LBB2_5711
; %bb.5708:                             ;   in Loop: Header=BB2_5657 Depth=2
	v_and_b32_e32 v16, 0xffff, v9
	v_and_b32_e32 v24, 0x7f, v16
	v_cmp_ne_u32_e32 vcc, s68, v24
	v_mov_b32_e32 v19, 0x7f800001
	s_and_saveexec_b64 s[56:57], vcc
	s_cbranch_execz .LBB2_5710
; %bb.5709:                             ;   in Loop: Header=BB2_5657 Depth=2
	v_and_b32_e32 v19, 7, v16
	v_ffbh_u32_e32 v22, v19
	v_min_u32_e32 v26, 32, v22
	v_subrev_u32_e32 v22, 28, v26
	v_lshlrev_b64 v[22:23], v22, v[16:17]
	v_lshrrev_b32_e32 v25, 3, v24
	v_sub_u32_e32 v16, 29, v26
	v_and_b32_e32 v22, 7, v22
	v_cmp_gt_u32_e32 vcc, 8, v24
	v_cndmask_b32_e32 v16, v25, v16, vcc
	v_cndmask_b32_e32 v19, v19, v22, vcc
	v_lshlrev_b32_e32 v9, 24, v9
	v_lshlrev_b32_e32 v19, 20, v19
	v_and_b32_e32 v9, 0x80000000, v9
	v_lshl_add_u32 v16, v16, 23, v47
	v_or3_b32 v19, v9, v16, v19
.LBB2_5710:                             ;   in Loop: Header=BB2_5657 Depth=2
	s_or_b64 exec, exec, s[56:57]
.LBB2_5711:                             ;   in Loop: Header=BB2_5657 Depth=2
	s_or_b64 exec, exec, s[54:55]
.LBB2_5712:                             ;   in Loop: Header=BB2_5657 Depth=2
	s_or_b64 exec, exec, s[20:21]
	v_mul_f32_e32 v24, s60, v19
	v_and_b32_sdwa v19, v24, s69 dst_sel:DWORD dst_unused:UNUSED_PAD src0_sel:BYTE_3 src1_sel:DWORD
	v_and_b32_e32 v22, 0x7f800000, v24
	v_mov_b32_e32 v23, v17
	v_and_b32_e32 v16, 0x7fffff, v24
	v_or_b32_e32 v9, 0x7e, v19
	v_cmp_ne_u64_e32 vcc, s[38:39], v[22:23]
	s_and_saveexec_b64 s[20:21], vcc
	s_xor_b64 s[54:55], exec, s[20:21]
	s_cbranch_execz .LBB2_5726
; %bb.5713:                             ;   in Loop: Header=BB2_5657 Depth=2
	v_and_b32_e32 v22, 0x7fffffff, v24
	v_mov_b32_e32 v23, v17
	v_cmp_gt_u64_e32 vcc, s[40:41], v[22:23]
	s_and_saveexec_b64 s[20:21], vcc
	s_xor_b64 s[56:57], exec, s[20:21]
	s_cbranch_execz .LBB2_5725
; %bb.5714:                             ;   in Loop: Header=BB2_5657 Depth=2
	v_cmp_ne_u32_e32 vcc, 0, v24
	v_mov_b32_e32 v9, 0
	s_and_saveexec_b64 s[58:59], vcc
	s_cbranch_execz .LBB2_5724
; %bb.5715:                             ;   in Loop: Header=BB2_5657 Depth=2
	v_bfe_u32 v9, v24, 23, 8
	v_sub_u32_e32 v23, 0x79, v9
	v_cmp_gt_u32_e32 vcc, s70, v9
	v_cndmask_b32_e32 v23, 0, v23, vcc
	v_cmp_eq_u32_e32 vcc, 0, v9
	v_add_u32_e32 v22, 0xffffff81, v9
	v_cndmask_b32_e32 v26, v23, v57, vcc
	v_or_b32_e32 v24, 0x800000, v16
	v_cndmask_b32_e32 v9, v22, v56, vcc
	v_add_u32_e32 v22, 20, v26
	v_cndmask_b32_e32 v16, v24, v16, vcc
	v_lshlrev_b64 v[22:23], v22, -1
	v_not_b32_e32 v22, v22
	v_lshrrev_b64 v[32:33], v26, v[16:17]
	v_not_b32_e32 v23, v23
	v_and_b32_e32 v22, v16, v22
	v_add_u32_e32 v24, 19, v26
	v_lshrrev_b32_e32 v16, 23, v32
	v_and_b32_e32 v23, 0, v23
	v_lshlrev_b64 v[24:25], v24, 1
	v_add3_u32 v26, v26, v9, v16
	v_bfe_u32 v16, v32, 20, 1
	v_add_u32_e32 v16, -1, v16
	v_cmp_eq_u64_e32 vcc, v[22:23], v[24:25]
	v_cndmask_b32_e32 v16, 0, v16, vcc
	v_add_u32_e32 v16, v16, v32
	v_and_b32_e32 v16, 0xfffff, v16
	v_add_co_u32_e32 v24, vcc, v16, v32
	v_add_u32_e32 v9, 6, v26
	v_addc_co_u32_e32 v25, vcc, 0, v33, vcc
	v_cmp_ne_u32_e32 vcc, 0, v9
                                        ; implicit-def: $vgpr16
	s_and_saveexec_b64 s[20:21], vcc
	s_xor_b64 s[20:21], exec, s[20:21]
; %bb.5716:                             ;   in Loop: Header=BB2_5657 Depth=2
	v_add_u32_e32 v16, 7, v26
	v_cmp_lt_u64_e32 vcc, s[44:45], v[24:25]
	v_cndmask_b32_e32 v16, v9, v16, vcc
	v_cndmask_b32_e64 v9, 0, 1, vcc
	v_lshrrev_b64 v[24:25], v9, v[24:25]
; %bb.5717:                             ;   in Loop: Header=BB2_5657 Depth=2
	s_andn2_saveexec_b64 s[20:21], s[20:21]
; %bb.5718:                             ;   in Loop: Header=BB2_5657 Depth=2
	v_bfe_u32 v16, v24, 23, 1
; %bb.5719:                             ;   in Loop: Header=BB2_5657 Depth=2
	s_or_b64 exec, exec, s[20:21]
	v_lshrrev_b64 v[22:23], 20, v[24:25]
	v_cmp_gt_i32_e32 vcc, 16, v16
	v_cndmask_b32_e32 v25, 0, v23, vcc
	v_cndmask_b32_e32 v24, 7, v22, vcc
	v_cmp_ne_u32_e32 vcc, 0, v16
	v_cmp_ne_u64_e64 s[20:21], 0, v[24:25]
	s_or_b64 s[20:21], vcc, s[20:21]
                                        ; implicit-def: $vgpr9
	s_and_saveexec_b64 vcc, s[20:21]
	s_xor_b64 s[20:21], exec, vcc
; %bb.5720:                             ;   in Loop: Header=BB2_5657 Depth=2
	v_min_i32_e32 v9, 15, v16
	v_lshl_or_b32 v9, v9, 3, v19
	v_and_or_b32 v9, v24, 7, v9
                                        ; implicit-def: $vgpr19
; %bb.5721:                             ;   in Loop: Header=BB2_5657 Depth=2
	s_andn2_saveexec_b64 s[20:21], s[20:21]
; %bb.5722:                             ;   in Loop: Header=BB2_5657 Depth=2
	v_mov_b32_e32 v9, v19
; %bb.5723:                             ;   in Loop: Header=BB2_5657 Depth=2
	s_or_b64 exec, exec, s[20:21]
.LBB2_5724:                             ;   in Loop: Header=BB2_5657 Depth=2
	s_or_b64 exec, exec, s[58:59]
.LBB2_5725:                             ;   in Loop: Header=BB2_5657 Depth=2
	s_andn2_saveexec_b64 s[20:21], s[56:57]
	s_or_b64 exec, exec, s[20:21]
                                        ; implicit-def: $vgpr24
.LBB2_5726:                             ;   in Loop: Header=BB2_5657 Depth=2
	s_andn2_saveexec_b64 s[20:21], s[54:55]
; %bb.5727:                             ;   in Loop: Header=BB2_5657 Depth=2
	v_or_b32_sdwa v19, v24, s68 dst_sel:DWORD dst_unused:UNUSED_PAD src0_sel:BYTE_3 src1_sel:DWORD
	v_cmp_eq_u64_e32 vcc, 0, v[16:17]
	v_cndmask_b32_e32 v9, v19, v9, vcc
; %bb.5728:                             ;   in Loop: Header=BB2_5657 Depth=2
	s_or_b64 exec, exec, s[20:21]
	flat_load_ubyte v19, v[54:55] offset:192 glc slc
	v_mov_b32_e32 v24, 0
	s_waitcnt vmcnt(0) lgkmcnt(0)
	v_cmp_ne_u16_e32 vcc, 0, v19
	s_and_saveexec_b64 s[20:21], vcc
	s_cbranch_execz .LBB2_5734
; %bb.5729:                             ;   in Loop: Header=BB2_5657 Depth=2
	v_cmp_ne_u16_e32 vcc, s69, v19
	v_bfrev_b32_e32 v24, 1
	s_and_saveexec_b64 s[54:55], vcc
	s_cbranch_execz .LBB2_5733
; %bb.5730:                             ;   in Loop: Header=BB2_5657 Depth=2
	v_and_b32_e32 v16, 0xffff, v19
	v_and_b32_e32 v25, 0x7f, v16
	v_cmp_ne_u32_e32 vcc, s68, v25
	v_mov_b32_e32 v24, 0x7f800001
	s_and_saveexec_b64 s[56:57], vcc
	s_cbranch_execz .LBB2_5732
; %bb.5731:                             ;   in Loop: Header=BB2_5657 Depth=2
	v_and_b32_e32 v24, 7, v16
	v_ffbh_u32_e32 v22, v24
	v_min_u32_e32 v27, 32, v22
	v_subrev_u32_e32 v22, 28, v27
	v_lshlrev_b64 v[22:23], v22, v[16:17]
	v_lshrrev_b32_e32 v26, 3, v25
	v_sub_u32_e32 v16, 29, v27
	v_and_b32_e32 v22, 7, v22
	v_cmp_gt_u32_e32 vcc, 8, v25
	v_cndmask_b32_e32 v16, v26, v16, vcc
	v_cndmask_b32_e32 v22, v24, v22, vcc
	v_lshlrev_b32_e32 v19, 24, v19
	v_lshlrev_b32_e32 v22, 20, v22
	v_and_b32_e32 v19, 0x80000000, v19
	v_lshl_add_u32 v16, v16, 23, v47
	v_or3_b32 v24, v19, v16, v22
.LBB2_5732:                             ;   in Loop: Header=BB2_5657 Depth=2
	s_or_b64 exec, exec, s[56:57]
.LBB2_5733:                             ;   in Loop: Header=BB2_5657 Depth=2
	s_or_b64 exec, exec, s[54:55]
.LBB2_5734:                             ;   in Loop: Header=BB2_5657 Depth=2
	s_or_b64 exec, exec, s[20:21]
	v_mul_f32_e32 v24, s60, v24
	v_and_b32_sdwa v26, v24, s69 dst_sel:DWORD dst_unused:UNUSED_PAD src0_sel:BYTE_3 src1_sel:DWORD
	v_and_b32_e32 v22, 0x7f800000, v24
	v_mov_b32_e32 v23, v17
	v_and_b32_e32 v16, 0x7fffff, v24
	v_or_b32_e32 v19, 0x7e, v26
	v_cmp_ne_u64_e32 vcc, s[38:39], v[22:23]
	s_and_saveexec_b64 s[20:21], vcc
	s_xor_b64 s[54:55], exec, s[20:21]
	s_cbranch_execz .LBB2_5748
; %bb.5735:                             ;   in Loop: Header=BB2_5657 Depth=2
	v_and_b32_e32 v22, 0x7fffffff, v24
	v_mov_b32_e32 v23, v17
	v_cmp_gt_u64_e32 vcc, s[40:41], v[22:23]
	s_and_saveexec_b64 s[20:21], vcc
	s_xor_b64 s[56:57], exec, s[20:21]
	s_cbranch_execz .LBB2_5747
; %bb.5736:                             ;   in Loop: Header=BB2_5657 Depth=2
	v_cmp_ne_u32_e32 vcc, 0, v24
	v_mov_b32_e32 v19, 0
	s_and_saveexec_b64 s[58:59], vcc
	s_cbranch_execz .LBB2_5746
; %bb.5737:                             ;   in Loop: Header=BB2_5657 Depth=2
	v_bfe_u32 v19, v24, 23, 8
	v_sub_u32_e32 v23, 0x79, v19
	v_cmp_gt_u32_e32 vcc, s70, v19
	v_cndmask_b32_e32 v23, 0, v23, vcc
	v_cmp_eq_u32_e32 vcc, 0, v19
	v_add_u32_e32 v22, 0xffffff81, v19
	v_cndmask_b32_e32 v27, v23, v57, vcc
	v_or_b32_e32 v24, 0x800000, v16
	v_cndmask_b32_e32 v19, v22, v56, vcc
	v_add_u32_e32 v22, 20, v27
	v_cndmask_b32_e32 v16, v24, v16, vcc
	v_lshlrev_b64 v[22:23], v22, -1
	v_not_b32_e32 v22, v22
	v_lshrrev_b64 v[32:33], v27, v[16:17]
	v_not_b32_e32 v23, v23
	v_and_b32_e32 v22, v16, v22
	v_add_u32_e32 v24, 19, v27
	v_lshrrev_b32_e32 v16, 23, v32
	v_and_b32_e32 v23, 0, v23
	v_lshlrev_b64 v[24:25], v24, 1
	v_add3_u32 v27, v27, v19, v16
	v_bfe_u32 v16, v32, 20, 1
	v_add_u32_e32 v16, -1, v16
	v_cmp_eq_u64_e32 vcc, v[22:23], v[24:25]
	v_cndmask_b32_e32 v16, 0, v16, vcc
	v_add_u32_e32 v16, v16, v32
	v_and_b32_e32 v16, 0xfffff, v16
	v_add_co_u32_e32 v24, vcc, v16, v32
	v_add_u32_e32 v19, 6, v27
	v_addc_co_u32_e32 v25, vcc, 0, v33, vcc
	v_cmp_ne_u32_e32 vcc, 0, v19
                                        ; implicit-def: $vgpr16
	s_and_saveexec_b64 s[20:21], vcc
	s_xor_b64 s[20:21], exec, s[20:21]
; %bb.5738:                             ;   in Loop: Header=BB2_5657 Depth=2
	v_add_u32_e32 v16, 7, v27
	v_cmp_lt_u64_e32 vcc, s[44:45], v[24:25]
	v_cndmask_b32_e32 v16, v19, v16, vcc
	v_cndmask_b32_e64 v19, 0, 1, vcc
	v_lshrrev_b64 v[24:25], v19, v[24:25]
; %bb.5739:                             ;   in Loop: Header=BB2_5657 Depth=2
	s_andn2_saveexec_b64 s[20:21], s[20:21]
; %bb.5740:                             ;   in Loop: Header=BB2_5657 Depth=2
	v_bfe_u32 v16, v24, 23, 1
; %bb.5741:                             ;   in Loop: Header=BB2_5657 Depth=2
	s_or_b64 exec, exec, s[20:21]
	v_lshrrev_b64 v[22:23], 20, v[24:25]
	v_cmp_gt_i32_e32 vcc, 16, v16
	v_cndmask_b32_e32 v25, 0, v23, vcc
	v_cndmask_b32_e32 v24, 7, v22, vcc
	v_cmp_ne_u32_e32 vcc, 0, v16
	v_cmp_ne_u64_e64 s[20:21], 0, v[24:25]
	s_or_b64 s[20:21], vcc, s[20:21]
                                        ; implicit-def: $vgpr19
	s_and_saveexec_b64 vcc, s[20:21]
	s_xor_b64 s[20:21], exec, vcc
; %bb.5742:                             ;   in Loop: Header=BB2_5657 Depth=2
	v_min_i32_e32 v16, 15, v16
	v_lshl_or_b32 v16, v16, 3, v26
	v_and_or_b32 v19, v24, 7, v16
                                        ; implicit-def: $vgpr26
; %bb.5743:                             ;   in Loop: Header=BB2_5657 Depth=2
	s_andn2_saveexec_b64 s[20:21], s[20:21]
; %bb.5744:                             ;   in Loop: Header=BB2_5657 Depth=2
	v_mov_b32_e32 v19, v26
; %bb.5745:                             ;   in Loop: Header=BB2_5657 Depth=2
	s_or_b64 exec, exec, s[20:21]
.LBB2_5746:                             ;   in Loop: Header=BB2_5657 Depth=2
	s_or_b64 exec, exec, s[58:59]
.LBB2_5747:                             ;   in Loop: Header=BB2_5657 Depth=2
	s_andn2_saveexec_b64 s[20:21], s[56:57]
	s_or_b64 exec, exec, s[20:21]
                                        ; implicit-def: $vgpr24
.LBB2_5748:                             ;   in Loop: Header=BB2_5657 Depth=2
	s_andn2_saveexec_b64 s[20:21], s[54:55]
; %bb.5749:                             ;   in Loop: Header=BB2_5657 Depth=2
	v_or_b32_sdwa v22, v24, s68 dst_sel:DWORD dst_unused:UNUSED_PAD src0_sel:BYTE_3 src1_sel:DWORD
	v_cmp_eq_u64_e32 vcc, 0, v[16:17]
	v_cndmask_b32_e32 v19, v22, v19, vcc
; %bb.5750:                             ;   in Loop: Header=BB2_5657 Depth=2
	s_or_b64 exec, exec, s[20:21]
	flat_load_ubyte v24, v[54:55] offset:256 glc slc
	v_mov_b32_e32 v25, 0
	s_waitcnt vmcnt(0) lgkmcnt(0)
	v_cmp_ne_u16_e32 vcc, 0, v24
	s_and_saveexec_b64 s[20:21], vcc
	s_cbranch_execz .LBB2_5756
; %bb.5751:                             ;   in Loop: Header=BB2_5657 Depth=2
	v_cmp_ne_u16_e32 vcc, s69, v24
	v_bfrev_b32_e32 v25, 1
	s_and_saveexec_b64 s[54:55], vcc
	s_cbranch_execz .LBB2_5755
; %bb.5752:                             ;   in Loop: Header=BB2_5657 Depth=2
	v_and_b32_e32 v16, 0xffff, v24
	v_and_b32_e32 v26, 0x7f, v16
	v_cmp_ne_u32_e32 vcc, s68, v26
	v_mov_b32_e32 v25, 0x7f800001
	s_and_saveexec_b64 s[56:57], vcc
	s_cbranch_execz .LBB2_5754
; %bb.5753:                             ;   in Loop: Header=BB2_5657 Depth=2
	v_and_b32_e32 v25, 7, v16
	v_ffbh_u32_e32 v22, v25
	v_min_u32_e32 v32, 32, v22
	v_subrev_u32_e32 v22, 28, v32
	v_lshlrev_b64 v[22:23], v22, v[16:17]
	v_lshrrev_b32_e32 v27, 3, v26
	v_sub_u32_e32 v16, 29, v32
	v_and_b32_e32 v22, 7, v22
	v_cmp_gt_u32_e32 vcc, 8, v26
	v_cndmask_b32_e32 v16, v27, v16, vcc
	v_cndmask_b32_e32 v22, v25, v22, vcc
	v_lshlrev_b32_e32 v23, 24, v24
	v_lshlrev_b32_e32 v22, 20, v22
	v_and_b32_e32 v23, 0x80000000, v23
	v_lshl_add_u32 v16, v16, 23, v47
	v_or3_b32 v25, v23, v16, v22
.LBB2_5754:                             ;   in Loop: Header=BB2_5657 Depth=2
	s_or_b64 exec, exec, s[56:57]
.LBB2_5755:                             ;   in Loop: Header=BB2_5657 Depth=2
	s_or_b64 exec, exec, s[54:55]
.LBB2_5756:                             ;   in Loop: Header=BB2_5657 Depth=2
	s_or_b64 exec, exec, s[20:21]
	v_mul_f32_e32 v24, s60, v25
	v_and_b32_sdwa v27, v24, s69 dst_sel:DWORD dst_unused:UNUSED_PAD src0_sel:BYTE_3 src1_sel:DWORD
	v_and_b32_e32 v22, 0x7f800000, v24
	v_mov_b32_e32 v23, v17
	v_and_b32_e32 v16, 0x7fffff, v24
	v_or_b32_e32 v26, 0x7e, v27
	v_cmp_ne_u64_e32 vcc, s[38:39], v[22:23]
	s_and_saveexec_b64 s[20:21], vcc
	s_xor_b64 s[54:55], exec, s[20:21]
	s_cbranch_execz .LBB2_5770
; %bb.5757:                             ;   in Loop: Header=BB2_5657 Depth=2
	v_and_b32_e32 v22, 0x7fffffff, v24
	v_mov_b32_e32 v23, v17
	v_cmp_gt_u64_e32 vcc, s[40:41], v[22:23]
	s_and_saveexec_b64 s[20:21], vcc
	s_xor_b64 s[56:57], exec, s[20:21]
	s_cbranch_execz .LBB2_5769
; %bb.5758:                             ;   in Loop: Header=BB2_5657 Depth=2
	v_cmp_ne_u32_e32 vcc, 0, v24
	v_mov_b32_e32 v26, 0
	s_and_saveexec_b64 s[58:59], vcc
	s_cbranch_execz .LBB2_5768
; %bb.5759:                             ;   in Loop: Header=BB2_5657 Depth=2
	v_bfe_u32 v22, v24, 23, 8
	v_sub_u32_e32 v24, 0x79, v22
	v_cmp_gt_u32_e32 vcc, s70, v22
	v_cndmask_b32_e32 v24, 0, v24, vcc
	v_cmp_eq_u32_e32 vcc, 0, v22
	v_cndmask_b32_e32 v32, v24, v57, vcc
	v_add_u32_e32 v23, 0xffffff81, v22
	v_or_b32_e32 v25, 0x800000, v16
	v_add_u32_e32 v22, 20, v32
	v_cndmask_b32_e32 v26, v23, v56, vcc
	v_cndmask_b32_e32 v16, v25, v16, vcc
	v_lshlrev_b64 v[22:23], v22, -1
	v_not_b32_e32 v22, v22
	v_lshrrev_b64 v[34:35], v32, v[16:17]
	v_not_b32_e32 v23, v23
	v_and_b32_e32 v22, v16, v22
	v_add_u32_e32 v24, 19, v32
	v_lshrrev_b32_e32 v16, 23, v34
	v_and_b32_e32 v23, 0, v23
	v_lshlrev_b64 v[24:25], v24, 1
	v_add3_u32 v32, v32, v26, v16
	v_bfe_u32 v16, v34, 20, 1
	v_add_u32_e32 v16, -1, v16
	v_cmp_eq_u64_e32 vcc, v[22:23], v[24:25]
	v_cndmask_b32_e32 v16, 0, v16, vcc
	v_add_u32_e32 v16, v16, v34
	v_and_b32_e32 v16, 0xfffff, v16
	v_add_co_u32_e32 v24, vcc, v16, v34
	v_add_u32_e32 v26, 6, v32
	v_addc_co_u32_e32 v25, vcc, 0, v35, vcc
	v_cmp_ne_u32_e32 vcc, 0, v26
                                        ; implicit-def: $vgpr16
	s_and_saveexec_b64 s[20:21], vcc
	s_xor_b64 s[20:21], exec, s[20:21]
; %bb.5760:                             ;   in Loop: Header=BB2_5657 Depth=2
	v_cmp_lt_u64_e32 vcc, s[44:45], v[24:25]
	v_add_u32_e32 v16, 7, v32
	v_cndmask_b32_e64 v22, 0, 1, vcc
	v_cndmask_b32_e32 v16, v26, v16, vcc
	v_lshrrev_b64 v[24:25], v22, v[24:25]
; %bb.5761:                             ;   in Loop: Header=BB2_5657 Depth=2
	s_andn2_saveexec_b64 s[20:21], s[20:21]
; %bb.5762:                             ;   in Loop: Header=BB2_5657 Depth=2
	v_bfe_u32 v16, v24, 23, 1
; %bb.5763:                             ;   in Loop: Header=BB2_5657 Depth=2
	s_or_b64 exec, exec, s[20:21]
	v_lshrrev_b64 v[22:23], 20, v[24:25]
	v_cmp_gt_i32_e32 vcc, 16, v16
	v_cndmask_b32_e32 v25, 0, v23, vcc
	v_cndmask_b32_e32 v24, 7, v22, vcc
	v_cmp_ne_u32_e32 vcc, 0, v16
	v_cmp_ne_u64_e64 s[20:21], 0, v[24:25]
	s_or_b64 s[20:21], vcc, s[20:21]
                                        ; implicit-def: $vgpr26
	s_and_saveexec_b64 vcc, s[20:21]
	s_xor_b64 s[20:21], exec, vcc
; %bb.5764:                             ;   in Loop: Header=BB2_5657 Depth=2
	v_min_i32_e32 v16, 15, v16
	v_lshl_or_b32 v16, v16, 3, v27
	v_and_or_b32 v26, v24, 7, v16
                                        ; implicit-def: $vgpr27
; %bb.5765:                             ;   in Loop: Header=BB2_5657 Depth=2
	s_andn2_saveexec_b64 s[20:21], s[20:21]
; %bb.5766:                             ;   in Loop: Header=BB2_5657 Depth=2
	v_mov_b32_e32 v26, v27
; %bb.5767:                             ;   in Loop: Header=BB2_5657 Depth=2
	s_or_b64 exec, exec, s[20:21]
.LBB2_5768:                             ;   in Loop: Header=BB2_5657 Depth=2
	s_or_b64 exec, exec, s[58:59]
.LBB2_5769:                             ;   in Loop: Header=BB2_5657 Depth=2
	s_andn2_saveexec_b64 s[20:21], s[56:57]
	s_or_b64 exec, exec, s[20:21]
                                        ; implicit-def: $vgpr24
.LBB2_5770:                             ;   in Loop: Header=BB2_5657 Depth=2
	s_andn2_saveexec_b64 s[20:21], s[54:55]
; %bb.5771:                             ;   in Loop: Header=BB2_5657 Depth=2
	v_or_b32_sdwa v22, v24, s68 dst_sel:DWORD dst_unused:UNUSED_PAD src0_sel:BYTE_3 src1_sel:DWORD
	v_cmp_eq_u64_e32 vcc, 0, v[16:17]
	v_cndmask_b32_e32 v26, v22, v26, vcc
; %bb.5772:                             ;   in Loop: Header=BB2_5657 Depth=2
	s_or_b64 exec, exec, s[20:21]
	flat_load_ubyte v24, v[54:55] offset:320 glc slc
	v_mov_b32_e32 v25, 0
	s_waitcnt vmcnt(0) lgkmcnt(0)
	v_cmp_ne_u16_e32 vcc, 0, v24
	s_and_saveexec_b64 s[20:21], vcc
	s_cbranch_execz .LBB2_5778
; %bb.5773:                             ;   in Loop: Header=BB2_5657 Depth=2
	v_cmp_ne_u16_e32 vcc, s69, v24
	v_bfrev_b32_e32 v25, 1
	s_and_saveexec_b64 s[54:55], vcc
	s_cbranch_execz .LBB2_5777
; %bb.5774:                             ;   in Loop: Header=BB2_5657 Depth=2
	v_and_b32_e32 v16, 0xffff, v24
	v_and_b32_e32 v27, 0x7f, v16
	v_cmp_ne_u32_e32 vcc, s68, v27
	v_mov_b32_e32 v25, 0x7f800001
	s_and_saveexec_b64 s[56:57], vcc
	s_cbranch_execz .LBB2_5776
; %bb.5775:                             ;   in Loop: Header=BB2_5657 Depth=2
	v_and_b32_e32 v25, 7, v16
	v_ffbh_u32_e32 v22, v25
	v_min_u32_e32 v33, 32, v22
	v_subrev_u32_e32 v22, 28, v33
	v_lshlrev_b64 v[22:23], v22, v[16:17]
	v_lshrrev_b32_e32 v32, 3, v27
	v_sub_u32_e32 v16, 29, v33
	v_and_b32_e32 v22, 7, v22
	v_cmp_gt_u32_e32 vcc, 8, v27
	v_cndmask_b32_e32 v16, v32, v16, vcc
	v_cndmask_b32_e32 v22, v25, v22, vcc
	v_lshlrev_b32_e32 v23, 24, v24
	v_lshlrev_b32_e32 v22, 20, v22
	v_and_b32_e32 v23, 0x80000000, v23
	v_lshl_add_u32 v16, v16, 23, v47
	v_or3_b32 v25, v23, v16, v22
.LBB2_5776:                             ;   in Loop: Header=BB2_5657 Depth=2
	s_or_b64 exec, exec, s[56:57]
.LBB2_5777:                             ;   in Loop: Header=BB2_5657 Depth=2
	s_or_b64 exec, exec, s[54:55]
.LBB2_5778:                             ;   in Loop: Header=BB2_5657 Depth=2
	s_or_b64 exec, exec, s[20:21]
	v_mul_f32_e32 v24, s60, v25
	v_and_b32_sdwa v32, v24, s69 dst_sel:DWORD dst_unused:UNUSED_PAD src0_sel:BYTE_3 src1_sel:DWORD
	v_and_b32_e32 v22, 0x7f800000, v24
	v_mov_b32_e32 v23, v17
	v_and_b32_e32 v16, 0x7fffff, v24
	v_or_b32_e32 v27, 0x7e, v32
	v_cmp_ne_u64_e32 vcc, s[38:39], v[22:23]
	s_and_saveexec_b64 s[20:21], vcc
	s_xor_b64 s[54:55], exec, s[20:21]
	s_cbranch_execz .LBB2_5792
; %bb.5779:                             ;   in Loop: Header=BB2_5657 Depth=2
	v_and_b32_e32 v22, 0x7fffffff, v24
	v_mov_b32_e32 v23, v17
	v_cmp_gt_u64_e32 vcc, s[40:41], v[22:23]
	s_and_saveexec_b64 s[20:21], vcc
	s_xor_b64 s[56:57], exec, s[20:21]
	s_cbranch_execz .LBB2_5791
; %bb.5780:                             ;   in Loop: Header=BB2_5657 Depth=2
	v_cmp_ne_u32_e32 vcc, 0, v24
	v_mov_b32_e32 v27, 0
	s_and_saveexec_b64 s[58:59], vcc
	s_cbranch_execz .LBB2_5790
; %bb.5781:                             ;   in Loop: Header=BB2_5657 Depth=2
	v_bfe_u32 v22, v24, 23, 8
	v_sub_u32_e32 v24, 0x79, v22
	v_cmp_gt_u32_e32 vcc, s70, v22
	v_cndmask_b32_e32 v24, 0, v24, vcc
	v_cmp_eq_u32_e32 vcc, 0, v22
	v_cndmask_b32_e32 v33, v24, v57, vcc
	v_add_u32_e32 v23, 0xffffff81, v22
	v_or_b32_e32 v25, 0x800000, v16
	v_add_u32_e32 v22, 20, v33
	v_cndmask_b32_e32 v27, v23, v56, vcc
	v_cndmask_b32_e32 v16, v25, v16, vcc
	v_lshlrev_b64 v[22:23], v22, -1
	v_not_b32_e32 v22, v22
	v_lshrrev_b64 v[34:35], v33, v[16:17]
	v_not_b32_e32 v23, v23
	v_and_b32_e32 v22, v16, v22
	v_add_u32_e32 v24, 19, v33
	v_lshrrev_b32_e32 v16, 23, v34
	v_and_b32_e32 v23, 0, v23
	v_lshlrev_b64 v[24:25], v24, 1
	v_add3_u32 v33, v33, v27, v16
	v_bfe_u32 v16, v34, 20, 1
	v_add_u32_e32 v16, -1, v16
	v_cmp_eq_u64_e32 vcc, v[22:23], v[24:25]
	v_cndmask_b32_e32 v16, 0, v16, vcc
	v_add_u32_e32 v16, v16, v34
	v_and_b32_e32 v16, 0xfffff, v16
	v_add_co_u32_e32 v24, vcc, v16, v34
	v_add_u32_e32 v27, 6, v33
	v_addc_co_u32_e32 v25, vcc, 0, v35, vcc
	v_cmp_ne_u32_e32 vcc, 0, v27
                                        ; implicit-def: $vgpr16
	s_and_saveexec_b64 s[20:21], vcc
	s_xor_b64 s[20:21], exec, s[20:21]
; %bb.5782:                             ;   in Loop: Header=BB2_5657 Depth=2
	v_cmp_lt_u64_e32 vcc, s[44:45], v[24:25]
	v_add_u32_e32 v16, 7, v33
	v_cndmask_b32_e64 v22, 0, 1, vcc
	v_cndmask_b32_e32 v16, v27, v16, vcc
	v_lshrrev_b64 v[24:25], v22, v[24:25]
; %bb.5783:                             ;   in Loop: Header=BB2_5657 Depth=2
	s_andn2_saveexec_b64 s[20:21], s[20:21]
; %bb.5784:                             ;   in Loop: Header=BB2_5657 Depth=2
	v_bfe_u32 v16, v24, 23, 1
; %bb.5785:                             ;   in Loop: Header=BB2_5657 Depth=2
	s_or_b64 exec, exec, s[20:21]
	v_lshrrev_b64 v[22:23], 20, v[24:25]
	v_cmp_gt_i32_e32 vcc, 16, v16
	v_cndmask_b32_e32 v25, 0, v23, vcc
	v_cndmask_b32_e32 v24, 7, v22, vcc
	v_cmp_ne_u32_e32 vcc, 0, v16
	v_cmp_ne_u64_e64 s[20:21], 0, v[24:25]
	s_or_b64 s[20:21], vcc, s[20:21]
                                        ; implicit-def: $vgpr27
	s_and_saveexec_b64 vcc, s[20:21]
	s_xor_b64 s[20:21], exec, vcc
; %bb.5786:                             ;   in Loop: Header=BB2_5657 Depth=2
	v_min_i32_e32 v16, 15, v16
	v_lshl_or_b32 v16, v16, 3, v32
	v_and_or_b32 v27, v24, 7, v16
                                        ; implicit-def: $vgpr32
; %bb.5787:                             ;   in Loop: Header=BB2_5657 Depth=2
	s_andn2_saveexec_b64 s[20:21], s[20:21]
; %bb.5788:                             ;   in Loop: Header=BB2_5657 Depth=2
	v_mov_b32_e32 v27, v32
; %bb.5789:                             ;   in Loop: Header=BB2_5657 Depth=2
	s_or_b64 exec, exec, s[20:21]
.LBB2_5790:                             ;   in Loop: Header=BB2_5657 Depth=2
	s_or_b64 exec, exec, s[58:59]
.LBB2_5791:                             ;   in Loop: Header=BB2_5657 Depth=2
	s_andn2_saveexec_b64 s[20:21], s[56:57]
	s_or_b64 exec, exec, s[20:21]
                                        ; implicit-def: $vgpr24
.LBB2_5792:                             ;   in Loop: Header=BB2_5657 Depth=2
	s_andn2_saveexec_b64 s[20:21], s[54:55]
; %bb.5793:                             ;   in Loop: Header=BB2_5657 Depth=2
	v_or_b32_sdwa v22, v24, s68 dst_sel:DWORD dst_unused:UNUSED_PAD src0_sel:BYTE_3 src1_sel:DWORD
	v_cmp_eq_u64_e32 vcc, 0, v[16:17]
	v_cndmask_b32_e32 v27, v22, v27, vcc
; %bb.5794:                             ;   in Loop: Header=BB2_5657 Depth=2
	s_or_b64 exec, exec, s[20:21]
	flat_load_ubyte v24, v[54:55] offset:384 glc slc
	v_mov_b32_e32 v25, 0
	s_waitcnt vmcnt(0) lgkmcnt(0)
	v_cmp_ne_u16_e32 vcc, 0, v24
	s_and_saveexec_b64 s[20:21], vcc
	s_cbranch_execz .LBB2_5800
; %bb.5795:                             ;   in Loop: Header=BB2_5657 Depth=2
	v_cmp_ne_u16_e32 vcc, s69, v24
	v_bfrev_b32_e32 v25, 1
	s_and_saveexec_b64 s[54:55], vcc
	s_cbranch_execz .LBB2_5799
; %bb.5796:                             ;   in Loop: Header=BB2_5657 Depth=2
	v_and_b32_e32 v16, 0xffff, v24
	v_and_b32_e32 v32, 0x7f, v16
	v_cmp_ne_u32_e32 vcc, s68, v32
	v_mov_b32_e32 v25, 0x7f800001
	s_and_saveexec_b64 s[56:57], vcc
	s_cbranch_execz .LBB2_5798
; %bb.5797:                             ;   in Loop: Header=BB2_5657 Depth=2
	v_and_b32_e32 v25, 7, v16
	v_ffbh_u32_e32 v22, v25
	v_min_u32_e32 v34, 32, v22
	v_subrev_u32_e32 v22, 28, v34
	v_lshlrev_b64 v[22:23], v22, v[16:17]
	v_lshrrev_b32_e32 v33, 3, v32
	v_sub_u32_e32 v16, 29, v34
	v_and_b32_e32 v22, 7, v22
	v_cmp_gt_u32_e32 vcc, 8, v32
	v_cndmask_b32_e32 v16, v33, v16, vcc
	v_cndmask_b32_e32 v22, v25, v22, vcc
	v_lshlrev_b32_e32 v23, 24, v24
	v_lshlrev_b32_e32 v22, 20, v22
	v_and_b32_e32 v23, 0x80000000, v23
	v_lshl_add_u32 v16, v16, 23, v47
	v_or3_b32 v25, v23, v16, v22
.LBB2_5798:                             ;   in Loop: Header=BB2_5657 Depth=2
	s_or_b64 exec, exec, s[56:57]
.LBB2_5799:                             ;   in Loop: Header=BB2_5657 Depth=2
	s_or_b64 exec, exec, s[54:55]
.LBB2_5800:                             ;   in Loop: Header=BB2_5657 Depth=2
	s_or_b64 exec, exec, s[20:21]
	v_mul_f32_e32 v24, s60, v25
	v_and_b32_sdwa v33, v24, s69 dst_sel:DWORD dst_unused:UNUSED_PAD src0_sel:BYTE_3 src1_sel:DWORD
	v_and_b32_e32 v22, 0x7f800000, v24
	v_mov_b32_e32 v23, v17
	v_and_b32_e32 v16, 0x7fffff, v24
	v_or_b32_e32 v32, 0x7e, v33
	v_cmp_ne_u64_e32 vcc, s[38:39], v[22:23]
	s_and_saveexec_b64 s[20:21], vcc
	s_xor_b64 s[54:55], exec, s[20:21]
	s_cbranch_execz .LBB2_5814
; %bb.5801:                             ;   in Loop: Header=BB2_5657 Depth=2
	v_and_b32_e32 v22, 0x7fffffff, v24
	v_mov_b32_e32 v23, v17
	v_cmp_gt_u64_e32 vcc, s[40:41], v[22:23]
	s_and_saveexec_b64 s[20:21], vcc
	s_xor_b64 s[56:57], exec, s[20:21]
	s_cbranch_execz .LBB2_5813
; %bb.5802:                             ;   in Loop: Header=BB2_5657 Depth=2
	v_cmp_ne_u32_e32 vcc, 0, v24
	v_mov_b32_e32 v32, 0
	s_and_saveexec_b64 s[58:59], vcc
	s_cbranch_execz .LBB2_5812
; %bb.5803:                             ;   in Loop: Header=BB2_5657 Depth=2
	v_bfe_u32 v22, v24, 23, 8
	v_sub_u32_e32 v24, 0x79, v22
	v_cmp_gt_u32_e32 vcc, s70, v22
	v_cndmask_b32_e32 v24, 0, v24, vcc
	v_cmp_eq_u32_e32 vcc, 0, v22
	v_cndmask_b32_e32 v34, v24, v57, vcc
	v_add_u32_e32 v23, 0xffffff81, v22
	v_or_b32_e32 v25, 0x800000, v16
	v_add_u32_e32 v22, 20, v34
	v_cndmask_b32_e32 v32, v23, v56, vcc
	v_cndmask_b32_e32 v16, v25, v16, vcc
	v_lshlrev_b64 v[22:23], v22, -1
	v_not_b32_e32 v22, v22
	v_lshrrev_b64 v[38:39], v34, v[16:17]
	v_not_b32_e32 v23, v23
	v_and_b32_e32 v22, v16, v22
	v_add_u32_e32 v24, 19, v34
	v_lshrrev_b32_e32 v16, 23, v38
	v_and_b32_e32 v23, 0, v23
	v_lshlrev_b64 v[24:25], v24, 1
	v_add3_u32 v34, v34, v32, v16
	v_bfe_u32 v16, v38, 20, 1
	v_add_u32_e32 v16, -1, v16
	v_cmp_eq_u64_e32 vcc, v[22:23], v[24:25]
	v_cndmask_b32_e32 v16, 0, v16, vcc
	v_add_u32_e32 v16, v16, v38
	v_and_b32_e32 v16, 0xfffff, v16
	v_add_co_u32_e32 v24, vcc, v16, v38
	v_add_u32_e32 v32, 6, v34
	v_addc_co_u32_e32 v25, vcc, 0, v39, vcc
	v_cmp_ne_u32_e32 vcc, 0, v32
                                        ; implicit-def: $vgpr16
	s_and_saveexec_b64 s[20:21], vcc
	s_xor_b64 s[20:21], exec, s[20:21]
; %bb.5804:                             ;   in Loop: Header=BB2_5657 Depth=2
	v_cmp_lt_u64_e32 vcc, s[44:45], v[24:25]
	v_add_u32_e32 v16, 7, v34
	v_cndmask_b32_e64 v22, 0, 1, vcc
	v_cndmask_b32_e32 v16, v32, v16, vcc
	v_lshrrev_b64 v[24:25], v22, v[24:25]
; %bb.5805:                             ;   in Loop: Header=BB2_5657 Depth=2
	s_andn2_saveexec_b64 s[20:21], s[20:21]
; %bb.5806:                             ;   in Loop: Header=BB2_5657 Depth=2
	v_bfe_u32 v16, v24, 23, 1
; %bb.5807:                             ;   in Loop: Header=BB2_5657 Depth=2
	s_or_b64 exec, exec, s[20:21]
	v_lshrrev_b64 v[22:23], 20, v[24:25]
	v_cmp_gt_i32_e32 vcc, 16, v16
	v_cndmask_b32_e32 v25, 0, v23, vcc
	v_cndmask_b32_e32 v24, 7, v22, vcc
	v_cmp_ne_u32_e32 vcc, 0, v16
	v_cmp_ne_u64_e64 s[20:21], 0, v[24:25]
	s_or_b64 s[20:21], vcc, s[20:21]
                                        ; implicit-def: $vgpr32
	s_and_saveexec_b64 vcc, s[20:21]
	s_xor_b64 s[20:21], exec, vcc
; %bb.5808:                             ;   in Loop: Header=BB2_5657 Depth=2
	v_min_i32_e32 v16, 15, v16
	v_lshl_or_b32 v16, v16, 3, v33
	v_and_or_b32 v32, v24, 7, v16
                                        ; implicit-def: $vgpr33
; %bb.5809:                             ;   in Loop: Header=BB2_5657 Depth=2
	s_andn2_saveexec_b64 s[20:21], s[20:21]
; %bb.5810:                             ;   in Loop: Header=BB2_5657 Depth=2
	v_mov_b32_e32 v32, v33
; %bb.5811:                             ;   in Loop: Header=BB2_5657 Depth=2
	s_or_b64 exec, exec, s[20:21]
.LBB2_5812:                             ;   in Loop: Header=BB2_5657 Depth=2
	s_or_b64 exec, exec, s[58:59]
.LBB2_5813:                             ;   in Loop: Header=BB2_5657 Depth=2
	s_andn2_saveexec_b64 s[20:21], s[56:57]
	s_or_b64 exec, exec, s[20:21]
                                        ; implicit-def: $vgpr24
.LBB2_5814:                             ;   in Loop: Header=BB2_5657 Depth=2
	s_andn2_saveexec_b64 s[20:21], s[54:55]
; %bb.5815:                             ;   in Loop: Header=BB2_5657 Depth=2
	v_or_b32_sdwa v22, v24, s68 dst_sel:DWORD dst_unused:UNUSED_PAD src0_sel:BYTE_3 src1_sel:DWORD
	v_cmp_eq_u64_e32 vcc, 0, v[16:17]
	v_cndmask_b32_e32 v32, v22, v32, vcc
; %bb.5816:                             ;   in Loop: Header=BB2_5657 Depth=2
	s_or_b64 exec, exec, s[20:21]
	flat_load_ubyte v24, v[54:55] offset:448 glc slc
	v_mov_b32_e32 v25, 0
	s_waitcnt vmcnt(0) lgkmcnt(0)
	v_cmp_ne_u16_e32 vcc, 0, v24
	s_and_saveexec_b64 s[20:21], vcc
	s_cbranch_execz .LBB2_5822
; %bb.5817:                             ;   in Loop: Header=BB2_5657 Depth=2
	v_cmp_ne_u16_e32 vcc, s69, v24
	v_bfrev_b32_e32 v25, 1
	s_and_saveexec_b64 s[54:55], vcc
	s_cbranch_execz .LBB2_5821
; %bb.5818:                             ;   in Loop: Header=BB2_5657 Depth=2
	v_and_b32_e32 v16, 0xffff, v24
	v_and_b32_e32 v33, 0x7f, v16
	v_cmp_ne_u32_e32 vcc, s68, v33
	v_mov_b32_e32 v25, 0x7f800001
	s_and_saveexec_b64 s[56:57], vcc
	s_cbranch_execz .LBB2_5820
; %bb.5819:                             ;   in Loop: Header=BB2_5657 Depth=2
	v_and_b32_e32 v25, 7, v16
	v_ffbh_u32_e32 v22, v25
	v_min_u32_e32 v35, 32, v22
	v_subrev_u32_e32 v22, 28, v35
	v_lshlrev_b64 v[22:23], v22, v[16:17]
	v_lshrrev_b32_e32 v34, 3, v33
	v_sub_u32_e32 v16, 29, v35
	v_and_b32_e32 v22, 7, v22
	v_cmp_gt_u32_e32 vcc, 8, v33
	v_cndmask_b32_e32 v16, v34, v16, vcc
	v_cndmask_b32_e32 v22, v25, v22, vcc
	v_lshlrev_b32_e32 v23, 24, v24
	v_lshlrev_b32_e32 v22, 20, v22
	v_and_b32_e32 v23, 0x80000000, v23
	v_lshl_add_u32 v16, v16, 23, v47
	v_or3_b32 v25, v23, v16, v22
.LBB2_5820:                             ;   in Loop: Header=BB2_5657 Depth=2
	s_or_b64 exec, exec, s[56:57]
.LBB2_5821:                             ;   in Loop: Header=BB2_5657 Depth=2
	s_or_b64 exec, exec, s[54:55]
.LBB2_5822:                             ;   in Loop: Header=BB2_5657 Depth=2
	s_or_b64 exec, exec, s[20:21]
	v_mul_f32_e32 v24, s60, v25
	v_and_b32_sdwa v33, v24, s69 dst_sel:DWORD dst_unused:UNUSED_PAD src0_sel:BYTE_3 src1_sel:DWORD
	v_and_b32_e32 v22, 0x7f800000, v24
	v_mov_b32_e32 v23, v17
	v_and_b32_e32 v16, 0x7fffff, v24
	v_or_b32_e32 v25, 0x7e, v33
	v_cmp_ne_u64_e32 vcc, s[38:39], v[22:23]
	s_and_saveexec_b64 s[20:21], vcc
	s_xor_b64 s[54:55], exec, s[20:21]
	s_cbranch_execz .LBB2_5836
; %bb.5823:                             ;   in Loop: Header=BB2_5657 Depth=2
	v_and_b32_e32 v22, 0x7fffffff, v24
	v_mov_b32_e32 v23, v17
	v_cmp_gt_u64_e32 vcc, s[40:41], v[22:23]
	s_and_saveexec_b64 s[20:21], vcc
	s_xor_b64 s[56:57], exec, s[20:21]
	s_cbranch_execz .LBB2_5835
; %bb.5824:                             ;   in Loop: Header=BB2_5657 Depth=2
	v_cmp_ne_u32_e32 vcc, 0, v24
	v_mov_b32_e32 v25, 0
	s_and_saveexec_b64 s[58:59], vcc
	s_cbranch_execz .LBB2_5834
; %bb.5825:                             ;   in Loop: Header=BB2_5657 Depth=2
	v_bfe_u32 v22, v24, 23, 8
	v_sub_u32_e32 v24, 0x79, v22
	v_cmp_gt_u32_e32 vcc, s70, v22
	v_cndmask_b32_e32 v24, 0, v24, vcc
	v_cmp_eq_u32_e32 vcc, 0, v22
	v_cndmask_b32_e32 v35, v24, v57, vcc
	v_add_u32_e32 v23, 0xffffff81, v22
	v_or_b32_e32 v25, 0x800000, v16
	v_add_u32_e32 v22, 20, v35
	v_cndmask_b32_e32 v34, v23, v56, vcc
	v_cndmask_b32_e32 v16, v25, v16, vcc
	v_lshlrev_b64 v[22:23], v22, -1
	v_not_b32_e32 v22, v22
	v_lshrrev_b64 v[38:39], v35, v[16:17]
	v_not_b32_e32 v23, v23
	v_and_b32_e32 v22, v16, v22
	v_add_u32_e32 v24, 19, v35
	v_lshrrev_b32_e32 v16, 23, v38
	v_and_b32_e32 v23, 0, v23
	v_lshlrev_b64 v[24:25], v24, 1
	v_add3_u32 v35, v35, v34, v16
	v_bfe_u32 v16, v38, 20, 1
	v_add_u32_e32 v16, -1, v16
	v_cmp_eq_u64_e32 vcc, v[22:23], v[24:25]
	v_cndmask_b32_e32 v16, 0, v16, vcc
	v_add_u32_e32 v16, v16, v38
	v_and_b32_e32 v16, 0xfffff, v16
	v_add_co_u32_e32 v24, vcc, v16, v38
	v_add_u32_e32 v34, 6, v35
	v_addc_co_u32_e32 v25, vcc, 0, v39, vcc
	v_cmp_ne_u32_e32 vcc, 0, v34
                                        ; implicit-def: $vgpr16
	s_and_saveexec_b64 s[20:21], vcc
	s_xor_b64 s[20:21], exec, s[20:21]
; %bb.5826:                             ;   in Loop: Header=BB2_5657 Depth=2
	v_cmp_lt_u64_e32 vcc, s[44:45], v[24:25]
	v_add_u32_e32 v16, 7, v35
	v_cndmask_b32_e64 v22, 0, 1, vcc
	v_cndmask_b32_e32 v16, v34, v16, vcc
	v_lshrrev_b64 v[24:25], v22, v[24:25]
; %bb.5827:                             ;   in Loop: Header=BB2_5657 Depth=2
	s_andn2_saveexec_b64 s[20:21], s[20:21]
; %bb.5828:                             ;   in Loop: Header=BB2_5657 Depth=2
	v_bfe_u32 v16, v24, 23, 1
; %bb.5829:                             ;   in Loop: Header=BB2_5657 Depth=2
	s_or_b64 exec, exec, s[20:21]
	v_lshrrev_b64 v[22:23], 20, v[24:25]
	v_cmp_gt_i32_e32 vcc, 16, v16
	v_cndmask_b32_e32 v25, 0, v23, vcc
	v_cndmask_b32_e32 v24, 7, v22, vcc
	v_cmp_ne_u32_e32 vcc, 0, v16
	v_cmp_ne_u64_e64 s[20:21], 0, v[24:25]
	s_or_b64 s[20:21], vcc, s[20:21]
                                        ; implicit-def: $vgpr25
	s_and_saveexec_b64 vcc, s[20:21]
	s_xor_b64 s[20:21], exec, vcc
; %bb.5830:                             ;   in Loop: Header=BB2_5657 Depth=2
	v_min_i32_e32 v16, 15, v16
	v_lshl_or_b32 v16, v16, 3, v33
	v_and_or_b32 v25, v24, 7, v16
                                        ; implicit-def: $vgpr33
; %bb.5831:                             ;   in Loop: Header=BB2_5657 Depth=2
	s_andn2_saveexec_b64 s[20:21], s[20:21]
; %bb.5832:                             ;   in Loop: Header=BB2_5657 Depth=2
	v_mov_b32_e32 v25, v33
; %bb.5833:                             ;   in Loop: Header=BB2_5657 Depth=2
	s_or_b64 exec, exec, s[20:21]
.LBB2_5834:                             ;   in Loop: Header=BB2_5657 Depth=2
	s_or_b64 exec, exec, s[58:59]
.LBB2_5835:                             ;   in Loop: Header=BB2_5657 Depth=2
	s_andn2_saveexec_b64 s[20:21], s[56:57]
	s_or_b64 exec, exec, s[20:21]
                                        ; implicit-def: $vgpr24
.LBB2_5836:                             ;   in Loop: Header=BB2_5657 Depth=2
	s_andn2_saveexec_b64 s[20:21], s[54:55]
	s_cbranch_execz .LBB2_5656
; %bb.5837:                             ;   in Loop: Header=BB2_5657 Depth=2
	v_or_b32_sdwa v22, v24, s68 dst_sel:DWORD dst_unused:UNUSED_PAD src0_sel:BYTE_3 src1_sel:DWORD
	v_cmp_eq_u64_e32 vcc, 0, v[16:17]
	v_cndmask_b32_e32 v25, v22, v25, vcc
	s_branch .LBB2_5656
.LBB2_5838:                             ;   in Loop: Header=BB2_4981 Depth=1
	s_or_b64 exec, exec, s[52:53]
.LBB2_5839:                             ;   in Loop: Header=BB2_4981 Depth=1
	s_or_b64 exec, exec, s[50:51]
	v_and_b32_e32 v7, 0xfffffe00, v0
	v_cmp_ne_u32_e32 vcc, v0, v7
	s_and_b64 exec, exec, vcc
	s_cbranch_execz .LBB2_5870
; %bb.5840:                             ;   in Loop: Header=BB2_4981 Depth=1
	v_lshlrev_b32_e32 v2, 6, v4
	v_sub_u32_e32 v2, v6, v2
	v_lshlrev_b32_e32 v3, 6, v5
	v_sub_u32_e32 v4, v2, v3
	v_and_b32_e32 v0, 0x1ff, v0
	v_sub_u32_e32 v0, v0, v4
	v_cmp_lt_i32_e32 vcc, 0, v0
	s_and_b64 exec, exec, vcc
	s_cbranch_execz .LBB2_5870
; %bb.5841:                             ;   in Loop: Header=BB2_4981 Depth=1
	s_trap 2
	ds_read_b64 v[2:3], v0
	v_add3_u32 v10, v7, v1, v4
	v_ashrrev_i32_e32 v11, 31, v10
	s_mov_b64 s[50:51], 0
	s_branch .LBB2_5843
.LBB2_5842:                             ;   in Loop: Header=BB2_5843 Depth=2
	s_or_b64 exec, exec, s[20:21]
	v_sub_u32_e32 v0, v0, v30
	v_cmp_gt_i32_e32 vcc, 1, v0
	s_or_b64 s[50:51], vcc, s[50:51]
	v_add_co_u32_e32 v10, vcc, v10, v30
	v_addc_co_u32_e32 v11, vcc, v11, v15, vcc
	flat_store_byte v[12:13], v4 glc slc
	s_andn2_b64 exec, exec, s[50:51]
	s_cbranch_execz .LBB2_5870
.LBB2_5843:                             ;   Parent Loop BB2_4981 Depth=1
                                        ; =>  This Inner Loop Header: Depth=2
	s_trap 2
	ds_read_b64 v[12:13], v0
	s_waitcnt lgkmcnt(0)
	v_cmp_eq_u16_sdwa vcc, v12, v17 src0_sel:BYTE_0 src1_sel:DWORD
	v_readfirstlane_b32 s20, v12
	v_readfirstlane_b32 s21, v13
	s_and_b64 vcc, exec, vcc
	s_cbranch_vccnz .LBB2_5847
; %bb.5844:                             ;   in Loop: Header=BB2_5843 Depth=2
	v_cmp_eq_u32_sdwa vcc, v12, s69 src0_sel:BYTE_0 src1_sel:DWORD
	s_and_b64 vcc, exec, vcc
	s_brev_b32 s56, 1
	s_cbranch_vccnz .LBB2_5848
; %bb.5845:                             ;   in Loop: Header=BB2_5843 Depth=2
	s_and_b32 vcc_lo, s20, 0x7f
	s_cmpk_eq_i32 vcc_lo, 0x7f
	s_mov_b32 s56, 0x7f800001
	s_cbranch_scc1 .LBB2_5848
; %bb.5846:                             ;   in Loop: Header=BB2_5843 Depth=2
	s_and_b32 vcc_hi, s20, 7
	s_flbit_i32_b32 vcc_hi, vcc_hi
	s_min_u32 vcc_hi, vcc_hi, 32
	s_lshr_b32 s52, vcc_lo, 3
	s_sub_i32 s53, vcc_hi, 28
	s_sub_i32 vcc_hi, 29, vcc_hi
	s_cmp_lt_u32 vcc_lo, 8
	s_cselect_b32 vcc_lo, s53, 0
	s_cselect_b32 s52, vcc_hi, s52
	s_lshl_b64 vcc, s[20:21], vcc_lo
	s_lshl_b32 s21, vcc_lo, 20
	s_lshl_b32 s20, s20, 24
	s_lshl_b32 vcc_lo, s52, 23
	s_and_b32 s20, s20, 0x80000000
	s_add_i32 vcc_lo, vcc_lo, 0x3c000000
	s_and_b32 s21, s21, 0x700000
	s_or_b32 s20, s20, vcc_lo
	s_or_b32 s56, s20, s21
	s_branch .LBB2_5848
.LBB2_5847:                             ;   in Loop: Header=BB2_5843 Depth=2
	s_mov_b32 s56, 0
.LBB2_5848:                             ;   in Loop: Header=BB2_5843 Depth=2
	v_add_co_u32_e32 v12, vcc, v2, v10
	v_addc_co_u32_e32 v13, vcc, v3, v11, vcc
	flat_load_ubyte v1, v[12:13] glc slc
	v_mov_b32_e32 v4, 0
	s_waitcnt vmcnt(0) lgkmcnt(0)
	v_cmp_ne_u16_e32 vcc, 0, v1
	s_and_saveexec_b64 s[20:21], vcc
	s_cbranch_execz .LBB2_5854
; %bb.5849:                             ;   in Loop: Header=BB2_5843 Depth=2
	v_cmp_ne_u16_e32 vcc, s69, v1
	v_bfrev_b32_e32 v4, 1
	s_and_saveexec_b64 s[52:53], vcc
	s_cbranch_execz .LBB2_5853
; %bb.5850:                             ;   in Loop: Header=BB2_5843 Depth=2
	v_and_b32_e32 v16, 0xffff, v1
	v_and_b32_e32 v5, 0x7f, v16
	v_cmp_ne_u32_e32 vcc, s68, v5
	v_mov_b32_e32 v4, 0x7f800001
	s_and_saveexec_b64 s[54:55], vcc
	s_cbranch_execz .LBB2_5852
; %bb.5851:                             ;   in Loop: Header=BB2_5843 Depth=2
	v_and_b32_e32 v4, 7, v16
	v_ffbh_u32_e32 v6, v4
	v_min_u32_e32 v9, 32, v6
	v_subrev_u32_e32 v6, 28, v9
	v_lshlrev_b64 v[6:7], v6, v[16:17]
	v_lshrrev_b32_e32 v8, 3, v5
	v_sub_u32_e32 v7, 29, v9
	v_and_b32_e32 v6, 7, v6
	v_cmp_gt_u32_e32 vcc, 8, v5
	v_cndmask_b32_e32 v5, v8, v7, vcc
	v_cndmask_b32_e32 v4, v4, v6, vcc
	v_lshlrev_b32_e32 v1, 24, v1
	v_lshlrev_b32_e32 v4, 20, v4
	v_and_b32_e32 v1, 0x80000000, v1
	v_lshl_add_u32 v5, v5, 23, v47
	v_or3_b32 v4, v1, v5, v4
.LBB2_5852:                             ;   in Loop: Header=BB2_5843 Depth=2
	s_or_b64 exec, exec, s[54:55]
.LBB2_5853:                             ;   in Loop: Header=BB2_5843 Depth=2
	s_or_b64 exec, exec, s[52:53]
.LBB2_5854:                             ;   in Loop: Header=BB2_5843 Depth=2
	s_or_b64 exec, exec, s[20:21]
	v_mul_f32_e32 v5, s56, v4
	v_and_b32_sdwa v1, v5, s69 dst_sel:DWORD dst_unused:UNUSED_PAD src0_sel:BYTE_3 src1_sel:DWORD
	v_and_b32_e32 v6, 0x7f800000, v5
	v_mov_b32_e32 v7, v17
	v_and_b32_e32 v16, 0x7fffff, v5
	v_or_b32_e32 v4, 0x7e, v1
	v_cmp_ne_u64_e32 vcc, s[38:39], v[6:7]
	s_and_saveexec_b64 s[20:21], vcc
	s_xor_b64 s[52:53], exec, s[20:21]
	s_cbranch_execz .LBB2_5868
; %bb.5855:                             ;   in Loop: Header=BB2_5843 Depth=2
	v_and_b32_e32 v6, 0x7fffffff, v5
	v_mov_b32_e32 v7, v17
	v_cmp_gt_u64_e32 vcc, s[40:41], v[6:7]
	s_and_saveexec_b64 s[20:21], vcc
	s_xor_b64 s[54:55], exec, s[20:21]
	s_cbranch_execz .LBB2_5867
; %bb.5856:                             ;   in Loop: Header=BB2_5843 Depth=2
	v_cmp_ne_u32_e32 vcc, 0, v5
	v_mov_b32_e32 v4, 0
	s_and_saveexec_b64 s[56:57], vcc
	s_cbranch_execz .LBB2_5866
; %bb.5857:                             ;   in Loop: Header=BB2_5843 Depth=2
	v_bfe_u32 v4, v5, 23, 8
	v_sub_u32_e32 v6, 0x79, v4
	v_cmp_gt_u32_e32 vcc, s70, v4
	v_cndmask_b32_e32 v6, 0, v6, vcc
	v_cmp_eq_u32_e32 vcc, 0, v4
	v_cndmask_b32_e32 v6, v6, v57, vcc
	v_add_u32_e32 v5, 0xffffff81, v4
	v_add_u32_e32 v4, 20, v6
	v_or_b32_e32 v7, 0x800000, v16
	v_cndmask_b32_e32 v19, v5, v56, vcc
	v_lshlrev_b64 v[4:5], v4, -1
	v_cndmask_b32_e32 v16, v7, v16, vcc
	v_not_b32_e32 v4, v4
	v_not_b32_e32 v5, v5
	v_and_b32_e32 v8, v16, v4
	v_add_u32_e32 v4, 19, v6
	v_lshrrev_b64 v[24:25], v6, v[16:17]
	v_and_b32_e32 v9, 0, v5
	v_lshlrev_b64 v[22:23], v4, 1
	v_bfe_u32 v5, v24, 20, 1
	v_add_u32_e32 v5, -1, v5
	v_cmp_eq_u64_e32 vcc, v[8:9], v[22:23]
	v_cndmask_b32_e32 v5, 0, v5, vcc
	v_add_u32_e32 v5, v5, v24
	v_lshrrev_b32_e32 v4, 23, v24
	v_and_b32_e32 v5, 0xfffff, v5
	v_add3_u32 v6, v6, v19, v4
	v_add_co_u32_e32 v54, vcc, v5, v24
	v_add_u32_e32 v4, 6, v6
	v_addc_co_u32_e32 v55, vcc, 0, v25, vcc
	v_cmp_ne_u32_e32 vcc, 0, v4
                                        ; implicit-def: $vgpr5
	s_and_saveexec_b64 s[20:21], vcc
	s_xor_b64 s[20:21], exec, s[20:21]
; %bb.5858:                             ;   in Loop: Header=BB2_5843 Depth=2
	v_add_u32_e32 v5, 7, v6
	v_cmp_lt_u64_e32 vcc, s[44:45], v[54:55]
	v_cndmask_b32_e32 v5, v4, v5, vcc
	v_cndmask_b32_e64 v4, 0, 1, vcc
	v_lshrrev_b64 v[54:55], v4, v[54:55]
; %bb.5859:                             ;   in Loop: Header=BB2_5843 Depth=2
	s_andn2_saveexec_b64 s[20:21], s[20:21]
; %bb.5860:                             ;   in Loop: Header=BB2_5843 Depth=2
	v_bfe_u32 v5, v54, 23, 1
; %bb.5861:                             ;   in Loop: Header=BB2_5843 Depth=2
	s_or_b64 exec, exec, s[20:21]
	v_lshrrev_b64 v[6:7], 20, v[54:55]
	v_cmp_gt_i32_e32 vcc, 16, v5
	v_cndmask_b32_e32 v25, 0, v7, vcc
	v_cndmask_b32_e32 v24, 7, v6, vcc
	v_cmp_ne_u32_e32 vcc, 0, v5
	v_cmp_ne_u64_e64 s[20:21], 0, v[24:25]
	s_or_b64 s[20:21], vcc, s[20:21]
                                        ; implicit-def: $vgpr4
	s_and_saveexec_b64 vcc, s[20:21]
	s_xor_b64 s[20:21], exec, vcc
; %bb.5862:                             ;   in Loop: Header=BB2_5843 Depth=2
	v_min_i32_e32 v4, 15, v5
	v_lshl_or_b32 v1, v4, 3, v1
	v_and_or_b32 v4, v24, 7, v1
                                        ; implicit-def: $vgpr1
; %bb.5863:                             ;   in Loop: Header=BB2_5843 Depth=2
	s_andn2_saveexec_b64 s[20:21], s[20:21]
; %bb.5864:                             ;   in Loop: Header=BB2_5843 Depth=2
	v_mov_b32_e32 v4, v1
; %bb.5865:                             ;   in Loop: Header=BB2_5843 Depth=2
	s_or_b64 exec, exec, s[20:21]
.LBB2_5866:                             ;   in Loop: Header=BB2_5843 Depth=2
	s_or_b64 exec, exec, s[56:57]
.LBB2_5867:                             ;   in Loop: Header=BB2_5843 Depth=2
	s_andn2_saveexec_b64 s[20:21], s[54:55]
	s_or_b64 exec, exec, s[20:21]
                                        ; implicit-def: $vgpr5
.LBB2_5868:                             ;   in Loop: Header=BB2_5843 Depth=2
	s_andn2_saveexec_b64 s[20:21], s[52:53]
	s_cbranch_execz .LBB2_5842
; %bb.5869:                             ;   in Loop: Header=BB2_5843 Depth=2
	v_or_b32_sdwa v1, v5, s68 dst_sel:DWORD dst_unused:UNUSED_PAD src0_sel:BYTE_3 src1_sel:DWORD
	v_cmp_eq_u64_e32 vcc, 0, v[16:17]
	v_cndmask_b32_e32 v4, v1, v4, vcc
	s_branch .LBB2_5842
.LBB2_5870:                             ;   in Loop: Header=BB2_4981 Depth=1
	s_or_b64 exec, exec, s[22:23]
	v_cmp_ne_u32_e64 s[20:21], 0, v51
.LBB2_5871:                             ;   in Loop: Header=BB2_4981 Depth=1
	s_and_saveexec_b64 s[22:23], s[10:11]
	s_cbranch_execz .LBB2_5890
; %bb.5872:                             ;   in Loop: Header=BB2_4981 Depth=1
	s_and_saveexec_b64 vcc, s[34:35]
	s_xor_b64 s[50:51], exec, vcc
	s_cbranch_execz .LBB2_5887
; %bb.5873:                             ;   in Loop: Header=BB2_4981 Depth=1
	s_and_saveexec_b64 s[52:53], s[12:13]
	s_cbranch_execz .LBB2_5886
; %bb.5874:                             ;   in Loop: Header=BB2_4981 Depth=1
	s_mov_b64 s[56:57], exec
	v_mbcnt_lo_u32_b32 v0, s56, 0
	v_mbcnt_hi_u32_b32 v0, s57, v0
	v_cmp_eq_u32_e32 vcc, 0, v0
	s_waitcnt vmcnt(0) lgkmcnt(0)
	buffer_wbinvl1_vol
	s_and_saveexec_b64 s[54:55], vcc
	s_cbranch_execz .LBB2_5876
; %bb.5875:                             ;   in Loop: Header=BB2_4981 Depth=1
	s_bcnt1_i32_b64 vcc_lo, s[56:57]
	v_mov_b32_e32 v16, vcc_lo
	ds_add_u64 v0, v[16:17]
	s_trap 2
.LBB2_5876:                             ;   in Loop: Header=BB2_4981 Depth=1
	s_or_b64 exec, exec, s[54:55]
	s_trap 2
	ds_read_b64 v[0:1], v0
	v_accvgpr_read_b32 v2, a22
	v_accvgpr_read_b32 v3, a23
	v_add_co_u32_e32 v2, vcc, v2, v14
	v_addc_co_u32_e32 v3, vcc, 0, v3, vcc
	v_accvgpr_write_b32 a23, v3
	v_accvgpr_write_b32 a22, v2
	s_waitcnt lgkmcnt(0)
	v_cmp_lt_u64_e32 vcc, v[0:1], v[2:3]
	s_and_saveexec_b64 s[54:55], vcc
	s_cbranch_execz .LBB2_5885
; %bb.5877:                             ;   in Loop: Header=BB2_4981 Depth=1
	s_mov_b32 s73, 0
	s_mov_b64 s[56:57], 0
                                        ; implicit-def: $sgpr58_sgpr59
                                        ; implicit-def: $sgpr60_sgpr61
	s_branch .LBB2_5879
.LBB2_5878:                             ;   in Loop: Header=BB2_5879 Depth=2
	s_or_b64 exec, exec, s[64:65]
	s_and_b64 vcc, exec, vcc
	s_or_b64 s[56:57], vcc, s[56:57]
	s_andn2_b64 vcc, s[58:59], exec
	s_and_b64 s[58:59], s[60:61], exec
	s_or_b64 s[58:59], vcc, s[58:59]
	s_andn2_b64 exec, exec, s[56:57]
	s_cbranch_execz .LBB2_5883
.LBB2_5879:                             ;   Parent Loop BB2_4981 Depth=1
                                        ; =>  This Inner Loop Header: Depth=2
	s_add_i32 s73, s73, 1
	s_cmpk_lg_i32 s73, 0x2710
	s_cselect_b64 s[62:63], -1, 0
	s_and_b64 vcc, exec, s[62:63]
                                        ; implicit-def: $sgpr64_sgpr65
	s_cbranch_vccnz .LBB2_5881
; %bb.5880:                             ;   in Loop: Header=BB2_5879 Depth=2
	s_trap 2
	ds_read_b64 v[0:1], v0
	s_andn2_b64 s[62:63], s[62:63], exec
	s_mov_b32 s73, 0
	s_mov_b64 s[64:65], -1
	s_waitcnt lgkmcnt(0)
	flat_load_dword v0, v[0:1] glc
	s_waitcnt vmcnt(0) lgkmcnt(0)
	buffer_invl2
	buffer_wbinvl1_vol
	v_cmp_eq_u32_e32 vcc, 0, v0
	s_and_b64 vcc, vcc, exec
	s_or_b64 s[62:63], s[62:63], vcc
.LBB2_5881:                             ;   in Loop: Header=BB2_5879 Depth=2
	s_andn2_b64 s[60:61], s[60:61], exec
	s_and_b64 s[64:65], s[64:65], exec
	s_mov_b64 vcc, -1
	s_or_b64 s[60:61], s[60:61], s[64:65]
	s_and_saveexec_b64 s[64:65], s[62:63]
	s_cbranch_execz .LBB2_5878
; %bb.5882:                             ;   in Loop: Header=BB2_5879 Depth=2
	s_sleep 1
	s_trap 2
	ds_read_b64 v[0:1], v0
	v_accvgpr_read_b32 v2, a22
	v_accvgpr_read_b32 v3, a23
	s_andn2_b64 s[60:61], s[60:61], exec
	s_waitcnt lgkmcnt(0)
	v_cmp_ge_u64_e32 vcc, v[0:1], v[2:3]
	s_orn2_b64 vcc, vcc, exec
	s_branch .LBB2_5878
.LBB2_5883:                             ;   in Loop: Header=BB2_4981 Depth=1
	s_or_b64 exec, exec, s[56:57]
	s_and_saveexec_b64 vcc, s[58:59]
	s_xor_b64 vcc, exec, vcc
	s_cbranch_execz .LBB2_5885
; %bb.5884:                             ;   in Loop: Header=BB2_4981 Depth=1
	ds_write_b32 v0, v45
	s_trap 2
.LBB2_5885:                             ;   in Loop: Header=BB2_4981 Depth=1
	s_or_b64 exec, exec, s[54:55]
	;;#ASMSTART
	s_wakeup
	;;#ASMEND
.LBB2_5886:                             ;   in Loop: Header=BB2_4981 Depth=1
	s_or_b64 exec, exec, s[52:53]
.LBB2_5887:                             ;   in Loop: Header=BB2_4981 Depth=1
	s_andn2_saveexec_b64 vcc, s[50:51]
	s_cbranch_execz .LBB2_5889
; %bb.5888:                             ;   in Loop: Header=BB2_4981 Depth=1
	s_waitcnt vmcnt(0) lgkmcnt(0)
	buffer_wbinvl1_vol
	s_barrier
.LBB2_5889:                             ;   in Loop: Header=BB2_4981 Depth=1
	s_or_b64 exec, exec, vcc
.LBB2_5890:                             ;   in Loop: Header=BB2_4981 Depth=1
	s_or_b64 exec, exec, s[22:23]
	v_and_b32_e32 v0, 16, v59
	v_cmp_ne_u32_e32 vcc, 0, v0
	s_and_b64 s[22:23], vcc, s[20:21]
	s_and_saveexec_b64 s[20:21], s[22:23]
	s_cbranch_execz .LBB2_5892
; %bb.5891:                             ;   in Loop: Header=BB2_4981 Depth=1
	s_waitcnt vmcnt(0) lgkmcnt(0)
	buffer_wbinvl1_vol
.LBB2_5892:                             ;   in Loop: Header=BB2_4981 Depth=1
	s_or_b64 exec, exec, s[20:21]
	v_cmp_ne_u32_e32 vcc, 0, v0
	s_and_saveexec_b64 s[20:21], vcc
	s_cbranch_execz .LBB2_5896
; %bb.5893:                             ;   in Loop: Header=BB2_4981 Depth=1
	s_and_saveexec_b64 s[22:23], s[18:19]
	s_cbranch_execz .LBB2_5895
; %bb.5894:                             ;   in Loop: Header=BB2_4981 Depth=1
	v_accvgpr_read_b32 v0, a26
	v_accvgpr_read_b32 v1, a27
	flat_store_dword v[0:1], v45
.LBB2_5895:                             ;   in Loop: Header=BB2_4981 Depth=1
	s_or_b64 exec, exec, s[22:23]
	v_accvgpr_read_b32 v0, a12
	v_accvgpr_read_b32 v2, a14
	v_accvgpr_read_b32 v3, a15
	v_add_co_u32_e32 v2, vcc, 1, v2
	v_addc_co_u32_e32 v3, vcc, 0, v3, vcc
	v_accvgpr_read_b32 v1, a13
	v_accvgpr_write_b32 a15, v3
	v_accvgpr_write_b32 a14, v2
	;; [unrolled: 1-line block ×4, first 2 shown]
	v_accvgpr_read_b32 v0, a16
	v_accvgpr_read_b32 v1, a17
	flat_store_dwordx2 v[0:1], v[2:3]
.LBB2_5896:                             ;   in Loop: Header=BB2_4981 Depth=1
	s_or_b64 exec, exec, s[20:21]
	v_mov_b32_e32 v0, v52
.LBB2_5897:                             ;   in Loop: Header=BB2_4981 Depth=1
	s_or_b64 exec, exec, s[48:49]
	s_and_saveexec_b64 s[22:23], s[46:47]
	s_cbranch_execz .LBB2_4980
; %bb.5898:                             ;   in Loop: Header=BB2_4981 Depth=1
	v_and_b32_e32 v1, 8, v59
	v_cmp_ne_u32_e32 vcc, 0, v1
	s_mov_b64 s[46:47], -1
	s_and_saveexec_b64 s[20:21], vcc
	s_cbranch_execz .LBB2_5910
; %bb.5899:                             ;   in Loop: Header=BB2_4981 Depth=1
	v_add_co_u32_e32 v4, vcc, 8, v28
	v_accvgpr_read_b32 v6, a12
	v_addc_co_u32_e32 v5, vcc, 0, v29, vcc
	v_accvgpr_read_b32 v8, a14
	v_accvgpr_read_b32 v9, a15
	v_add_co_u32_e32 v2, vcc, 1, v8
	v_addc_co_u32_e32 v3, vcc, 0, v9, vcc
	v_cmp_lt_u64_e32 vcc, v[4:5], v[2:3]
	v_mov_b32_e32 v1, 1
	v_accvgpr_read_b32 v7, a13
	s_and_saveexec_b64 s[46:47], vcc
	s_cbranch_execz .LBB2_5909
; %bb.5900:                             ;   in Loop: Header=BB2_4981 Depth=1
	s_mov_b64 s[48:49], 0
	v_mov_b32_e32 v1, 0
                                        ; implicit-def: $sgpr50_sgpr51
	s_branch .LBB2_5904
.LBB2_5901:                             ;   in Loop: Header=BB2_5904 Depth=2
	s_or_b64 exec, exec, s[58:59]
	v_mov_b32_e32 v4, 0
	s_orn2_b64 s[56:57], s[56:57], exec
.LBB2_5902:                             ;   in Loop: Header=BB2_5904 Depth=2
	s_or_b64 exec, exec, s[54:55]
	s_andn2_b64 vcc, s[50:51], exec
	s_and_b64 s[50:51], s[56:57], exec
	s_or_b64 s[50:51], vcc, s[50:51]
	v_mov_b32_e32 v1, v4
.LBB2_5903:                             ;   in Loop: Header=BB2_5904 Depth=2
	s_or_b64 exec, exec, s[52:53]
	s_waitcnt vmcnt(0) lgkmcnt(0)
	v_add_co_u32_e32 v4, vcc, 8, v28
	v_addc_co_u32_e32 v5, vcc, 0, v29, vcc
	v_cmp_ge_u64_e32 vcc, v[4:5], v[2:3]
	s_xor_b64 s[52:53], s[50:51], -1
	s_or_b64 vcc, s[52:53], vcc
	s_and_b64 vcc, exec, vcc
	s_or_b64 s[48:49], vcc, s[48:49]
	s_andn2_b64 exec, exec, s[48:49]
	s_cbranch_execz .LBB2_5908
.LBB2_5904:                             ;   Parent Loop BB2_4981 Depth=1
                                        ; =>  This Inner Loop Header: Depth=2
	v_accvgpr_read_b32 v4, a16
	v_accvgpr_read_b32 v5, a17
	s_sleep 1
	flat_load_dwordx2 v[28:29], v[4:5] glc
	v_and_b32_e32 v4, 64, v59
	v_cmp_eq_u32_e32 vcc, 0, v4
	s_andn2_b64 s[50:51], s[50:51], exec
	s_and_saveexec_b64 s[52:53], vcc
	s_cbranch_execz .LBB2_5903
; %bb.5905:                             ;   in Loop: Header=BB2_5904 Depth=2
	v_add_u32_e32 v4, 1, v1
	v_cmp_lt_i32_e32 vcc, s67, v1
	s_mov_b64 s[56:57], -1
	s_and_saveexec_b64 s[54:55], vcc
	s_cbranch_execz .LBB2_5902
; %bb.5906:                             ;   in Loop: Header=BB2_5904 Depth=2
	s_trap 2
	ds_read_b64 v[4:5], v0
	s_waitcnt vmcnt(0) lgkmcnt(0)
	flat_load_dword v1, v[4:5] glc
	s_waitcnt vmcnt(0) lgkmcnt(0)
	buffer_invl2
	buffer_wbinvl1_vol
	v_cmp_ne_u32_e32 vcc, 0, v1
	s_and_saveexec_b64 s[58:59], vcc
	s_cbranch_execz .LBB2_5901
; %bb.5907:                             ;   in Loop: Header=BB2_5904 Depth=2
	v_or_b32_e32 v59, 64, v59
	s_xor_b64 s[56:57], exec, -1
	ds_write_b32 v0, v1
	s_trap 2
	s_branch .LBB2_5901
.LBB2_5908:                             ;   in Loop: Header=BB2_4981 Depth=1
	s_or_b64 exec, exec, s[48:49]
	v_and_b32_e32 v1, 8, v59
.LBB2_5909:                             ;   in Loop: Header=BB2_4981 Depth=1
	s_or_b64 exec, exec, s[46:47]
	v_cmp_eq_u32_e32 vcc, 0, v1
	s_orn2_b64 s[46:47], vcc, exec
	;;#ASMSTART
	s_wakeup
	;;#ASMEND
.LBB2_5910:                             ;   in Loop: Header=BB2_4981 Depth=1
	s_or_b64 exec, exec, s[20:21]
	v_sub_u32_e32 v0, v50, v0
	s_xor_b64 s[20:21], s[46:47], -1
	v_min_i32_e32 v2, v52, v0
	s_and_saveexec_b64 s[46:47], s[20:21]
	s_cbranch_execz .LBB2_5920
; %bb.5911:                             ;   in Loop: Header=BB2_4981 Depth=1
	v_accvgpr_read_b32 v4, a12
	v_and_b32_e32 v0, 0x100, v59
	v_accvgpr_read_b32 v6, a14
	v_cmp_ne_u32_e32 vcc, 0, v0
	v_and_b32_e32 v0, 7, v6
	s_mov_b64 s[20:21], -1
	v_accvgpr_read_b32 v5, a13
	v_accvgpr_read_b32 v7, a15
                                        ; implicit-def: $vgpr10_vgpr11
	s_and_saveexec_b64 s[48:49], vcc
	s_cbranch_execz .LBB2_5915
; %bb.5912:                             ;   in Loop: Header=BB2_4981 Depth=1
	v_accvgpr_read_b32 v4, a12
	v_accvgpr_read_b32 v5, a13
	v_mad_u64_u32 v[12:13], s[20:21], v0, 24, v[4:5]
	flat_load_dword v1, v[12:13]
	v_ashrrev_i32_e32 v3, 31, v2
	v_accvgpr_read_b32 v6, a14
	v_accvgpr_read_b32 v7, a15
	flat_store_dwordx2 v[12:13], v[2:3] offset:8
                                        ; implicit-def: $vgpr10_vgpr11
	s_waitcnt vmcnt(0) lgkmcnt(0)
	v_cmp_ne_u32_e32 vcc, 1, v1
	v_cmp_eq_u32_e64 s[20:21], 1, v1
	s_and_saveexec_b64 s[50:51], s[20:21]
	s_cbranch_execz .LBB2_5914
; %bb.5913:                             ;   in Loop: Header=BB2_4981 Depth=1
	flat_load_dword v10, v[12:13] offset:4 glc
	s_waitcnt vmcnt(0) lgkmcnt(0)
	v_ashrrev_i32_e32 v11, 31, v10
.LBB2_5914:                             ;   in Loop: Header=BB2_4981 Depth=1
	s_or_b64 exec, exec, s[50:51]
	s_orn2_b64 s[20:21], vcc, exec
.LBB2_5915:                             ;   in Loop: Header=BB2_4981 Depth=1
	s_or_b64 exec, exec, s[48:49]
	s_and_saveexec_b64 vcc, s[20:21]
; %bb.5916:                             ;   in Loop: Header=BB2_4981 Depth=1
	v_accvgpr_read_b32 v4, a18
	v_mad_i64_i32 v[10:11], s[20:21], v0, v4, 0
; %bb.5917:                             ;   in Loop: Header=BB2_4981 Depth=1
	s_or_b64 exec, exec, vcc
	v_accvgpr_read_b32 v0, a20
	v_accvgpr_read_b32 v1, a21
	v_add_co_u32_e32 v0, vcc, v0, v10
	v_addc_co_u32_e32 v1, vcc, v1, v11, vcc
	ds_write_b64 v0, v[0:1] offset:784
	v_and_b32_e32 v0, 0x2000, v59
	v_cmp_ne_u32_e32 vcc, 0, v0
	s_and_saveexec_b64 s[20:21], vcc
	s_cbranch_execz .LBB2_5919
; %bb.5918:                             ;   in Loop: Header=BB2_4981 Depth=1
	ds_read_b64 v[0:1], v0 offset:584
	s_waitcnt lgkmcnt(0)
	v_add_co_u32_e32 v0, vcc, 1, v0
	v_addc_co_u32_e32 v1, vcc, 0, v1, vcc
	ds_write_b64 v0, v[0:1] offset:584
.LBB2_5919:                             ;   in Loop: Header=BB2_4981 Depth=1
	s_or_b64 exec, exec, s[20:21]
	v_accvgpr_read_b32 v4, a12
	v_accvgpr_read_b32 v6, a14
	;; [unrolled: 1-line block ×3, first 2 shown]
	v_add_co_u32_e32 v6, vcc, 1, v6
	v_addc_co_u32_e32 v7, vcc, 0, v7, vcc
	v_accvgpr_read_b32 v5, a13
	v_accvgpr_write_b32 a15, v7
	v_accvgpr_write_b32 a14, v6
	;; [unrolled: 1-line block ×4, first 2 shown]
.LBB2_5920:                             ;   in Loop: Header=BB2_4981 Depth=1
	s_or_b64 exec, exec, s[46:47]
	s_and_saveexec_b64 s[20:21], s[10:11]
	s_cbranch_execz .LBB2_5939
; %bb.5921:                             ;   in Loop: Header=BB2_4981 Depth=1
	s_and_saveexec_b64 vcc, s[34:35]
	s_xor_b64 s[46:47], exec, vcc
	s_cbranch_execz .LBB2_5936
; %bb.5922:                             ;   in Loop: Header=BB2_4981 Depth=1
	s_and_saveexec_b64 s[48:49], s[12:13]
	s_cbranch_execz .LBB2_5935
; %bb.5923:                             ;   in Loop: Header=BB2_4981 Depth=1
	s_mov_b64 s[52:53], exec
	v_mbcnt_lo_u32_b32 v0, s52, 0
	v_mbcnt_hi_u32_b32 v0, s53, v0
	v_cmp_eq_u32_e32 vcc, 0, v0
	s_waitcnt vmcnt(0) lgkmcnt(0)
	buffer_wbinvl1_vol
	s_and_saveexec_b64 s[50:51], vcc
	s_cbranch_execz .LBB2_5925
; %bb.5924:                             ;   in Loop: Header=BB2_4981 Depth=1
	s_bcnt1_i32_b64 vcc_lo, s[52:53]
	v_mov_b32_e32 v16, vcc_lo
	ds_add_u64 v0, v[16:17]
	s_trap 2
.LBB2_5925:                             ;   in Loop: Header=BB2_4981 Depth=1
	s_or_b64 exec, exec, s[50:51]
	s_trap 2
	ds_read_b64 v[0:1], v0
	v_accvgpr_read_b32 v4, a22
	v_accvgpr_read_b32 v5, a23
	v_add_co_u32_e32 v4, vcc, v4, v14
	v_addc_co_u32_e32 v5, vcc, 0, v5, vcc
	v_accvgpr_write_b32 a23, v5
	v_accvgpr_write_b32 a22, v4
	s_waitcnt lgkmcnt(0)
	v_cmp_lt_u64_e32 vcc, v[0:1], v[4:5]
	s_and_saveexec_b64 s[50:51], vcc
	s_cbranch_execz .LBB2_5934
; %bb.5926:                             ;   in Loop: Header=BB2_4981 Depth=1
	s_mov_b32 s62, 0
	s_mov_b64 s[52:53], 0
                                        ; implicit-def: $sgpr54_sgpr55
                                        ; implicit-def: $sgpr56_sgpr57
	s_branch .LBB2_5928
.LBB2_5927:                             ;   in Loop: Header=BB2_5928 Depth=2
	s_or_b64 exec, exec, s[60:61]
	s_and_b64 vcc, exec, vcc
	s_or_b64 s[52:53], vcc, s[52:53]
	s_andn2_b64 vcc, s[54:55], exec
	s_and_b64 s[54:55], s[56:57], exec
	s_or_b64 s[54:55], vcc, s[54:55]
	s_andn2_b64 exec, exec, s[52:53]
	s_cbranch_execz .LBB2_5932
.LBB2_5928:                             ;   Parent Loop BB2_4981 Depth=1
                                        ; =>  This Inner Loop Header: Depth=2
	s_add_i32 s62, s62, 1
	s_cmpk_lg_i32 s62, 0x2710
	s_cselect_b64 s[58:59], -1, 0
	s_and_b64 vcc, exec, s[58:59]
                                        ; implicit-def: $sgpr60_sgpr61
	s_cbranch_vccnz .LBB2_5930
; %bb.5929:                             ;   in Loop: Header=BB2_5928 Depth=2
	s_trap 2
	ds_read_b64 v[0:1], v0
	s_andn2_b64 s[58:59], s[58:59], exec
	s_mov_b32 s62, 0
	s_mov_b64 s[60:61], -1
	s_waitcnt lgkmcnt(0)
	flat_load_dword v0, v[0:1] glc
	s_waitcnt vmcnt(0) lgkmcnt(0)
	buffer_invl2
	buffer_wbinvl1_vol
	v_cmp_eq_u32_e32 vcc, 0, v0
	s_and_b64 vcc, vcc, exec
	s_or_b64 s[58:59], s[58:59], vcc
.LBB2_5930:                             ;   in Loop: Header=BB2_5928 Depth=2
	s_andn2_b64 s[56:57], s[56:57], exec
	s_and_b64 s[60:61], s[60:61], exec
	s_mov_b64 vcc, -1
	s_or_b64 s[56:57], s[56:57], s[60:61]
	s_and_saveexec_b64 s[60:61], s[58:59]
	s_cbranch_execz .LBB2_5927
; %bb.5931:                             ;   in Loop: Header=BB2_5928 Depth=2
	s_sleep 1
	s_trap 2
	ds_read_b64 v[0:1], v0
	v_accvgpr_read_b32 v4, a22
	v_accvgpr_read_b32 v5, a23
	s_andn2_b64 s[56:57], s[56:57], exec
	s_waitcnt lgkmcnt(0)
	v_cmp_ge_u64_e32 vcc, v[0:1], v[4:5]
	s_orn2_b64 vcc, vcc, exec
	s_branch .LBB2_5927
.LBB2_5932:                             ;   in Loop: Header=BB2_4981 Depth=1
	s_or_b64 exec, exec, s[52:53]
	s_and_saveexec_b64 vcc, s[54:55]
	s_xor_b64 vcc, exec, vcc
	s_cbranch_execz .LBB2_5934
; %bb.5933:                             ;   in Loop: Header=BB2_4981 Depth=1
	ds_write_b32 v0, v45
	s_trap 2
.LBB2_5934:                             ;   in Loop: Header=BB2_4981 Depth=1
	s_or_b64 exec, exec, s[50:51]
	;;#ASMSTART
	s_wakeup
	;;#ASMEND
.LBB2_5935:                             ;   in Loop: Header=BB2_4981 Depth=1
	s_or_b64 exec, exec, s[48:49]
.LBB2_5936:                             ;   in Loop: Header=BB2_4981 Depth=1
	s_andn2_saveexec_b64 vcc, s[46:47]
	s_cbranch_execz .LBB2_5938
; %bb.5937:                             ;   in Loop: Header=BB2_4981 Depth=1
	s_waitcnt vmcnt(0) lgkmcnt(0)
	buffer_wbinvl1_vol
	s_barrier
.LBB2_5938:                             ;   in Loop: Header=BB2_4981 Depth=1
	s_or_b64 exec, exec, vcc
.LBB2_5939:                             ;   in Loop: Header=BB2_4981 Depth=1
	s_or_b64 exec, exec, s[20:21]
	s_trap 2
	ds_read_b32 v1, v0
	v_cmp_lt_i32_e32 vcc, 0, v2
	v_and_b32_e32 v0, 16, v59
	s_waitcnt lgkmcnt(0)
	v_readfirstlane_b32 s20, v1
	s_cmp_eq_u32 s20, 0
	s_cselect_b64 s[20:21], -1, 0
	s_and_b64 s[20:21], vcc, s[20:21]
	v_cmp_ne_u32_e32 vcc, 0, v0
	s_and_b64 vcc, vcc, s[20:21]
	s_and_saveexec_b64 s[20:21], vcc
	s_cbranch_execz .LBB2_5941
; %bb.5940:                             ;   in Loop: Header=BB2_4981 Depth=1
	s_waitcnt vmcnt(0)
	buffer_wbinvl1_vol
.LBB2_5941:                             ;   in Loop: Header=BB2_4981 Depth=1
	s_or_b64 exec, exec, s[20:21]
	v_cmp_ne_u32_e32 vcc, 0, v0
	s_and_saveexec_b64 s[20:21], vcc
	s_cbranch_execz .LBB2_4979
; %bb.5942:                             ;   in Loop: Header=BB2_4981 Depth=1
	s_and_saveexec_b64 vcc, s[18:19]
	s_cbranch_execz .LBB2_4978
; %bb.5943:                             ;   in Loop: Header=BB2_4981 Depth=1
	v_accvgpr_read_b32 v0, a26
	v_accvgpr_read_b32 v1, a27
	flat_store_dword v[0:1], v45
	s_branch .LBB2_4978
.LBB2_5944:
	s_or_b64 exec, exec, s[30:31]
	v_accvgpr_read_b32 v21, a15
	v_accvgpr_read_b32 v20, a14
	;; [unrolled: 1-line block ×4, first 2 shown]
.LBB2_5945:
	s_or_b64 exec, exec, s[28:29]
.LBB2_5946:
	s_or_b64 exec, exec, s[24:25]
	v_and_b32_e32 v0, 0x800, v59
	v_cmp_eq_u32_e32 vcc, 0, v0
	s_and_saveexec_b64 s[4:5], vcc
	s_cbranch_execz .LBB2_5981
; %bb.5947:
	v_and_b32_e32 v0, 48, v59
	v_cmp_ne_u32_e32 vcc, 0, v0
	s_and_saveexec_b64 s[6:7], vcc
	s_cbranch_execz .LBB2_5949
; %bb.5948:
	v_accvgpr_read_b32 v0, a10
	v_accvgpr_read_b32 v1, a11
	s_waitcnt vmcnt(0) lgkmcnt(0)
	flat_store_dwordx2 v[0:1], v[20:21] offset:104
.LBB2_5949:
	s_or_b64 exec, exec, s[6:7]
	s_movk_i32 s6, 0x88
	v_and_b32_e32 v0, 0x88, v59
	v_cmp_eq_u32_e32 vcc, s6, v0
	s_and_saveexec_b64 s[6:7], vcc
	s_cbranch_execz .LBB2_5961
; %bb.5950:
	s_waitcnt vmcnt(0) lgkmcnt(0)
	v_add_u32_e32 v0, -1, v20
	v_and_b32_e32 v0, 7, v0
	v_mad_u64_u32 v[0:1], s[10:11], v0, 24, v[18:19]
	v_add_co_u32_e32 v2, vcc, 8, v0
	v_addc_co_u32_e32 v3, vcc, 0, v1, vcc
	s_mov_b64 s[10:11], 0
	v_mov_b32_e32 v0, 0
	s_movk_i32 s24, 0x270e
                                        ; implicit-def: $sgpr12_sgpr13
	s_branch .LBB2_5955
.LBB2_5951:                             ;   in Loop: Header=BB2_5955 Depth=1
	s_or_b64 exec, exec, s[22:23]
	v_mov_b32_e32 v1, 0
	s_orn2_b64 s[20:21], s[20:21], exec
.LBB2_5952:                             ;   in Loop: Header=BB2_5955 Depth=1
	s_or_b64 exec, exec, s[18:19]
	s_and_b64 s[18:19], s[20:21], exec
	v_mov_b32_e32 v0, v1
.LBB2_5953:                             ;   in Loop: Header=BB2_5955 Depth=1
	s_or_b64 exec, exec, s[16:17]
	s_xor_b64 s[16:17], s[18:19], -1
	s_andn2_b64 s[12:13], s[12:13], exec
	s_and_b64 s[16:17], s[16:17], exec
	s_or_b64 s[12:13], s[12:13], s[16:17]
.LBB2_5954:                             ;   in Loop: Header=BB2_5955 Depth=1
	s_or_b64 exec, exec, s[14:15]
	s_and_b64 s[14:15], exec, s[12:13]
	s_or_b64 s[10:11], s[14:15], s[10:11]
	s_andn2_b64 exec, exec, s[10:11]
	s_cbranch_execz .LBB2_5960
.LBB2_5955:                             ; =>This Inner Loop Header: Depth=1
	flat_load_dwordx2 v[4:5], v[2:3] glc
	s_waitcnt vmcnt(0)
	s_or_b64 s[12:13], s[12:13], exec
	s_waitcnt lgkmcnt(0)
	v_cmp_ne_u64_e32 vcc, -1, v[4:5]
	s_and_saveexec_b64 s[14:15], vcc
	s_cbranch_execz .LBB2_5954
; %bb.5956:                             ;   in Loop: Header=BB2_5955 Depth=1
	v_and_b32_e32 v1, 64, v59
	v_cmp_eq_u32_e32 vcc, 0, v1
	s_mov_b64 s[18:19], 0
	s_and_saveexec_b64 s[16:17], vcc
	s_cbranch_execz .LBB2_5953
; %bb.5957:                             ;   in Loop: Header=BB2_5955 Depth=1
	v_add_u32_e32 v1, 1, v0
	v_cmp_lt_i32_e32 vcc, s24, v0
	s_mov_b64 s[20:21], -1
	s_and_saveexec_b64 s[18:19], vcc
	s_cbranch_execz .LBB2_5952
; %bb.5958:                             ;   in Loop: Header=BB2_5955 Depth=1
	s_trap 2
	ds_read_b64 v[0:1], v0
	s_waitcnt lgkmcnt(0)
	flat_load_dword v0, v[0:1] glc
	s_waitcnt vmcnt(0) lgkmcnt(0)
	buffer_invl2
	buffer_wbinvl1_vol
	v_cmp_ne_u32_e32 vcc, 0, v0
	s_and_saveexec_b64 s[22:23], vcc
	s_cbranch_execz .LBB2_5951
; %bb.5959:                             ;   in Loop: Header=BB2_5955 Depth=1
	v_or_b32_e32 v59, 64, v59
	s_xor_b64 s[20:21], exec, -1
	ds_write_b32 v0, v0
	s_trap 2
	s_branch .LBB2_5951
.LBB2_5960:
	s_or_b64 exec, exec, s[10:11]
.LBB2_5961:
	s_or_b64 exec, exec, s[6:7]
	v_and_b32_e32 v0, 0x2000, v59
	v_cmp_ne_u32_e32 vcc, 0, v0
	s_and_saveexec_b64 s[6:7], vcc
	s_cbranch_execz .LBB2_5963
; %bb.5962:
	s_trap 2
	ds_read_b64 v[0:1], v0
	v_accvgpr_read_b32 v2, a8
	v_accvgpr_read_b32 v3, a9
	s_waitcnt lgkmcnt(0)
	flat_store_dwordx2 v[2:3], v[0:1] offset:16
.LBB2_5963:
	s_or_b64 exec, exec, s[6:7]
	v_accvgpr_read_b32 v0, a0
	v_cmp_ne_u32_e32 vcc, 64, v0
	s_and_b64 exec, exec, vcc
	s_cbranch_execz .LBB2_5981
; %bb.5964:
	v_accvgpr_read_b32 v0, a0
	s_waitcnt vmcnt(0)
	v_accvgpr_read_b32 v1, a2
	v_cmp_ne_u32_sdwa s[6:7], v1, v0 src0_sel:WORD_0 src1_sel:DWORD
	s_and_saveexec_b64 s[10:11], s[6:7]
	s_xor_b64 s[6:7], exec, s[10:11]
	s_cbranch_execz .LBB2_5979
; %bb.5965:
	v_accvgpr_read_b32 v0, a1
	v_and_b32_e32 v0, 63, v0
	v_cmp_eq_u32_e32 vcc, 0, v0
	s_and_saveexec_b64 s[10:11], vcc
	s_cbranch_execz .LBB2_5978
; %bb.5966:
	s_mov_b64 s[14:15], exec
	v_mbcnt_lo_u32_b32 v0, s14, 0
	v_mbcnt_hi_u32_b32 v0, s15, v0
	v_cmp_eq_u32_e32 vcc, 0, v0
	s_waitcnt lgkmcnt(0)
	buffer_wbinvl1_vol
	s_and_saveexec_b64 s[12:13], vcc
	s_cbranch_execz .LBB2_5968
; %bb.5967:
	s_bcnt1_i32_b64 s14, s[14:15]
	v_mov_b32_e32 v0, s14
	v_mov_b32_e32 v1, 0
	ds_add_u64 v0, v[0:1]
	s_trap 2
.LBB2_5968:
	s_or_b64 exec, exec, s[12:13]
	v_accvgpr_read_b32 v1, a0
	v_ashrrev_i32_e32 v0, 31, v1
	v_lshrrev_b32_e32 v0, 26, v0
	v_add_u32_e32 v0, v1, v0
	v_ashrrev_i32_e32 v0, 6, v0
	s_trap 2
	ds_read_b64 v[2:3], v0
	v_accvgpr_read_b32 v4, a22
	v_ashrrev_i32_e32 v1, 31, v0
	v_accvgpr_read_b32 v5, a23
	v_add_co_u32_e32 v0, vcc, v4, v0
	v_addc_co_u32_e32 v1, vcc, v5, v1, vcc
	s_waitcnt lgkmcnt(0)
	v_cmp_lt_u64_e32 vcc, v[2:3], v[0:1]
	s_and_saveexec_b64 s[12:13], vcc
	s_cbranch_execz .LBB2_5977
; %bb.5969:
	s_mov_b32 s28, 0
	s_mov_b64 s[14:15], 0
                                        ; implicit-def: $sgpr16_sgpr17
                                        ; implicit-def: $sgpr18_sgpr19
	s_branch .LBB2_5971
.LBB2_5970:                             ;   in Loop: Header=BB2_5971 Depth=1
	s_or_b64 exec, exec, s[24:25]
	s_and_b64 s[20:21], exec, s[22:23]
	s_or_b64 s[14:15], s[20:21], s[14:15]
	s_andn2_b64 s[16:17], s[16:17], exec
	s_and_b64 s[20:21], s[18:19], exec
	s_or_b64 s[16:17], s[16:17], s[20:21]
	s_andn2_b64 exec, exec, s[14:15]
	s_cbranch_execz .LBB2_5975
.LBB2_5971:                             ; =>This Inner Loop Header: Depth=1
	s_add_i32 s28, s28, 1
	s_cmpk_lg_i32 s28, 0x2710
	s_cselect_b64 s[20:21], -1, 0
	s_and_b64 vcc, exec, s[20:21]
                                        ; implicit-def: $sgpr24_sgpr25
	s_cbranch_vccnz .LBB2_5973
; %bb.5972:                             ;   in Loop: Header=BB2_5971 Depth=1
	s_trap 2
	ds_read_b64 v[2:3], v0
	s_andn2_b64 s[20:21], s[20:21], exec
	s_mov_b32 s28, 0
	s_mov_b64 s[24:25], -1
	s_waitcnt lgkmcnt(0)
	flat_load_dword v2, v[2:3] glc
	s_waitcnt vmcnt(0) lgkmcnt(0)
	buffer_invl2
	buffer_wbinvl1_vol
	v_cmp_eq_u32_e32 vcc, 0, v2
	s_and_b64 s[22:23], vcc, exec
	s_or_b64 s[20:21], s[20:21], s[22:23]
.LBB2_5973:                             ;   in Loop: Header=BB2_5971 Depth=1
	s_andn2_b64 s[18:19], s[18:19], exec
	s_and_b64 s[24:25], s[24:25], exec
	s_mov_b64 s[22:23], -1
	s_or_b64 s[18:19], s[18:19], s[24:25]
	s_and_saveexec_b64 s[24:25], s[20:21]
	s_cbranch_execz .LBB2_5970
; %bb.5974:                             ;   in Loop: Header=BB2_5971 Depth=1
	s_sleep 1
	s_trap 2
	ds_read_b64 v[2:3], v0
	s_andn2_b64 s[18:19], s[18:19], exec
	s_waitcnt lgkmcnt(0)
	v_cmp_ge_u64_e32 vcc, v[2:3], v[0:1]
	s_orn2_b64 s[22:23], vcc, exec
	s_branch .LBB2_5970
.LBB2_5975:
	s_or_b64 exec, exec, s[14:15]
	s_and_saveexec_b64 s[14:15], s[16:17]
	s_xor_b64 s[14:15], exec, s[14:15]
	s_cbranch_execz .LBB2_5977
; %bb.5976:
	v_mov_b32_e32 v0, 1
	ds_write_b32 v0, v0
	s_trap 2
.LBB2_5977:
	s_or_b64 exec, exec, s[12:13]
	;;#ASMSTART
	s_wakeup
	;;#ASMEND
.LBB2_5978:
	s_or_b64 exec, exec, s[10:11]
.LBB2_5979:
	s_andn2_saveexec_b64 s[6:7], s[6:7]
	s_cbranch_execz .LBB2_5981
; %bb.5980:
	s_waitcnt lgkmcnt(0)
	buffer_wbinvl1_vol
	s_barrier
.LBB2_5981:
	s_or_b64 exec, exec, s[4:5]
.LBB2_5982:
	s_andn2_saveexec_b64 s[26:27], s[26:27]
	s_cbranch_execz .LBB2_5984
; %bb.5983:
	s_getpc_b64 s[4:5]
	s_add_u32 s4, s4, __PRETTY_FUNCTION__._ZN10PrimitivesI14__hip_fp8_e4m313FuncPreMulSumIS0_E12FanSymmetricILi1EELi0E11ProtoSimpleILi1ELi1ELi0ELi1ELi0ELi0EELi0ELb0ELi0ELi0ELi0EEC2EiiPKiS9_PKvPvmhhhP15ncclDevWorkCollP14ncclDevWorkP2pii@rel32@lo+4
	s_addc_u32 s5, s5, __PRETTY_FUNCTION__._ZN10PrimitivesI14__hip_fp8_e4m313FuncPreMulSumIS0_E12FanSymmetricILi1EELi0E11ProtoSimpleILi1ELi1ELi0ELi1ELi0ELi0EELi0ELb0ELi0ELi0ELi0EEC2EiiPKiS9_PKvPvmhhhP15ncclDevWorkCollP14ncclDevWorkP2pii@rel32@hi+12
	v_mov_b32_e32 v0, s4
	v_mov_b32_e32 v1, s5
	s_getpc_b64 s[6:7]
	s_add_u32 s6, s6, __assert_fail@rel32@lo+4
	s_addc_u32 s7, s7, __assert_fail@rel32@hi+12
	s_swappc_b64 s[30:31], s[6:7]
	; divergent unreachable
.LBB2_5984:
	s_or_b64 exec, exec, s[26:27]
	buffer_load_dword a48, off, s[0:3], s33 ; 4-byte Folded Reload
	buffer_load_dword a47, off, s[0:3], s33 offset:4 ; 4-byte Folded Reload
	buffer_load_dword a46, off, s[0:3], s33 offset:8 ; 4-byte Folded Reload
	;; [unrolled: 1-line block ×31, first 2 shown]
	v_readlane_b32 s30, v63, 47
	v_readlane_b32 s31, v63, 48
	;; [unrolled: 1-line block ×50, first 2 shown]
	s_or_saveexec_b64 s[6:7], -1
	buffer_load_dword v63, off, s[0:3], s33 offset:128 ; 4-byte Folded Reload
	s_mov_b64 exec, s[6:7]
	s_addk_i32 s32, 0xdc00
	s_mov_b32 s33, s4
	s_waitcnt vmcnt(0) lgkmcnt(0)
	s_setpc_b64 s[30:31]
.Lfunc_end2:
	.size	_ZN12_GLOBAL__N_17runRingI14__hip_fp8_e4m313FuncPreMulSumIS1_E11ProtoSimpleILi1ELi1ELi0ELi1ELi0ELi0EELi0ELi1ELi0EEEviiP15ncclDevWorkColl, .Lfunc_end2-_ZN12_GLOBAL__N_17runRingI14__hip_fp8_e4m313FuncPreMulSumIS1_E11ProtoSimpleILi1ELi1ELi0ELi1ELi0ELi0EELi0ELi1ELi0EEEviiP15ncclDevWorkColl
                                        ; -- End function
	.section	.AMDGPU.csdata,"",@progbits
; Function info:
; codeLenInByte = 191704
; NumSgprs: 88
; NumVgprs: 64
; NumAgprs: 49
; TotalNumVgprs: 113
; ScratchSize: 208
; MemoryBound: 1
	.text
	.p2align	2                               ; -- Begin function _Z53ncclDevFunc_Reduce_RING_SIMPLE_PreMulSum_f8e4m3_0_0_1v
	.type	_Z53ncclDevFunc_Reduce_RING_SIMPLE_PreMulSum_f8e4m3_0_0_1v,@function
_Z53ncclDevFunc_Reduce_RING_SIMPLE_PreMulSum_f8e4m3_0_0_1v: ; @_Z53ncclDevFunc_Reduce_RING_SIMPLE_PreMulSum_f8e4m3_0_0_1v
; %bb.0:
	s_waitcnt vmcnt(0) expcnt(0) lgkmcnt(0)
	s_mov_b32 s4, s33
	s_mov_b32 s33, s32
	s_or_saveexec_b64 s[6:7], -1
	buffer_store_dword v43, off, s[0:3], s33 offset:16 ; 4-byte Folded Spill
	s_mov_b64 exec, s[6:7]
	v_writelane_b32 v43, s4, 59
	s_addk_i32 s32, 0x800
	buffer_store_dword v40, off, s[0:3], s33 offset:12 ; 4-byte Folded Spill
	buffer_store_dword v41, off, s[0:3], s33 offset:8 ; 4-byte Folded Spill
	;; [unrolled: 1-line block ×3, first 2 shown]
	buffer_store_dword v63, off, s[0:3], s33 ; 4-byte Folded Spill
	v_writelane_b32 v43, s34, 0
	v_writelane_b32 v43, s35, 1
	;; [unrolled: 1-line block ×59, first 2 shown]
	s_trap 2
	ds_read_b32 v0, v0
	v_mov_b32_e32 v40, v31
	v_and_b32_e32 v41, 0x3ff, v40
	s_mov_b32 s81, s12
	s_mov_b64 s[84:85], s[8:9]
	s_waitcnt lgkmcnt(0)
	v_cmp_lt_i32_e32 vcc, v41, v0
	s_and_saveexec_b64 s[4:5], vcc
	s_cbranch_execz .LBB3_5
; %bb.1:
	s_load_dword s6, s[84:85], 0x0
	v_mov_b32_e32 v1, 0
	s_mov_b32 s10, 0
	v_mov_b32_e32 v4, v41
                                        ; implicit-def: $vgpr2
	s_waitcnt lgkmcnt(0)
	s_cmp_lt_u32 s81, s6
	s_cselect_b32 s6, 12, 18
	s_add_u32 s6, s84, s6
	s_addc_u32 s7, s85, 0
	global_load_ushort v1, v1, s[6:7]
	s_trap 2
	ds_read_b32 v3, v0
	s_mov_b64 s[6:7], 0
	s_waitcnt vmcnt(0) lgkmcnt(0)
	v_mul_lo_u32 v3, v3, v1
	s_branch .LBB3_3
.LBB3_2:                                ;   in Loop: Header=BB3_3 Depth=1
	s_or_b64 exec, exec, s[8:9]
	v_add_u32_e32 v4, v4, v1
	v_cmp_ge_i32_e32 vcc, v4, v0
	s_or_b64 s[6:7], vcc, s[6:7]
	v_add_u32_e32 v2, v2, v3
	s_andn2_b64 exec, exec, s[6:7]
	s_cbranch_execz .LBB3_5
.LBB3_3:                                ; =>This Inner Loop Header: Depth=1
	ds_read_b32 v5, v2
	s_waitcnt lgkmcnt(0)
	v_and_b32_e32 v5, 0x1000000, v5
	v_cmp_ne_u32_e32 vcc, 0, v5
	s_and_saveexec_b64 s[8:9], vcc
	s_cbranch_execz .LBB3_2
; %bb.4:                                ;   in Loop: Header=BB3_3 Depth=1
	ds_read_b64 v[6:7], v2 offset:104
	s_waitcnt lgkmcnt(0)
	flat_load_ubyte v5, v[6:7]
	v_mov_b32_e32 v7, s10
	s_waitcnt vmcnt(0) lgkmcnt(0)
	v_and_b32_e32 v6, 0xffff, v5
	ds_write_b64 v2, v[6:7] offset:104
	s_branch .LBB3_2
.LBB3_5:
	s_or_b64 exec, exec, s[4:5]
	s_waitcnt lgkmcnt(0)
	s_barrier
	s_trap 2
	ds_read_b32 v0, v0
	s_waitcnt lgkmcnt(0)
	v_cmp_gt_i32_e32 vcc, 1, v0
	s_cbranch_vccnz .LBB3_13
; %bb.6:
	s_mov_b32 s90, 0
	s_mov_b64 s[86:87], src_shared_base
	v_mov_b32_e32 v42, 6
	s_branch .LBB3_8
.LBB3_7:                                ;   in Loop: Header=BB3_8 Depth=1
	s_or_b64 exec, exec, s[88:89]
	s_trap 2
	ds_read_b32 v0, v0
	s_add_i32 s90, s90, 1
	s_waitcnt lgkmcnt(0)
	v_cmp_lt_i32_e32 vcc, s90, v0
	s_cbranch_vccz .LBB3_13
.LBB3_8:                                ; =>This Inner Loop Header: Depth=1
	s_trap 2
	ds_read_b32 v0, v0
	s_cmp_eq_u32 s90, 0
	s_cbranch_scc1 .LBB3_11
; %bb.9:                                ;   in Loop: Header=BB3_8 Depth=1
	s_trap 2
	s_waitcnt lgkmcnt(0)
	ds_read_b32 v1, v0
	s_waitcnt lgkmcnt(0)
	v_xor_b32_e32 v1, v1, v0
	v_and_b32_e32 v1, 0xff0000, v1
	v_cmp_eq_u32_e32 vcc, 0, v1
	s_cbranch_vccnz .LBB3_11
; %bb.10:                               ;   in Loop: Header=BB3_8 Depth=1
	s_barrier
	ds_read_b32 v0, v0
.LBB3_11:                               ;   in Loop: Header=BB3_8 Depth=1
	s_waitcnt lgkmcnt(0)
	v_lshlrev_b32_sdwa v1, v42, v0 dst_sel:DWORD dst_unused:UNUSED_PAD src0_sel:DWORD src1_sel:BYTE_2
	v_cmp_lt_u32_e32 vcc, v41, v1
	s_and_saveexec_b64 s[88:89], vcc
	s_cbranch_execz .LBB3_7
; %bb.12:                               ;   in Loop: Header=BB3_8 Depth=1
	s_mov_b64 s[8:9], s[84:85]
	s_mov_b32 s12, s81
	v_mov_b32_e32 v31, v40
	v_mov_b32_e32 v0, v41
	;; [unrolled: 1-line block ×3, first 2 shown]
	s_getpc_b64 s[4:5]
	s_add_u32 s4, s4, _ZN12_GLOBAL__N_17runRingI14__hip_fp8_e4m313FuncPreMulSumIS1_E11ProtoSimpleILi1ELi1ELi0ELi1ELi0ELi0EELi0ELi1ELi0EEEviiP15ncclDevWorkColl@rel32@lo+4
	s_addc_u32 s5, s5, _ZN12_GLOBAL__N_17runRingI14__hip_fp8_e4m313FuncPreMulSumIS1_E11ProtoSimpleILi1ELi1ELi0ELi1ELi0ELi0EELi0ELi1ELi0EEEviiP15ncclDevWorkColl@rel32@hi+12
	s_swappc_b64 s[30:31], s[4:5]
	s_branch .LBB3_7
.LBB3_13:
	buffer_load_dword v63, off, s[0:3], s33 ; 4-byte Folded Reload
	buffer_load_dword v42, off, s[0:3], s33 offset:4 ; 4-byte Folded Reload
	buffer_load_dword v41, off, s[0:3], s33 offset:8 ; 4-byte Folded Reload
	;; [unrolled: 1-line block ×3, first 2 shown]
	v_readlane_b32 s30, v43, 57
	v_readlane_b32 s31, v43, 58
	;; [unrolled: 1-line block ×60, first 2 shown]
	s_or_saveexec_b64 s[6:7], -1
	buffer_load_dword v43, off, s[0:3], s33 offset:16 ; 4-byte Folded Reload
	s_mov_b64 exec, s[6:7]
	s_addk_i32 s32, 0xf800
	s_mov_b32 s33, s4
	s_waitcnt vmcnt(0)
	s_setpc_b64 s[30:31]
.Lfunc_end3:
	.size	_Z53ncclDevFunc_Reduce_RING_SIMPLE_PreMulSum_f8e4m3_0_0_1v, .Lfunc_end3-_Z53ncclDevFunc_Reduce_RING_SIMPLE_PreMulSum_f8e4m3_0_0_1v
                                        ; -- End function
	.section	.AMDGPU.csdata,"",@progbits
; Function info:
; codeLenInByte = 1552
; NumSgprs: 95
; NumVgprs: 64
; NumAgprs: 49
; TotalNumVgprs: 113
; ScratchSize: 240
; MemoryBound: 0
	.text
	.p2align	2                               ; -- Begin function _ZN12_GLOBAL__N_17runRingI14__hip_fp8_e4m313FuncPreMulSumIS1_E11ProtoSimpleILi1ELi1ELi0ELi2ELi0ELi0EELi0ELi2ELi0EEEviiP15ncclDevWorkColl
	.type	_ZN12_GLOBAL__N_17runRingI14__hip_fp8_e4m313FuncPreMulSumIS1_E11ProtoSimpleILi1ELi1ELi0ELi2ELi0ELi0EELi0ELi2ELi0EEEviiP15ncclDevWorkColl,@function
_ZN12_GLOBAL__N_17runRingI14__hip_fp8_e4m313FuncPreMulSumIS1_E11ProtoSimpleILi1ELi1ELi0ELi2ELi0ELi0EELi0ELi2ELi0EEEviiP15ncclDevWorkColl: ; @_ZN12_GLOBAL__N_17runRingI14__hip_fp8_e4m313FuncPreMulSumIS1_E11ProtoSimpleILi1ELi1ELi0ELi2ELi0ELi0EELi0ELi2ELi0EEEviiP15ncclDevWorkColl
; %bb.0:
	s_waitcnt vmcnt(0) expcnt(0) lgkmcnt(0)
	s_mov_b32 s4, s33
	s_mov_b32 s33, s32
	s_or_saveexec_b64 s[6:7], -1
	buffer_store_dword v63, off, s[0:3], s33 offset:132 ; 4-byte Folded Spill
	s_mov_b64 exec, s[6:7]
	v_writelane_b32 v63, s4, 50
	s_addk_i32 s32, 0x2400
	buffer_store_dword v40, off, s[0:3], s33 offset:124 ; 4-byte Folded Spill
	buffer_store_dword v41, off, s[0:3], s33 offset:120 ; 4-byte Folded Spill
	;; [unrolled: 1-line block ×31, first 2 shown]
	buffer_store_dword a48, off, s[0:3], s33 ; 4-byte Folded Spill
	v_writelane_b32 v63, s34, 0
	v_writelane_b32 v63, s35, 1
	v_writelane_b32 v63, s36, 2
	v_writelane_b32 v63, s37, 3
	v_writelane_b32 v63, s38, 4
	v_writelane_b32 v63, s39, 5
	v_writelane_b32 v63, s40, 6
	v_writelane_b32 v63, s41, 7
	v_writelane_b32 v63, s42, 8
	v_writelane_b32 v63, s43, 9
	v_writelane_b32 v63, s44, 10
	v_writelane_b32 v63, s45, 11
	v_writelane_b32 v63, s46, 12
	v_writelane_b32 v63, s47, 13
	v_writelane_b32 v63, s48, 14
	v_writelane_b32 v63, s49, 15
	v_writelane_b32 v63, s50, 16
	v_writelane_b32 v63, s51, 17
	v_writelane_b32 v63, s52, 18
	v_writelane_b32 v63, s53, 19
	v_writelane_b32 v63, s54, 20
	v_writelane_b32 v63, s55, 21
	v_writelane_b32 v63, s56, 22
	v_writelane_b32 v63, s57, 23
	v_writelane_b32 v63, s58, 24
	v_writelane_b32 v63, s59, 25
	v_writelane_b32 v63, s60, 26
	v_writelane_b32 v63, s61, 27
	v_writelane_b32 v63, s62, 28
	v_writelane_b32 v63, s63, 29
	v_writelane_b32 v63, s64, 30
	v_writelane_b32 v63, s65, 31
	v_writelane_b32 v63, s66, 32
	v_writelane_b32 v63, s67, 33
	v_writelane_b32 v63, s68, 34
	v_writelane_b32 v63, s69, 35
	v_writelane_b32 v63, s70, 36
	v_writelane_b32 v63, s71, 37
	v_writelane_b32 v63, s72, 38
	v_writelane_b32 v63, s73, 39
	v_writelane_b32 v63, s74, 40
	v_writelane_b32 v63, s75, 41
	v_writelane_b32 v63, s76, 42
	v_writelane_b32 v63, s77, 43
	v_writelane_b32 v63, s78, 44
	v_writelane_b32 v63, s79, 45
	v_writelane_b32 v63, s80, 46
	v_writelane_b32 v63, s81, 47
	v_writelane_b32 v63, s30, 48
	v_writelane_b32 v63, s31, 49
	s_trap 2
	ds_read_b64 v[14:15], v0
	ds_read_b32 v4, v0
	v_accvgpr_write_b32 a0, v1
	v_accvgpr_write_b32 a3, v0
	flat_load_ushort v17, v[2:3] offset:8
	flat_load_dwordx2 v[8:9], v[2:3]
	s_waitcnt lgkmcnt(0)
	v_ashrrev_i32_e32 v1, 31, v15
	v_mov_b32_e32 v0, v15
	v_lshlrev_b64 v[0:1], 2, v[0:1]
	v_add_co_u32_e32 v0, vcc, v14, v0
	v_addc_co_u32_e32 v1, vcc, v15, v1, vcc
	v_add_co_u32_e32 v0, vcc, -4, v0
	v_addc_co_u32_e32 v1, vcc, -1, v1, vcc
	flat_load_dword v1, v[0:1]
	v_accvgpr_write_b32 a1, v31
                                        ; implicit-def: $vgpr32_vgpr33
                                        ; implicit-def: $vgpr18_vgpr19
                                        ; implicit-def: $agpr6_agpr7
	s_waitcnt vmcnt(0)
	v_mov_b32_e32 v16, v9
	v_cmp_ne_u32_sdwa s[4:5], v8, v4 src0_sel:BYTE_0 src1_sel:DWORD
	s_and_saveexec_b64 s[6:7], s[4:5]
	s_xor_b64 s[4:5], exec, s[6:7]
	s_cbranch_execz .LBB4_6
; %bb.1:
	v_not_b32_sdwa v0, v8 dst_sel:DWORD dst_unused:UNUSED_PAD src0_sel:BYTE_0
	v_cmp_ne_u32_sdwa s[6:7], v8, v4 src0_sel:BYTE_1 src1_sel:DWORD
                                        ; implicit-def: $vgpr32_vgpr33
                                        ; implicit-def: $vgpr18_vgpr19
                                        ; implicit-def: $agpr6_agpr7
	s_and_saveexec_b64 s[10:11], s[6:7]
	s_xor_b64 s[6:7], exec, s[10:11]
	s_cbranch_execz .LBB4_3
; %bb.2:
	flat_load_dwordx4 v[6:9], v[2:3] offset:72
	flat_load_dwordx2 v[10:11], v[2:3] offset:96
	v_add_u32_e32 v0, v4, v0
	v_ashrrev_i32_e32 v4, 31, v0
	s_waitcnt vmcnt(0) lgkmcnt(0)
	v_mul_lo_u32 v4, v8, v4
	v_mad_u64_u32 v[6:7], s[10:11], v8, v0, v[6:7]
	v_mul_lo_u32 v0, v9, v0
	v_add3_u32 v7, v0, v7, v4
	v_accvgpr_write_b32 a6, v6
	v_lshrrev_b64 v[32:33], 12, v[10:11]
	v_accvgpr_write_b32 a7, v7
	v_pk_mov_b32 v[18:19], v[8:9], v[8:9] op_sel:[0,1]
                                        ; implicit-def: $vgpr8
                                        ; implicit-def: $vgpr0
.LBB4_3:
	s_andn2_saveexec_b64 s[6:7], s[6:7]
	s_cbranch_execz .LBB4_5
; %bb.4:
	flat_load_dwordx4 v[4:7], v[2:3] offset:72
	flat_load_dwordx4 v[18:21], v[2:3] offset:88
	v_add_u32_sdwa v0, v8, v0 dst_sel:DWORD dst_unused:UNUSED_PAD src0_sel:BYTE_1 src1_sel:DWORD
	v_ashrrev_i32_e32 v8, 31, v0
	s_waitcnt vmcnt(0) lgkmcnt(0)
	v_mul_lo_u32 v8, v6, v8
	v_mad_u64_u32 v[4:5], s[10:11], v6, v0, v[4:5]
	v_mul_lo_u32 v0, v7, v0
	v_add3_u32 v5, v0, v5, v8
	v_accvgpr_write_b32 a7, v5
	v_accvgpr_write_b32 a6, v4
	v_lshrrev_b32_e32 v32, 1, v21
.LBB4_5:
	s_or_b64 exec, exec, s[6:7]
.LBB4_6:
	s_andn2_saveexec_b64 s[4:5], s[4:5]
	s_cbranch_execz .LBB4_8
; %bb.7:
	flat_load_dwordx2 v[4:5], v[2:3] offset:96
	flat_load_dwordx2 v[18:19], v[2:3] offset:72
	s_waitcnt vmcnt(0) lgkmcnt(0)
	v_lshlrev_b64 v[32:33], 9, v[4:5]
	v_pk_mov_b32 v[4:5], 0, 0
	v_accvgpr_write_b32 a7, v5
	v_accvgpr_write_b32 a6, v4
.LBB4_8:
	s_or_b64 exec, exec, s[4:5]
	s_trap 2
	ds_read_b64 v[4:5], v0
	v_accvgpr_read_b32 v6, a0
	s_waitcnt lgkmcnt(0)
	v_cmp_ne_u32_e32 vcc, -1, v4
	v_cndmask_b32_e64 v0, 0, 1, vcc
	v_cmp_ne_u32_e32 vcc, -1, v5
	v_addc_co_u32_e64 v4, s[4:5], 0, v0, vcc
	v_lshlrev_b32_e32 v5, 1, v4
	v_cmp_le_i32_e64 s[4:5], v5, v6
	s_and_saveexec_b64 s[6:7], s[4:5]
	s_xor_b64 s[26:27], exec, s[6:7]
	s_cbranch_execnz .LBB4_9
; %bb.6851:
	s_getpc_b64 s[82:83]
.Lpost_getpc2:
	s_add_u32 s82, s82, (.LBB4_6848-.Lpost_getpc2)&4294967295
	s_addc_u32 s83, s83, (.LBB4_6848-.Lpost_getpc2)>>32
	s_setpc_b64 s[82:83]
.LBB4_9:
	flat_load_dwordx4 v[10:13], v[2:3] offset:16
	flat_load_dwordx2 v[34:35], v[2:3] offset:104
	s_trap 2
	s_load_dword s4, s[8:9], 0x0
	v_mov_b32_e32 v2, 0
	v_mov_b32_e32 v59, 4
	s_waitcnt lgkmcnt(0)
	s_cmp_lt_u32 s12, s4
	s_cselect_b32 s4, 12, 18
	s_add_u32 s4, s8, s4
	s_addc_u32 s5, s9, 0
	global_load_ushort a2, v2, s[4:5]
	ds_read_b32 v2, v0
	s_waitcnt lgkmcnt(0)
	v_readfirstlane_b32 s70, v2
	v_accvgpr_read_b32 v2, a3
	v_cmp_ge_i32_e64 s[4:5], v2, v0
	s_and_saveexec_b64 s[6:7], s[4:5]
	s_cbranch_execz .LBB4_19
; %bb.10:
	v_accvgpr_read_b32 v2, a3
	v_cmp_le_u32_e64 s[4:5], v4, v2
                                        ; implicit-def: $vgpr59
	s_and_saveexec_b64 s[10:11], s[4:5]
	s_xor_b64 s[4:5], exec, s[10:11]
	s_cbranch_execz .LBB4_16
; %bb.11:
	v_cndmask_b32_e64 v2, 0, 1, vcc
	v_accvgpr_read_b32 v3, a0
	v_sub_u32_e32 v2, v3, v2
	v_accvgpr_read_b32 v3, a3
	v_cmp_ge_u32_e32 vcc, v3, v2
                                        ; implicit-def: $sgpr12
	s_and_saveexec_b64 s[10:11], vcc
	s_xor_b64 s[10:11], exec, s[10:11]
; %bb.12:
	s_mov_b32 s12, 16
                                        ; implicit-def: $vgpr4
; %bb.13:
	s_or_saveexec_b64 s[10:11], s[10:11]
	v_mov_b32_e32 v59, s12
	s_xor_b64 exec, exec, s[10:11]
; %bb.14:
	v_accvgpr_read_b32 v2, a0
	v_sub_u32_e32 v2, v2, v4
	v_accvgpr_read_b32 v3, a3
	v_cmp_ge_i32_e32 vcc, v3, v2
	v_cndmask_b32_e64 v2, 0, 1, vcc
	v_lshlrev_b32_e32 v59, 5, v2
; %bb.15:
	s_or_b64 exec, exec, s[10:11]
.LBB4_16:
	s_andn2_saveexec_b64 s[4:5], s[4:5]
; %bb.17:
	v_mov_b32_e32 v59, 8
; %bb.18:
	s_or_b64 exec, exec, s[4:5]
.LBB4_19:
	s_or_b64 exec, exec, s[6:7]
	v_and_b32_e32 v2, 36, v59
	v_cmp_ne_u32_e32 vcc, 0, v2
	v_mov_b32_e32 v2, -1
	s_and_saveexec_b64 s[4:5], vcc
	s_cbranch_execz .LBB4_21
; %bb.20:
	s_trap 2
	ds_read_b32 v2, v0
.LBB4_21:
	s_or_b64 exec, exec, s[4:5]
	v_and_b32_e32 v3, 24, v59
	v_cmp_ne_u32_e64 s[4:5], 0, v3
	s_and_saveexec_b64 s[6:7], s[4:5]
	s_cbranch_execz .LBB4_23
; %bb.22:
	s_trap 2
	s_waitcnt lgkmcnt(0)
	ds_read_b32 v2, v0
.LBB4_23:
	s_or_b64 exec, exec, s[6:7]
	v_pk_mov_b32 v[6:7], 0, 0
	v_lshrrev_b64 v[4:5], 31, v[16:17]
	v_accvgpr_write_b32 a11, v7
	v_and_b32_e32 v4, 3, v4
	s_waitcnt lgkmcnt(0)
	v_ashrrev_i32_e32 v3, 31, v2
	v_accvgpr_write_b32 a10, v6
	v_pk_mov_b32 v[20:21], v[6:7], v[6:7] op_sel:[0,1]
                                        ; implicit-def: $agpr8_agpr9
                                        ; implicit-def: $agpr18
                                        ; implicit-def: $vgpr28_vgpr29
                                        ; implicit-def: $agpr20_agpr21
                                        ; implicit-def: $agpr16_agpr17
	s_and_saveexec_b64 s[4:5], vcc
	s_cbranch_execz .LBB4_33
; %bb.24:
	s_trap 2
	ds_read_b64 v[6:7], v0
	v_lshlrev_b64 v[8:9], 3, v[2:3]
	v_and_b32_e32 v5, 0xffff, v4
	s_movk_i32 s6, 0xa8
                                        ; implicit-def: $agpr8_agpr9
	s_waitcnt lgkmcnt(0)
	v_add_co_u32_e32 v6, vcc, v6, v8
	v_addc_co_u32_e32 v7, vcc, v7, v9, vcc
	flat_load_dwordx2 v[6:7], v[6:7]
	s_waitcnt vmcnt(0) lgkmcnt(0)
	v_mad_u64_u32 v[6:7], s[6:7], v5, s6, v[6:7]
	flat_load_dword v5, v[6:7] offset:640
	v_add_co_u32_e32 v20, vcc, 0x1f8, v6
	v_addc_co_u32_e32 v21, vcc, 0, v7, vcc
	s_waitcnt vmcnt(0) lgkmcnt(0)
	v_cmp_eq_u32_e32 vcc, 1, v5
	s_and_saveexec_b64 s[6:7], vcc
	s_cbranch_execz .LBB4_26
; %bb.25:
	flat_load_dwordx2 v[8:9], v[20:21] offset:144
	v_or_b32_e32 v59, 0x2000, v59
	s_waitcnt vmcnt(0) lgkmcnt(0)
	flat_load_dwordx2 v[6:7], v[8:9]
	s_trap 2
	v_accvgpr_write_b32 a8, v8
	v_accvgpr_write_b32 a9, v9
	s_waitcnt vmcnt(0) lgkmcnt(0)
	ds_write_b64 v0, v[6:7]
	flat_load_dwordx2 v[6:7], v[8:9] offset:8
	s_waitcnt vmcnt(0) lgkmcnt(0)
	ds_write_b64 v0, v[6:7]
	flat_load_dwordx2 v[6:7], v[8:9] offset:16
	s_waitcnt vmcnt(0) lgkmcnt(0)
	ds_write_b64 v0, v[6:7]
.LBB4_26:
	s_or_b64 exec, exec, s[6:7]
	flat_load_dwordx2 v[22:23], v[20:21] offset:104
	v_accvgpr_write_b32 a10, v20
	v_and_b32_e32 v5, 32, v59
	v_accvgpr_write_b32 a11, v21
	v_cmp_ne_u32_e32 vcc, 0, v5
                                        ; implicit-def: $agpr16_agpr17
	s_and_saveexec_b64 s[6:7], vcc
	s_cbranch_execz .LBB4_28
; %bb.27:
	v_accvgpr_read_b32 v6, a10
	v_accvgpr_read_b32 v7, a11
	flat_load_dwordx2 v[6:7], v[6:7] offset:56
	s_waitcnt vmcnt(0) lgkmcnt(0)
	v_accvgpr_write_b32 a17, v7
	v_accvgpr_write_b32 a16, v6
	flat_store_dwordx2 v[6:7], v[22:23]
.LBB4_28:
	s_or_b64 exec, exec, s[6:7]
	v_and_b32_e32 v5, 4, v59
	v_cmp_ne_u32_e32 vcc, 0, v5
	v_pk_mov_b32 v[20:21], 0, 0
                                        ; implicit-def: $agpr18
                                        ; implicit-def: $vgpr28_vgpr29
                                        ; implicit-def: $agpr20_agpr21
	s_and_saveexec_b64 s[6:7], vcc
	s_cbranch_execz .LBB4_32
; %bb.29:
	v_and_b32_e32 v5, 0x800, v59
	v_cmp_eq_u32_e32 vcc, 0, v5
	s_and_saveexec_b64 s[10:11], vcc
	s_cbranch_execz .LBB4_31
; %bb.30:
	s_trap 2
	ds_write_b64 v0, a[10:11]
.LBB4_31:
	s_or_b64 exec, exec, s[10:11]
	v_accvgpr_read_b32 v6, a10
	v_accvgpr_read_b32 v7, a11
	flat_load_dwordx2 v[8:9], v[6:7] offset:48
	v_or_b32_e32 v5, 0x100, v59
	s_waitcnt vmcnt(0) lgkmcnt(0)
	flat_load_dwordx2 v[28:29], v[8:9] glc
	flat_load_dwordx2 v[20:21], v[6:7] offset:96
	flat_load_dword a18, v[6:7] offset:72
	flat_load_dwordx2 a[20:21], v[6:7] offset:16
	v_accvgpr_write_b32 a17, v9
	v_accvgpr_write_b32 a16, v8
	s_waitcnt vmcnt(0) lgkmcnt(0)
	v_cmp_eq_u64_e32 vcc, 0, v[20:21]
	v_cndmask_b32_e32 v59, v5, v59, vcc
.LBB4_32:
	s_or_b64 exec, exec, s[6:7]
.LBB4_33:
	s_or_b64 exec, exec, s[4:5]
	v_and_b32_e32 v5, 24, v59
	v_cmp_ne_u32_e32 vcc, 0, v5
                                        ; implicit-def: $agpr26_agpr27
	s_and_saveexec_b64 s[4:5], vcc
	s_cbranch_execz .LBB4_41
; %bb.34:
	s_trap 2
	ds_read_b64 v[6:7], v0
	v_lshlrev_b64 v[2:3], 3, v[2:3]
	v_and_b32_e32 v4, 0xffff, v4
	s_movk_i32 s6, 0xa8
                                        ; implicit-def: $agpr26_agpr27
	s_waitcnt lgkmcnt(0)
	v_add_co_u32_e32 v2, vcc, v6, v2
	v_addc_co_u32_e32 v3, vcc, v7, v3, vcc
	flat_load_dwordx2 v[2:3], v[2:3]
	s_waitcnt vmcnt(0) lgkmcnt(0)
	v_mad_u64_u32 v[2:3], s[6:7], v4, s6, v[2:3]
	flat_load_dwordx4 v[20:23], v[2:3] offset:96
	v_accvgpr_write_b32 a11, v3
	v_accvgpr_write_b32 a10, v2
	v_or_b32_e32 v2, 0x100, v59
	s_waitcnt vmcnt(0) lgkmcnt(0)
	v_cmp_eq_u64_e32 vcc, 0, v[20:21]
	v_cndmask_b32_e32 v59, v2, v59, vcc
	v_and_b32_e32 v2, 16, v59
	v_cmp_ne_u32_e32 vcc, 0, v2
	s_and_saveexec_b64 s[6:7], vcc
	s_cbranch_execz .LBB4_36
; %bb.35:
	v_accvgpr_read_b32 v2, a10
	v_accvgpr_read_b32 v3, a11
	flat_load_dwordx2 a[26:27], v[2:3] offset:120
	flat_load_dwordx2 a[16:17], v[2:3] offset:48
	;; [unrolled: 1-line block ×3, first 2 shown]
.LBB4_36:
	s_or_b64 exec, exec, s[6:7]
	v_and_b32_e32 v2, 8, v59
	v_cmp_ne_u32_e32 vcc, 0, v2
	s_and_saveexec_b64 s[6:7], vcc
	s_cbranch_execz .LBB4_40
; %bb.37:
	v_and_b32_e32 v2, 0x800, v59
	v_cmp_eq_u32_e32 vcc, 0, v2
	s_and_saveexec_b64 s[10:11], vcc
	s_cbranch_execz .LBB4_39
; %bb.38:
	s_trap 2
	ds_write_b64 v0, a[10:11]
.LBB4_39:
	s_or_b64 exec, exec, s[10:11]
	v_accvgpr_read_b32 v2, a10
	v_accvgpr_read_b32 v3, a11
	flat_load_dwordx2 v[4:5], v[2:3] offset:56
	s_waitcnt vmcnt(0) lgkmcnt(0)
	flat_load_dwordx2 v[28:29], v[4:5] glc
	flat_load_dword a18, v[2:3] offset:72
	flat_load_dwordx2 a[20:21], v[2:3] offset:16
	v_accvgpr_write_b32 a17, v5
	v_accvgpr_write_b32 a16, v4
.LBB4_40:
	s_or_b64 exec, exec, s[6:7]
.LBB4_41:
	s_or_b64 exec, exec, s[4:5]
	v_accvgpr_read_b32 v2, a3
	v_cmp_eq_u32_e64 s[4:5], 0, v2
	s_and_saveexec_b64 s[6:7], s[4:5]
	s_cbranch_execz .LBB4_43
; %bb.42:
	s_waitcnt vmcnt(0)
	v_mov_b32_e32 v2, v12
	v_mov_b32_e32 v3, v13
	;; [unrolled: 1-line block ×4, first 2 shown]
	ds_write2_b64 v0, v[2:3], v[4:5] offset1:1
	v_mov_b32_e32 v2, 0
	v_mov_b32_e32 v3, v2
	s_trap 2
	ds_write_b64 v0, v[2:3]
	ds_write_b64 v0, v[34:35]
.LBB4_43:
	s_or_b64 exec, exec, s[6:7]
	v_mov_b32_e32 v3, 0
	v_and_b32_e32 v2, 0x3ffffe00, v32
	v_accvgpr_write_b32 a25, v3
	v_accvgpr_write_b32 a24, v2
	v_bfe_u32 v2, v16, 1, 30
	v_cmp_ne_u32_e32 vcc, v1, v2
                                        ; implicit-def: $agpr22_agpr23
	s_and_saveexec_b64 s[6:7], vcc
	s_xor_b64 s[28:29], exec, s[6:7]
	s_cbranch_execnz .LBB4_44
; %bb.6853:
	s_getpc_b64 s[82:83]
.Lpost_getpc3:
	s_add_u32 s82, s82, (.LBB4_5375-.Lpost_getpc3)&4294967295
	s_addc_u32 s83, s83, (.LBB4_5375-.Lpost_getpc3)>>32
	s_setpc_b64 s[82:83]
.LBB4_44:
	v_cmp_ne_u32_e32 vcc, v14, v2
	v_cmp_ne_u64_e64 s[6:7], 0, v[18:19]
                                        ; implicit-def: $agpr22_agpr23
	s_and_saveexec_b64 s[10:11], vcc
	s_xor_b64 s[30:31], exec, s[10:11]
	s_cbranch_execz .LBB4_2713
; %bb.45:
	v_pk_mov_b32 v[2:3], 0, 0
	v_accvgpr_write_b32 a23, v3
	v_accvgpr_write_b32 a22, v2
	s_and_saveexec_b64 s[34:35], s[6:7]
	s_cbranch_execz .LBB4_2712
; %bb.46:
	v_accvgpr_read_b32 v3, a0
	s_waitcnt vmcnt(0)
	v_accvgpr_read_b32 v1, a2
	v_cmp_ne_u32_sdwa s[36:37], v1, v3 src0_sel:WORD_0 src1_sel:DWORD
	v_accvgpr_read_b32 v1, a1
	v_accvgpr_read_b32 v4, a3
	v_and_b32_e32 v1, 63, v1
	v_cmp_eq_u32_e64 s[14:15], 0, v1
	v_ashrrev_i32_e32 v1, 31, v4
	v_lshrrev_b32_e32 v1, 26, v1
	s_waitcnt lgkmcnt(0)
	v_accvgpr_read_b32 v2, a18
	v_add_u32_e32 v1, v4, v1
	v_ashrrev_i32_e32 v53, 31, v2
	v_and_b32_e32 v2, 0xffffffc0, v1
	v_sub_u32_e32 v2, v4, v2
	v_ashrrev_i32_e32 v54, 6, v1
	v_cmp_le_i32_e64 s[16:17], v2, v0
	v_cmp_lt_i32_e64 s[18:19], v2, v0
	v_lshlrev_b32_e32 v0, 11, v54
	v_lshl_add_u32 v0, v2, 4, v0
	v_lshrrev_b32_e32 v52, 6, v3
	v_accvgpr_write_b32 a32, v0
	v_ashrrev_i32_e32 v1, 31, v0
	v_mov_b32_e32 v0, 0xfffff800
	v_lshl_add_u32 v0, v52, 11, v0
	s_movk_i32 s20, 0x800
	v_accvgpr_write_b32 a31, v1
	v_ashrrev_i32_e32 v1, 31, v0
	v_add_co_u32_e64 v0, s[20:21], s20, v0
	v_accvgpr_write_b32 a33, v0
	v_addc_co_u32_e64 v0, s[20:21], 0, v1, s[20:21]
	v_lshlrev_b32_e32 v55, 10, v52
	v_accvgpr_write_b32 a34, v0
	v_add_u32_e32 v0, 0xfffffc00, v55
	s_movk_i32 s20, 0x400
	v_ashrrev_i32_e32 v1, 31, v0
	v_add_co_u32_e64 v40, s[20:21], s20, v0
	v_addc_co_u32_e64 v56, s[20:21], 0, v1, s[20:21]
	v_mov_b32_e32 v0, 0xfffffe00
	s_ashr_i32 s10, s70, 31
	v_lshl_add_u32 v0, v52, 9, v0
	s_movk_i32 s20, 0x200
	s_lshr_b32 s10, s10, 24
	v_ashrrev_i32_e32 v1, 31, v0
	v_add_co_u32_e64 v57, s[20:21], s20, v0
	s_add_i32 s10, s70, s10
	v_addc_co_u32_e64 v50, s[20:21], 0, v1, s[20:21]
	v_accvgpr_read_b32 v0, a26
	v_pk_mov_b32 v[60:61], 0, 0
	v_accvgpr_write_b32 a12, v20
	s_ashr_i32 s71, s10, 8
	v_cmp_ge_i32_e64 s[10:11], v4, v3
	v_cmp_eq_u32_e32 vcc, 64, v3
	v_cmp_ne_u32_e64 s[12:13], 64, v3
	v_accvgpr_write_b32 a29, v2
	v_and_b32_e32 v42, 0xffffffc0, v3
	v_accvgpr_read_b32 v1, a27
	s_mov_b32 s46, -1
	v_accvgpr_write_b32 a22, v60
	v_accvgpr_read_b32 v2, a24
	v_accvgpr_write_b32 a13, v21
	v_accvgpr_write_b32 a14, v22
	;; [unrolled: 1-line block ×3, first 2 shown]
	v_mov_b32_e32 v39, 0
	s_movk_i32 s72, 0xffc0
	v_ashrrev_i32_e32 v51, 31, v42
	s_mov_b64 s[38:39], 0
	v_cmp_eq_u64_e64 s[20:21], 0, v[0:1]
	s_movk_i32 s73, 0x270e
	s_movk_i32 s74, 0x108
	v_mov_b32_e32 v43, 1
	s_xor_b64 s[40:41], vcc, -1
	s_movk_i32 s75, 0x7f
	s_movk_i32 s76, 0x80
	s_mov_b64 s[42:43], 0x7f800000
	s_mov_b64 s[44:45], 0x43e00001
	s_movk_i32 s77, 0x7a
	s_mov_b32 s47, 0xffffff
	s_mov_b64 s[48:49], 0xffffff
	s_mov_b32 s78, 0xc0c0500
	s_mov_b32 s79, 0x8000
	;; [unrolled: 1-line block ×3, first 2 shown]
	v_accvgpr_write_b32 a23, v61
	v_accvgpr_read_b32 v3, a25
	s_trap 2
	s_branch .LBB4_49
.LBB4_47:                               ;   in Loop: Header=BB4_49 Depth=1
	s_or_b64 exec, exec, s[22:23]
.LBB4_48:                               ;   in Loop: Header=BB4_49 Depth=1
	s_or_b64 exec, exec, s[24:25]
	v_accvgpr_read_b32 v2, a24
	v_add_co_u32_e32 v60, vcc, v60, v2
	v_accvgpr_read_b32 v19, a5
	v_addc_co_u32_e32 v61, vcc, 0, v61, vcc
	v_accvgpr_read_b32 v18, a4
	v_cmp_ge_u64_e32 vcc, v[60:61], v[18:19]
	v_accvgpr_read_b32 v3, a25
	s_or_b64 s[38:39], vcc, s[38:39]
	s_andn2_b64 exec, exec, s[38:39]
	s_cbranch_execz .LBB4_2711
.LBB4_49:                               ; =>This Loop Header: Depth=1
                                        ;     Child Loop BB4_58 Depth 2
                                        ;     Child Loop BB4_84 Depth 2
	;; [unrolled: 1-line block ×10, first 2 shown]
	v_sub_co_u32_e32 v0, vcc, v18, v60
	v_subb_co_u32_e32 v1, vcc, v19, v61, vcc
	v_cmp_lt_u64_e32 vcc, v[2:3], v[0:1]
	v_cndmask_b32_e64 v45, v1, 0, vcc
	v_cndmask_b32_e32 v44, v0, v2, vcc
	v_add_u32_e32 v0, 15, v44
	v_cmp_eq_u64_e32 vcc, 0, v[44:45]
	v_accvgpr_write_b32 a4, v18
	v_and_b32_e32 v0, 0x7ffffff0, v0
	s_or_b64 s[50:51], s[10:11], vcc
	v_accvgpr_write_b32 a5, v19
	v_max_i32_e32 v6, s71, v0
	s_xor_b64 s[22:23], s[50:51], -1
	v_mov_b32_e32 v0, v39
	s_and_saveexec_b64 s[52:53], s[22:23]
	s_cbranch_execz .LBB4_2661
; %bb.50:                               ;   in Loop: Header=BB4_49 Depth=1
	s_and_saveexec_b64 s[22:23], s[4:5]
	s_cbranch_execz .LBB4_52
; %bb.51:                               ;   in Loop: Header=BB4_49 Depth=1
	s_trap 2
	ds_read_b64 v[0:1], v0
	v_accvgpr_read_b32 v2, a6
	v_accvgpr_read_b32 v3, a7
	v_mov_b32_e32 v38, v39
	s_waitcnt lgkmcnt(0)
	v_add_co_u32_e32 v0, vcc, v0, v2
	v_addc_co_u32_e32 v1, vcc, v1, v3, vcc
	v_add_co_u32_e32 v0, vcc, v0, v60
	v_addc_co_u32_e32 v1, vcc, v1, v61, vcc
	ds_write_b64 v0, v[0:1]
	ds_write_b64 v0, v[38:39]
.LBB4_52:                               ;   in Loop: Header=BB4_49 Depth=1
	s_or_b64 exec, exec, s[22:23]
	v_and_b32_e32 v0, 12, v59
	v_cmp_ne_u32_e32 vcc, 0, v0
	s_mov_b64 s[24:25], -1
	s_and_saveexec_b64 s[22:23], vcc
	s_cbranch_execz .LBB4_64
; %bb.53:                               ;   in Loop: Header=BB4_49 Depth=1
	v_and_b32_e32 v2, 8, v59
	v_mov_b32_e32 v8, v6
	v_add_co_u32_e32 v0, vcc, v28, v2
	v_accvgpr_read_b32 v4, a12
	v_addc_co_u32_e32 v1, vcc, 0, v29, vcc
	v_accvgpr_read_b32 v6, a14
	v_accvgpr_read_b32 v7, a15
	v_add_co_u32_e32 v10, vcc, 1, v6
	v_addc_co_u32_e32 v11, vcc, 0, v7, vcc
	v_cmp_lt_u64_e32 vcc, v[0:1], v[10:11]
	v_mov_b32_e32 v0, 1
	v_accvgpr_read_b32 v5, a13
	s_and_saveexec_b64 s[24:25], vcc
	s_cbranch_execz .LBB4_63
; %bb.54:                               ;   in Loop: Header=BB4_49 Depth=1
	s_mov_b64 s[54:55], 0
	v_mov_b32_e32 v0, 0
                                        ; implicit-def: $sgpr56_sgpr57
	s_branch .LBB4_58
.LBB4_55:                               ;   in Loop: Header=BB4_58 Depth=2
	s_or_b64 exec, exec, s[64:65]
	v_mov_b32_e32 v1, 0
	s_orn2_b64 s[62:63], s[62:63], exec
.LBB4_56:                               ;   in Loop: Header=BB4_58 Depth=2
	s_or_b64 exec, exec, s[60:61]
	s_andn2_b64 vcc, s[56:57], exec
	s_and_b64 s[56:57], s[62:63], exec
	s_or_b64 s[56:57], vcc, s[56:57]
	v_mov_b32_e32 v0, v1
.LBB4_57:                               ;   in Loop: Header=BB4_58 Depth=2
	s_or_b64 exec, exec, s[58:59]
	s_waitcnt vmcnt(0) lgkmcnt(0)
	v_add_co_u32_e32 v4, vcc, v28, v2
	v_addc_co_u32_e32 v5, vcc, 0, v29, vcc
	v_cmp_ge_u64_e32 vcc, v[4:5], v[10:11]
	s_xor_b64 s[58:59], s[56:57], -1
	s_or_b64 vcc, s[58:59], vcc
	s_and_b64 vcc, exec, vcc
	s_or_b64 s[54:55], vcc, s[54:55]
	s_andn2_b64 exec, exec, s[54:55]
	s_cbranch_execz .LBB4_62
.LBB4_58:                               ;   Parent Loop BB4_49 Depth=1
                                        ; =>  This Inner Loop Header: Depth=2
	v_accvgpr_read_b32 v4, a16
	v_accvgpr_read_b32 v5, a17
	s_sleep 1
	flat_load_dwordx2 v[28:29], v[4:5] glc
	v_and_b32_e32 v1, 64, v59
	v_cmp_eq_u32_e32 vcc, 0, v1
	s_andn2_b64 s[56:57], s[56:57], exec
	s_and_saveexec_b64 s[58:59], vcc
	s_cbranch_execz .LBB4_57
; %bb.59:                               ;   in Loop: Header=BB4_58 Depth=2
	v_add_u32_e32 v1, 1, v0
	v_cmp_lt_i32_e32 vcc, s73, v0
	s_mov_b64 s[62:63], -1
	s_and_saveexec_b64 s[60:61], vcc
	s_cbranch_execz .LBB4_56
; %bb.60:                               ;   in Loop: Header=BB4_58 Depth=2
	s_trap 2
	ds_read_b64 v[0:1], v0
	s_waitcnt vmcnt(0) lgkmcnt(0)
	flat_load_dword v0, v[0:1] glc
	s_waitcnt vmcnt(0) lgkmcnt(0)
	buffer_invl2
	buffer_wbinvl1_vol
	v_cmp_ne_u32_e32 vcc, 0, v0
	s_and_saveexec_b64 s[64:65], vcc
	s_cbranch_execz .LBB4_55
; %bb.61:                               ;   in Loop: Header=BB4_58 Depth=2
	v_or_b32_e32 v59, 64, v59
	s_xor_b64 s[62:63], exec, -1
	ds_write_b32 v0, v0
	s_trap 2
	s_branch .LBB4_55
.LBB4_62:                               ;   in Loop: Header=BB4_49 Depth=1
	s_or_b64 exec, exec, s[54:55]
	v_and_b32_e32 v0, 12, v59
.LBB4_63:                               ;   in Loop: Header=BB4_49 Depth=1
	s_or_b64 exec, exec, s[24:25]
	v_cmp_eq_u32_e32 vcc, 0, v0
	s_orn2_b64 s[24:25], vcc, exec
	v_mov_b32_e32 v6, v8
	;;#ASMSTART
	s_wakeup
	;;#ASMEND
.LBB4_64:                               ;   in Loop: Header=BB4_49 Depth=1
	s_or_b64 exec, exec, s[22:23]
	s_xor_b64 s[22:23], s[24:25], -1
	v_min_u32_e32 v6, v6, v44
	s_and_saveexec_b64 s[24:25], s[22:23]
	s_cbranch_execz .LBB4_76
; %bb.65:                               ;   in Loop: Header=BB4_49 Depth=1
	v_and_b32_e32 v0, 0x108, v59
	v_cmp_ne_u32_e32 vcc, s74, v0
	v_accvgpr_read_b32 v0, a12
	v_accvgpr_read_b32 v2, a14
	v_and_b32_e32 v2, 7, v2
	v_accvgpr_read_b32 v1, a13
	v_accvgpr_read_b32 v3, a15
	s_and_saveexec_b64 s[22:23], vcc
	s_xor_b64 s[22:23], exec, s[22:23]
	s_andn2_saveexec_b64 s[22:23], s[22:23]
	s_cbranch_execz .LBB4_67
; %bb.66:                               ;   in Loop: Header=BB4_49 Depth=1
	v_mov_b32_e32 v0, v6
	v_accvgpr_read_b32 v4, a12
	v_accvgpr_read_b32 v5, a13
	;; [unrolled: 1-line block ×4, first 2 shown]
	v_mov_b32_e32 v6, v0
	v_mad_u64_u32 v[0:1], vcc, v2, 24, v[4:5]
	v_mov_b32_e32 v7, v39
	flat_store_dwordx2 v[0:1], v[6:7] offset:8
.LBB4_67:                               ;   in Loop: Header=BB4_49 Depth=1
	s_or_b64 exec, exec, s[22:23]
	v_and_b32_e32 v0, 0x100, v59
	v_cmp_ne_u32_e32 vcc, 0, v0
	s_mov_b64 s[22:23], -1
                                        ; implicit-def: $vgpr10_vgpr11
	s_and_saveexec_b64 s[54:55], vcc
	s_cbranch_execz .LBB4_71
; %bb.68:                               ;   in Loop: Header=BB4_49 Depth=1
	v_mov_b32_e32 v8, v6
	v_accvgpr_read_b32 v4, a12
	v_accvgpr_read_b32 v5, a13
	v_mad_u64_u32 v[12:13], s[22:23], v2, 24, v[4:5]
	v_mov_b32_e32 v0, v13
	v_mad_u64_u32 v[0:1], s[22:23], v39, 24, v[0:1]
	v_mov_b32_e32 v13, v0
	flat_load_dword v0, v[12:13]
	v_accvgpr_read_b32 v6, a14
	v_accvgpr_read_b32 v7, a15
                                        ; implicit-def: $vgpr10_vgpr11
	s_waitcnt vmcnt(0) lgkmcnt(0)
	v_cmp_ne_u32_e32 vcc, 1, v0
	v_cmp_eq_u32_e64 s[22:23], 1, v0
	s_and_saveexec_b64 s[56:57], s[22:23]
	s_cbranch_execz .LBB4_70
; %bb.69:                               ;   in Loop: Header=BB4_49 Depth=1
	flat_load_dword v10, v[12:13] offset:4 glc
	s_waitcnt vmcnt(0) lgkmcnt(0)
	v_ashrrev_i32_e32 v11, 31, v10
.LBB4_70:                               ;   in Loop: Header=BB4_49 Depth=1
	s_or_b64 exec, exec, s[56:57]
	s_orn2_b64 s[22:23], vcc, exec
	v_mov_b32_e32 v6, v8
.LBB4_71:                               ;   in Loop: Header=BB4_49 Depth=1
	s_or_b64 exec, exec, s[54:55]
	s_and_saveexec_b64 vcc, s[22:23]
; %bb.72:                               ;   in Loop: Header=BB4_49 Depth=1
	v_accvgpr_read_b32 v4, a18
	v_mul_lo_u32 v0, v39, v4
	v_mul_lo_u32 v1, v2, v53
	v_mad_u64_u32 v[10:11], s[22:23], v2, v4, 0
	v_add3_u32 v11, v11, v1, v0
; %bb.73:                               ;   in Loop: Header=BB4_49 Depth=1
	s_or_b64 exec, exec, vcc
	v_accvgpr_read_b32 v0, a20
	v_accvgpr_read_b32 v1, a21
	v_add_co_u32_e32 v0, vcc, v0, v10
	v_addc_co_u32_e32 v1, vcc, v1, v11, vcc
	s_trap 2
	ds_write_b64 v0, v[0:1]
	v_and_b32_e32 v0, 0x2000, v59
	v_cmp_ne_u32_e32 vcc, 0, v0
	s_and_saveexec_b64 s[22:23], vcc
	s_cbranch_execz .LBB4_75
; %bb.74:                               ;   in Loop: Header=BB4_49 Depth=1
	ds_read_b64 v[0:1], v0 offset:584
	s_waitcnt lgkmcnt(0)
	v_add_co_u32_e32 v0, vcc, 1, v0
	v_addc_co_u32_e32 v1, vcc, 0, v1, vcc
	ds_write_b64 v0, v[0:1] offset:584
.LBB4_75:                               ;   in Loop: Header=BB4_49 Depth=1
	s_or_b64 exec, exec, s[22:23]
	v_accvgpr_read_b32 v0, a12
	v_accvgpr_read_b32 v2, a14
	v_accvgpr_read_b32 v3, a15
	v_add_co_u32_e32 v2, vcc, 1, v2
	v_addc_co_u32_e32 v3, vcc, 0, v3, vcc
	v_accvgpr_read_b32 v1, a13
	v_accvgpr_write_b32 a15, v3
	v_accvgpr_write_b32 a14, v2
	;; [unrolled: 1-line block ×4, first 2 shown]
.LBB4_76:                               ;   in Loop: Header=BB4_49 Depth=1
	s_or_b64 exec, exec, s[24:25]
	s_and_saveexec_b64 s[22:23], s[12:13]
	s_cbranch_execz .LBB4_95
; %bb.77:                               ;   in Loop: Header=BB4_49 Depth=1
	s_and_saveexec_b64 s[24:25], s[36:37]
	s_xor_b64 s[24:25], exec, s[24:25]
	s_cbranch_execz .LBB4_92
; %bb.78:                               ;   in Loop: Header=BB4_49 Depth=1
	s_and_saveexec_b64 s[54:55], s[14:15]
	s_cbranch_execz .LBB4_91
; %bb.79:                               ;   in Loop: Header=BB4_49 Depth=1
	s_mov_b64 s[58:59], exec
	v_mbcnt_lo_u32_b32 v0, s58, 0
	v_mbcnt_hi_u32_b32 v0, s59, v0
	v_cmp_eq_u32_e32 vcc, 0, v0
	s_waitcnt vmcnt(0) lgkmcnt(0)
	buffer_wbinvl1_vol
	s_and_saveexec_b64 s[56:57], vcc
	s_cbranch_execz .LBB4_81
; %bb.80:                               ;   in Loop: Header=BB4_49 Depth=1
	s_bcnt1_i32_b64 vcc_lo, s[58:59]
	v_mov_b32_e32 v38, vcc_lo
	ds_add_u64 v0, v[38:39]
	s_trap 2
.LBB4_81:                               ;   in Loop: Header=BB4_49 Depth=1
	s_or_b64 exec, exec, s[56:57]
	s_trap 2
	ds_read_b64 v[0:1], v0
	v_accvgpr_read_b32 v2, a22
	v_accvgpr_read_b32 v3, a23
	v_add_co_u32_e32 v2, vcc, v2, v52
	v_addc_co_u32_e32 v3, vcc, 0, v3, vcc
	v_accvgpr_write_b32 a23, v3
	v_accvgpr_write_b32 a22, v2
	s_waitcnt lgkmcnt(0)
	v_cmp_lt_u64_e32 vcc, v[0:1], v[2:3]
	s_and_saveexec_b64 s[56:57], vcc
	s_cbranch_execz .LBB4_90
; %bb.82:                               ;   in Loop: Header=BB4_49 Depth=1
	s_mov_b32 s68, 0
	s_mov_b64 s[58:59], 0
                                        ; implicit-def: $sgpr60_sgpr61
                                        ; implicit-def: $sgpr62_sgpr63
	s_branch .LBB4_84
.LBB4_83:                               ;   in Loop: Header=BB4_84 Depth=2
	s_or_b64 exec, exec, s[66:67]
	s_and_b64 vcc, exec, vcc
	s_or_b64 s[58:59], vcc, s[58:59]
	s_andn2_b64 vcc, s[60:61], exec
	s_and_b64 s[60:61], s[62:63], exec
	s_or_b64 s[60:61], vcc, s[60:61]
	s_andn2_b64 exec, exec, s[58:59]
	s_cbranch_execz .LBB4_88
.LBB4_84:                               ;   Parent Loop BB4_49 Depth=1
                                        ; =>  This Inner Loop Header: Depth=2
	s_add_i32 s68, s68, 1
	s_cmpk_lg_i32 s68, 0x2710
	s_cselect_b64 s[64:65], -1, 0
	s_and_b64 vcc, exec, s[64:65]
                                        ; implicit-def: $sgpr66_sgpr67
	s_cbranch_vccnz .LBB4_86
; %bb.85:                               ;   in Loop: Header=BB4_84 Depth=2
	s_trap 2
	ds_read_b64 v[0:1], v0
	s_andn2_b64 s[64:65], s[64:65], exec
	s_mov_b32 s68, 0
	s_mov_b64 s[66:67], -1
	s_waitcnt lgkmcnt(0)
	flat_load_dword v0, v[0:1] glc
	s_waitcnt vmcnt(0) lgkmcnt(0)
	buffer_invl2
	buffer_wbinvl1_vol
	v_cmp_eq_u32_e32 vcc, 0, v0
	s_and_b64 vcc, vcc, exec
	s_or_b64 s[64:65], s[64:65], vcc
.LBB4_86:                               ;   in Loop: Header=BB4_84 Depth=2
	s_andn2_b64 s[62:63], s[62:63], exec
	s_and_b64 s[66:67], s[66:67], exec
	s_mov_b64 vcc, -1
	s_or_b64 s[62:63], s[62:63], s[66:67]
	s_and_saveexec_b64 s[66:67], s[64:65]
	s_cbranch_execz .LBB4_83
; %bb.87:                               ;   in Loop: Header=BB4_84 Depth=2
	s_sleep 1
	s_trap 2
	ds_read_b64 v[0:1], v0
	v_accvgpr_read_b32 v2, a22
	v_accvgpr_read_b32 v3, a23
	s_andn2_b64 s[62:63], s[62:63], exec
	s_waitcnt lgkmcnt(0)
	v_cmp_ge_u64_e32 vcc, v[0:1], v[2:3]
	s_orn2_b64 vcc, vcc, exec
	s_branch .LBB4_83
.LBB4_88:                               ;   in Loop: Header=BB4_49 Depth=1
	s_or_b64 exec, exec, s[58:59]
	s_and_saveexec_b64 vcc, s[60:61]
	s_xor_b64 vcc, exec, vcc
	s_cbranch_execz .LBB4_90
; %bb.89:                               ;   in Loop: Header=BB4_49 Depth=1
	ds_write_b32 v0, v43
	s_trap 2
.LBB4_90:                               ;   in Loop: Header=BB4_49 Depth=1
	s_or_b64 exec, exec, s[56:57]
	;;#ASMSTART
	s_wakeup
	;;#ASMEND
.LBB4_91:                               ;   in Loop: Header=BB4_49 Depth=1
	s_or_b64 exec, exec, s[54:55]
.LBB4_92:                               ;   in Loop: Header=BB4_49 Depth=1
	s_andn2_saveexec_b64 s[24:25], s[24:25]
	s_cbranch_execz .LBB4_94
; %bb.93:                               ;   in Loop: Header=BB4_49 Depth=1
	s_waitcnt vmcnt(0) lgkmcnt(0)
	buffer_wbinvl1_vol
	s_barrier
.LBB4_94:                               ;   in Loop: Header=BB4_49 Depth=1
	s_or_b64 exec, exec, s[24:25]
.LBB4_95:                               ;   in Loop: Header=BB4_49 Depth=1
	s_or_b64 exec, exec, s[22:23]
	s_trap 2
	ds_read_b32 v0, v0
	v_and_b32_e32 v1, 0x4000, v59
	v_cmp_ne_u32_e32 vcc, 0, v1
	s_and_b64 s[24:25], s[40:41], vcc
	s_and_saveexec_b64 s[22:23], s[24:25]
	s_cbranch_execz .LBB4_114
; %bb.96:                               ;   in Loop: Header=BB4_49 Depth=1
	s_and_saveexec_b64 s[24:25], s[36:37]
	s_xor_b64 s[24:25], exec, s[24:25]
	s_cbranch_execz .LBB4_111
; %bb.97:                               ;   in Loop: Header=BB4_49 Depth=1
	s_and_saveexec_b64 s[54:55], s[14:15]
	s_cbranch_execz .LBB4_110
; %bb.98:                               ;   in Loop: Header=BB4_49 Depth=1
	s_mov_b64 s[58:59], exec
	v_mbcnt_lo_u32_b32 v1, s58, 0
	v_mbcnt_hi_u32_b32 v1, s59, v1
	v_cmp_eq_u32_e32 vcc, 0, v1
	s_waitcnt vmcnt(0) lgkmcnt(0)
	buffer_wbinvl1_vol
	s_and_saveexec_b64 s[56:57], vcc
	s_cbranch_execz .LBB4_100
; %bb.99:                               ;   in Loop: Header=BB4_49 Depth=1
	s_bcnt1_i32_b64 vcc_lo, s[58:59]
	v_mov_b32_e32 v38, vcc_lo
	ds_add_u64 v0, v[38:39]
	s_trap 2
.LBB4_100:                              ;   in Loop: Header=BB4_49 Depth=1
	s_or_b64 exec, exec, s[56:57]
	s_trap 2
	ds_read_b64 v[2:3], v0
	v_accvgpr_read_b32 v4, a22
	v_accvgpr_read_b32 v5, a23
	v_add_co_u32_e32 v4, vcc, v4, v52
	v_addc_co_u32_e32 v5, vcc, 0, v5, vcc
	v_accvgpr_write_b32 a23, v5
	v_accvgpr_write_b32 a22, v4
	s_waitcnt lgkmcnt(0)
	v_cmp_lt_u64_e32 vcc, v[2:3], v[4:5]
	s_and_saveexec_b64 s[56:57], vcc
	s_cbranch_execz .LBB4_109
; %bb.101:                              ;   in Loop: Header=BB4_49 Depth=1
	s_mov_b32 s68, 0
	s_mov_b64 s[58:59], 0
                                        ; implicit-def: $sgpr60_sgpr61
                                        ; implicit-def: $sgpr62_sgpr63
	s_branch .LBB4_103
.LBB4_102:                              ;   in Loop: Header=BB4_103 Depth=2
	s_or_b64 exec, exec, s[66:67]
	s_and_b64 vcc, exec, vcc
	s_or_b64 s[58:59], vcc, s[58:59]
	s_andn2_b64 vcc, s[60:61], exec
	s_and_b64 s[60:61], s[62:63], exec
	s_or_b64 s[60:61], vcc, s[60:61]
	s_andn2_b64 exec, exec, s[58:59]
	s_cbranch_execz .LBB4_107
.LBB4_103:                              ;   Parent Loop BB4_49 Depth=1
                                        ; =>  This Inner Loop Header: Depth=2
	s_add_i32 s68, s68, 1
	s_cmpk_lg_i32 s68, 0x2710
	s_cselect_b64 s[64:65], -1, 0
	s_and_b64 vcc, exec, s[64:65]
                                        ; implicit-def: $sgpr66_sgpr67
	s_cbranch_vccnz .LBB4_105
; %bb.104:                              ;   in Loop: Header=BB4_103 Depth=2
	s_trap 2
	ds_read_b64 v[2:3], v0
	s_andn2_b64 s[64:65], s[64:65], exec
	s_mov_b32 s68, 0
	s_mov_b64 s[66:67], -1
	s_waitcnt lgkmcnt(0)
	flat_load_dword v1, v[2:3] glc
	s_waitcnt vmcnt(0) lgkmcnt(0)
	buffer_invl2
	buffer_wbinvl1_vol
	v_cmp_eq_u32_e32 vcc, 0, v1
	s_and_b64 vcc, vcc, exec
	s_or_b64 s[64:65], s[64:65], vcc
.LBB4_105:                              ;   in Loop: Header=BB4_103 Depth=2
	s_andn2_b64 s[62:63], s[62:63], exec
	s_and_b64 s[66:67], s[66:67], exec
	s_mov_b64 vcc, -1
	s_or_b64 s[62:63], s[62:63], s[66:67]
	s_and_saveexec_b64 s[66:67], s[64:65]
	s_cbranch_execz .LBB4_102
; %bb.106:                              ;   in Loop: Header=BB4_103 Depth=2
	s_sleep 1
	s_trap 2
	ds_read_b64 v[2:3], v0
	v_accvgpr_read_b32 v4, a22
	v_accvgpr_read_b32 v5, a23
	s_andn2_b64 s[62:63], s[62:63], exec
	s_waitcnt lgkmcnt(0)
	v_cmp_ge_u64_e32 vcc, v[2:3], v[4:5]
	s_orn2_b64 vcc, vcc, exec
	s_branch .LBB4_102
.LBB4_107:                              ;   in Loop: Header=BB4_49 Depth=1
	s_or_b64 exec, exec, s[58:59]
	s_and_saveexec_b64 vcc, s[60:61]
	s_xor_b64 vcc, exec, vcc
	s_cbranch_execz .LBB4_109
; %bb.108:                              ;   in Loop: Header=BB4_49 Depth=1
	ds_write_b32 v0, v43
	s_trap 2
.LBB4_109:                              ;   in Loop: Header=BB4_49 Depth=1
	s_or_b64 exec, exec, s[56:57]
	;;#ASMSTART
	s_wakeup
	;;#ASMEND
.LBB4_110:                              ;   in Loop: Header=BB4_49 Depth=1
	s_or_b64 exec, exec, s[54:55]
.LBB4_111:                              ;   in Loop: Header=BB4_49 Depth=1
	s_andn2_saveexec_b64 s[24:25], s[24:25]
	s_cbranch_execz .LBB4_113
; %bb.112:                              ;   in Loop: Header=BB4_49 Depth=1
	s_waitcnt vmcnt(0) lgkmcnt(0)
	buffer_wbinvl1_vol
	s_barrier
.LBB4_113:                              ;   in Loop: Header=BB4_49 Depth=1
	s_or_b64 exec, exec, s[24:25]
.LBB4_114:                              ;   in Loop: Header=BB4_49 Depth=1
	s_or_b64 exec, exec, s[22:23]
	s_trap 2
	s_waitcnt lgkmcnt(0)
	ds_read_b64 v[2:3], v0
	s_waitcnt lgkmcnt(0)
	v_readfirstlane_b32 s22, v2
	v_readfirstlane_b32 s23, v3
	s_cmp_eq_u64 s[22:23], 0
	s_cselect_b64 s[22:23], -1, 0
	s_or_b64 s[24:25], s[22:23], s[22:23]
	s_mov_b64 s[22:23], 0
	s_and_b64 vcc, exec, s[24:25]
	s_cbranch_vccnz .LBB4_2635
; %bb.115:                              ;   in Loop: Header=BB4_49 Depth=1
	s_mov_b64 s[24:25], -1
	s_and_saveexec_b64 s[22:23], s[16:17]
	s_cbranch_execz .LBB4_117
; %bb.116:                              ;   in Loop: Header=BB4_49 Depth=1
	ds_read_b32 v1, v0 offset:720
	s_waitcnt lgkmcnt(0)
	v_and_b32_e32 v1, 15, v1
	v_cmp_eq_u32_e32 vcc, 0, v1
	s_orn2_b64 s[24:25], vcc, exec
.LBB4_117:                              ;   in Loop: Header=BB4_49 Depth=1
	s_or_b64 exec, exec, s[22:23]
	s_and_saveexec_b64 s[22:23], s[18:19]
	s_cbranch_execz .LBB4_119
; %bb.118:                              ;   in Loop: Header=BB4_49 Depth=1
	ds_read_b32 v1, v0 offset:784
	s_waitcnt lgkmcnt(0)
	v_and_b32_e32 v1, 15, v1
	v_cmp_eq_u32_e32 vcc, 0, v1
	s_and_b64 vcc, s[24:25], vcc
	s_andn2_b64 s[24:25], s[24:25], exec
	s_and_b64 vcc, vcc, exec
	s_or_b64 s[24:25], s[24:25], vcc
.LBB4_119:                              ;   in Loop: Header=BB4_49 Depth=1
	s_or_b64 exec, exec, s[22:23]
	v_cmp_eq_u32_e32 vcc, 0, v0
	s_xor_b64 s[24:25], s[24:25], -1
	v_cndmask_b32_e32 v45, 0, v6, vcc
	v_cndmask_b32_e64 v0, 0, 1, s[24:25]
	v_mov_b32_e32 v4, 0
	v_accvgpr_write_b32 a46, v6
	s_mov_b64 s[22:23], -1
	;;#ASMSTART
	;;#ASMEND
	v_cmp_ne_u32_e32 vcc, 0, v0
	v_mov_b32_e32 v5, v45
	v_accvgpr_read_b32 v6, a3
	v_mov_b32_e32 v2, v54
	s_cbranch_vccz .LBB4_121
; %bb.120:                              ;   in Loop: Header=BB4_49 Depth=1
	s_and_saveexec_b64 s[24:25], s[22:23]
	s_cbranch_execnz .LBB4_2166
	s_branch .LBB4_2634
.LBB4_121:                              ;   in Loop: Header=BB4_49 Depth=1
	v_lshrrev_b32_e32 v0, 11, v45
	v_sub_u32_e32 v41, v0, v54
	v_cmp_lt_i32_e32 vcc, 0, v41
	s_and_saveexec_b64 s[24:25], vcc
	s_cbranch_execz .LBB4_1477
; %bb.122:                              ;   in Loop: Header=BB4_49 Depth=1
	s_trap 2
	ds_read_b128 v[0:3], v0
	v_accvgpr_write_b32 a28, v52
	v_accvgpr_write_b32 a19, v53
	v_accvgpr_read_b32 v4, a32
	v_accvgpr_write_b32 a44, v44
	s_waitcnt lgkmcnt(0)
	ds_read_b64 v[52:53], v0
	v_add_co_u32_e32 v44, vcc, v0, v4
	v_accvgpr_read_b32 v5, a31
	v_accvgpr_write_b32 a45, v45
	v_addc_co_u32_e32 v45, vcc, v1, v5, vcc
	v_add_co_u32_e32 v46, vcc, v2, v4
	s_waitcnt lgkmcnt(0)
	v_readfirstlane_b32 s22, v52
	v_addc_co_u32_e32 v47, vcc, v3, v5, vcc
	s_and_b32 s23, s22, 7
	v_accvgpr_write_b32 a37, v56
	v_add_co_u32_e32 v56, vcc, v52, v4
	s_flbit_i32_b32 s23, s23
	v_accvgpr_write_b32 a38, v57
	v_addc_co_u32_e32 v57, vcc, v53, v5, vcc
	s_min_u32 s23, s23, 32
	s_and_b32 vcc_lo, s22, 0x7f
	s_bfe_u32 vcc_hi, s22, 0x40003
	s_sub_i32 s54, s23, 28
	s_sub_i32 s23, 29, s23
	s_cmp_lt_u32 vcc_lo, 8
	s_cselect_b32 s23, s23, vcc_hi
	s_cselect_b32 vcc_hi, s54, 0
	s_lshl_b32 s22, s22, 24
	s_lshl_b32 s23, s23, 23
	v_lshlrev_b64 v[0:1], vcc_hi, v[52:53]
	s_and_b32 s22, s22, 0x80000000
	s_add_i32 s23, s23, 0x3c000000
	v_lshlrev_b32_e32 v0, 20, v0
	s_or_b32 s22, s22, s23
	v_and_b32_e32 v0, 0x700000, v0
	s_cmpk_lg_i32 vcc_lo, 0x7f
	v_or_b32_e32 v0, s22, v0
	s_cselect_b64 vcc, -1, 0
	v_mov_b32_e32 v1, 0x7f800001
	v_accvgpr_write_b32 a42, v60
	v_cndmask_b32_e32 v0, v1, v0, vcc
	v_accvgpr_write_b32 a43, v61
	v_accvgpr_write_b32 a41, v51
	;; [unrolled: 1-line block ×8, first 2 shown]
	s_mov_b64 s[54:55], 0
	v_accvgpr_write_b32 a48, v52
	s_branch .LBB4_124
.LBB4_123:                              ;   in Loop: Header=BB4_124 Depth=2
	s_or_b64 exec, exec, s[22:23]
	v_lshlrev_b32_e32 v3, 8, v24
	v_perm_b32 v3, v3, v62, s78
	v_lshl_or_b32 v3, v42, 16, v3
	v_lshl_or_b32 v49, v6, 24, v3
	v_and_b32_e32 v3, 0xff, v25
	v_lshlrev_b32_e32 v1, 8, v1
	v_lshlrev_b32_e32 v6, 24, v30
	;; [unrolled: 1-line block ×3, first 2 shown]
	v_perm_b32 v1, v1, v55, s78
	v_or3_b32 v48, v6, v3, v1
	v_and_b32_e32 v1, 0xff, v8
	v_lshlrev_b32_e32 v3, 24, v4
	v_lshlrev_b32_e32 v4, 8, v7
	;; [unrolled: 1-line block ×3, first 2 shown]
	v_perm_b32 v4, v4, v5, s78
	v_or3_b32 v50, v3, v1, v4
	v_lshlrev_b32_e32 v1, 8, v15
	v_perm_b32 v1, v1, v9, s78
	v_lshl_or_b32 v1, v21, 16, v1
	v_lshl_or_b32 v51, v16, 24, v1
	v_lshlrev_b32_e32 v1, 8, v14
	v_perm_b32 v1, v1, v27, s78
	v_lshl_or_b32 v1, v32, 16, v1
	v_lshl_or_b32 v5, v11, 24, v1
	v_and_b32_e32 v1, 0xff, v23
	v_lshlrev_b32_e32 v4, 8, v22
	v_lshlrev_b32_e32 v3, 24, v31
	;; [unrolled: 1-line block ×3, first 2 shown]
	v_perm_b32 v4, v4, v17, s78
	v_or3_b32 v4, v3, v1, v4
	v_and_b32_e32 v1, 0xff, v35
	v_lshlrev_b32_e32 v3, 8, v34
	v_lshlrev_b32_e32 v0, 24, v0
	;; [unrolled: 1-line block ×3, first 2 shown]
	v_perm_b32 v3, v3, v33, s78
	v_or3_b32 v6, v0, v1, v3
	v_lshlrev_b32_e32 v0, 8, v10
	v_perm_b32 v0, v0, v19, s78
	v_lshl_or_b32 v0, v26, 16, v0
	v_accvgpr_read_b32 v1, a33
	v_lshl_or_b32 v7, v2, 24, v0
	v_add_co_u32_e32 v44, vcc, v44, v1
	v_accvgpr_read_b32 v2, a34
	v_addc_co_u32_e32 v45, vcc, v45, v2, vcc
	v_add_co_u32_e32 v46, vcc, v46, v1
	v_accvgpr_read_b32 v0, a28
	v_addc_co_u32_e32 v47, vcc, v47, v2, vcc
	v_sub_u32_e32 v41, v41, v0
	v_cmp_gt_i32_e32 vcc, 1, v41
	global_store_dwordx4 v[56:57], v[48:51], off glc slc
	global_store_dwordx4 v[56:57], v[4:7], off offset:1024 glc slc
	s_or_b64 s[54:55], vcc, s[54:55]
	v_add_co_u32_e32 v56, vcc, v56, v1
	v_addc_co_u32_e32 v57, vcc, v57, v2, vcc
	s_andn2_b64 exec, exec, s[54:55]
	s_cbranch_execz .LBB4_1476
.LBB4_124:                              ;   Parent Loop BB4_49 Depth=1
                                        ; =>  This Inner Loop Header: Depth=2
	v_cmp_lt_i16_sdwa s[22:23], v52, s76 src0_sel:BYTE_0 src1_sel:DWORD
	s_and_b64 vcc, exec, s[22:23]
	s_cbranch_vccnz .LBB4_128
; %bb.125:                              ;   in Loop: Header=BB4_124 Depth=2
	v_cmp_eq_u16_sdwa vcc, v52, s76 src0_sel:BYTE_0 src1_sel:DWORD
	s_mov_b64 s[22:23], -1
	s_and_b64 vcc, exec, vcc
                                        ; implicit-def: $sgpr56
	s_cbranch_vccz .LBB4_127
; %bb.126:                              ;   in Loop: Header=BB4_124 Depth=2
	s_mov_b64 s[22:23], 0
	s_brev_b32 s56, 1
.LBB4_127:                              ;   in Loop: Header=BB4_124 Depth=2
	s_branch .LBB4_130
.LBB4_128:                              ;   in Loop: Header=BB4_124 Depth=2
	s_mov_b64 s[22:23], 0
                                        ; implicit-def: $sgpr56
	s_cbranch_execz .LBB4_130
; %bb.129:                              ;   in Loop: Header=BB4_124 Depth=2
	v_cmp_ne_u16_sdwa s[22:23], v52, v39 src0_sel:BYTE_0 src1_sel:DWORD
	s_mov_b32 s56, 0
.LBB4_130:                              ;   in Loop: Header=BB4_124 Depth=2
	s_andn2_b64 vcc, exec, s[22:23]
	v_mov_b32_e32 v7, s56
	s_cbranch_vccnz .LBB4_132
; %bb.131:                              ;   in Loop: Header=BB4_124 Depth=2
	v_accvgpr_read_b32 v7, a47
.LBB4_132:                              ;   in Loop: Header=BB4_124 Depth=2
	global_load_dwordx4 v[10:13], v[44:45], off glc slc
	v_mov_b32_e32 v0, 0
	s_waitcnt vmcnt(0)
	v_cmp_ne_u16_sdwa vcc, v10, v39 src0_sel:BYTE_0 src1_sel:DWORD
	s_and_saveexec_b64 s[22:23], vcc
	s_cbranch_execz .LBB4_138
; %bb.133:                              ;   in Loop: Header=BB4_124 Depth=2
	v_cmp_ne_u16_sdwa vcc, v10, s76 src0_sel:BYTE_0 src1_sel:DWORD
	v_bfrev_b32_e32 v0, 1
	s_and_saveexec_b64 s[56:57], vcc
	s_cbranch_execz .LBB4_137
; %bb.134:                              ;   in Loop: Header=BB4_124 Depth=2
	v_and_b32_e32 v1, 0x7f, v10
	v_cmp_ne_u32_e32 vcc, s75, v1
	v_mov_b32_e32 v0, 0x7f800001
	s_and_saveexec_b64 s[58:59], vcc
	s_cbranch_execz .LBB4_136
; %bb.135:                              ;   in Loop: Header=BB4_124 Depth=2
	v_and_b32_e32 v0, 7, v10
	v_ffbh_u32_e32 v0, v0
	v_min_u32_e32 v0, 32, v0
	v_lshrrev_b32_e32 v2, 3, v1
	v_subrev_u32_e32 v3, 28, v0
	v_sub_u32_e32 v0, 29, v0
	v_cmp_gt_u32_e32 vcc, 8, v1
	v_cndmask_b32_e32 v2, v2, v0, vcc
	v_cndmask_b32_e32 v0, 0, v3, vcc
	v_lshlrev_b64 v[0:1], v0, v[10:11]
	v_lshlrev_b32_e32 v0, 20, v0
	v_lshlrev_b32_e32 v1, 24, v10
	v_bfrev_b32_e32 v3, 60
	v_and_b32_e32 v0, 0x700000, v0
	v_and_b32_e32 v1, 0x80000000, v1
	v_lshl_add_u32 v2, v2, 23, v3
	v_or3_b32 v0, v1, v2, v0
.LBB4_136:                              ;   in Loop: Header=BB4_124 Depth=2
	s_or_b64 exec, exec, s[58:59]
.LBB4_137:                              ;   in Loop: Header=BB4_124 Depth=2
	s_or_b64 exec, exec, s[56:57]
.LBB4_138:                              ;   in Loop: Header=BB4_124 Depth=2
	s_or_b64 exec, exec, s[22:23]
	v_mul_f32_e32 v2, v7, v0
	v_and_b32_sdwa v0, v2, s76 dst_sel:DWORD dst_unused:UNUSED_PAD src0_sel:BYTE_3 src1_sel:DWORD
	v_and_b32_e32 v4, 0x7f800000, v2
	v_mov_b32_e32 v5, v39
	v_and_b32_e32 v38, 0x7fffff, v2
	v_or_b32_e32 v1, 0x7e, v0
	v_cmp_ne_u64_e32 vcc, s[42:43], v[4:5]
	s_and_saveexec_b64 s[22:23], vcc
	s_xor_b64 s[56:57], exec, s[22:23]
	s_cbranch_execz .LBB4_148
; %bb.139:                              ;   in Loop: Header=BB4_124 Depth=2
	v_and_b32_e32 v4, 0x7fffffff, v2
	v_mov_b32_e32 v5, v39
	v_cmp_gt_u64_e32 vcc, s[44:45], v[4:5]
	s_and_saveexec_b64 s[58:59], vcc
	s_cbranch_execz .LBB4_147
; %bb.140:                              ;   in Loop: Header=BB4_124 Depth=2
	v_cmp_ne_u32_e32 vcc, 0, v2
	v_mov_b32_e32 v1, 0
	s_and_saveexec_b64 s[60:61], vcc
	s_cbranch_execz .LBB4_146
; %bb.141:                              ;   in Loop: Header=BB4_124 Depth=2
	v_bfe_u32 v1, v2, 23, 8
	v_sub_u32_e32 v3, 0x79, v1
	v_cmp_gt_u32_e32 vcc, s77, v1
	v_add_u32_e32 v2, 0xffffff81, v1
	v_cndmask_b32_e32 v3, 0, v3, vcc
	v_cmp_eq_u32_e32 vcc, 0, v1
	v_mov_b32_e32 v1, 0xffffff82
	v_cndmask_b32_e32 v1, v2, v1, vcc
	v_mov_b32_e32 v2, 0x78
	v_or_b32_e32 v4, 0x800000, v38
	v_cndmask_b32_e32 v5, v3, v2, vcc
	v_cndmask_b32_e32 v38, v4, v38, vcc
	v_add_u32_e32 v2, 20, v5
	v_lshlrev_b64 v[2:3], v2, -1
	v_add_u32_e32 v4, 19, v5
	v_lshrrev_b64 v[14:15], v5, v[38:39]
	v_not_b32_e32 v3, v3
	v_not_b32_e32 v2, v2
	v_lshlrev_b64 v[8:9], v4, 1
	v_lshrrev_b32_e32 v4, 23, v14
	v_and_b32_e32 v3, 0, v3
	v_and_b32_e32 v2, v38, v2
	v_add3_u32 v5, v5, v1, v4
	v_bfe_u32 v1, v14, 20, 1
	v_add_u32_e32 v1, -1, v1
	v_cmp_eq_u64_e32 vcc, v[2:3], v[8:9]
	v_cndmask_b32_e32 v1, 0, v1, vcc
	v_add_u32_e32 v1, v1, v14
	v_and_b32_e32 v1, 0xfffff, v1
	v_add_co_u32_e32 v2, vcc, v1, v14
	v_add_u32_e32 v4, 6, v5
	v_addc_co_u32_e32 v3, vcc, 0, v15, vcc
	v_cmp_ne_u32_e32 vcc, 0, v4
                                        ; implicit-def: $vgpr1
	s_and_saveexec_b64 s[22:23], vcc
	s_xor_b64 s[22:23], exec, s[22:23]
; %bb.142:                              ;   in Loop: Header=BB4_124 Depth=2
	v_add_u32_e32 v1, 7, v5
	v_cmp_lt_u64_e32 vcc, s[48:49], v[2:3]
	v_cndmask_b32_e32 v1, v4, v1, vcc
	v_cndmask_b32_e64 v4, 0, 1, vcc
	v_lshrrev_b64 v[2:3], v4, v[2:3]
; %bb.143:                              ;   in Loop: Header=BB4_124 Depth=2
	s_andn2_saveexec_b64 s[22:23], s[22:23]
; %bb.144:                              ;   in Loop: Header=BB4_124 Depth=2
	v_bfe_u32 v1, v2, 23, 1
; %bb.145:                              ;   in Loop: Header=BB4_124 Depth=2
	s_or_b64 exec, exec, s[22:23]
	v_lshrrev_b64 v[2:3], 20, v[2:3]
	v_cmp_gt_i32_e32 vcc, 16, v1
	v_cndmask_b32_e32 v3, 0, v3, vcc
	v_cndmask_b32_e32 v2, 7, v2, vcc
	v_cmp_eq_u32_e32 vcc, 0, v1
	v_min_i32_e32 v1, 15, v1
	v_cmp_eq_u64_e64 s[22:23], 0, v[2:3]
	v_lshlrev_b32_e32 v1, 3, v1
	v_and_or_b32 v1, v2, 7, v1
	s_and_b64 s[22:23], vcc, s[22:23]
	v_cndmask_b32_e64 v1, v1, 0, s[22:23]
	v_or_b32_e32 v1, v1, v0
.LBB4_146:                              ;   in Loop: Header=BB4_124 Depth=2
	s_or_b64 exec, exec, s[60:61]
.LBB4_147:                              ;   in Loop: Header=BB4_124 Depth=2
	s_or_b64 exec, exec, s[58:59]
                                        ; implicit-def: $vgpr2
.LBB4_148:                              ;   in Loop: Header=BB4_124 Depth=2
	s_andn2_saveexec_b64 s[22:23], s[56:57]
; %bb.149:                              ;   in Loop: Header=BB4_124 Depth=2
	v_or_b32_sdwa v0, v2, s75 dst_sel:DWORD dst_unused:UNUSED_PAD src0_sel:BYTE_3 src1_sel:DWORD
	v_cmp_eq_u64_e32 vcc, 0, v[38:39]
	v_cndmask_b32_e32 v1, v0, v1, vcc
; %bb.150:                              ;   in Loop: Header=BB4_124 Depth=2
	s_or_b64 exec, exec, s[22:23]
	v_lshrrev_b16_e32 v2, 8, v10
	v_cmp_ne_u16_e32 vcc, 0, v2
	v_mov_b32_e32 v0, 0
	s_and_saveexec_b64 s[22:23], vcc
	s_cbranch_execz .LBB4_156
; %bb.151:                              ;   in Loop: Header=BB4_124 Depth=2
	v_cmp_ne_u16_e32 vcc, s76, v2
	v_bfrev_b32_e32 v0, 1
	s_and_saveexec_b64 s[56:57], vcc
	s_cbranch_execz .LBB4_155
; %bb.152:                              ;   in Loop: Header=BB4_124 Depth=2
	v_and_b32_e32 v3, 0x7f, v2
	v_cmp_ne_u32_e32 vcc, s75, v3
	v_mov_b32_e32 v0, 0x7f800001
	s_and_saveexec_b64 s[58:59], vcc
	s_cbranch_execz .LBB4_154
; %bb.153:                              ;   in Loop: Header=BB4_124 Depth=2
	v_and_b32_e32 v0, 7, v2
	v_ffbh_u32_e32 v4, v0
	v_min_u32_e32 v8, 32, v4
	v_subrev_u32_e32 v4, 28, v8
	v_lshlrev_b64 v[4:5], v4, v[2:3]
	v_lshrrev_b32_e32 v6, 3, v3
	v_sub_u32_e32 v2, 29, v8
	v_and_b32_e32 v4, 7, v4
	v_cmp_gt_u32_e32 vcc, 8, v3
	v_cndmask_b32_e32 v2, v6, v2, vcc
	v_cndmask_b32_e32 v0, v0, v4, vcc
	v_lshlrev_b32_e32 v3, 16, v10
	v_bfrev_b32_e32 v4, 60
	v_lshlrev_b32_e32 v0, 20, v0
	v_and_b32_e32 v3, 0x80000000, v3
	v_lshl_add_u32 v2, v2, 23, v4
	v_or3_b32 v0, v3, v2, v0
.LBB4_154:                              ;   in Loop: Header=BB4_124 Depth=2
	s_or_b64 exec, exec, s[58:59]
.LBB4_155:                              ;   in Loop: Header=BB4_124 Depth=2
	s_or_b64 exec, exec, s[56:57]
.LBB4_156:                              ;   in Loop: Header=BB4_124 Depth=2
	s_or_b64 exec, exec, s[22:23]
	v_mul_f32_e32 v2, v7, v0
	v_and_b32_sdwa v0, v2, s76 dst_sel:DWORD dst_unused:UNUSED_PAD src0_sel:BYTE_3 src1_sel:DWORD
	v_and_b32_e32 v4, 0x7f800000, v2
	v_mov_b32_e32 v5, v39
	v_and_b32_e32 v38, 0x7fffff, v2
	v_or_b32_e32 v9, 0x7e, v0
	v_cmp_ne_u64_e32 vcc, s[42:43], v[4:5]
	s_and_saveexec_b64 s[22:23], vcc
	s_xor_b64 s[56:57], exec, s[22:23]
	s_cbranch_execz .LBB4_166
; %bb.157:                              ;   in Loop: Header=BB4_124 Depth=2
	v_and_b32_e32 v4, 0x7fffffff, v2
	v_mov_b32_e32 v5, v39
	v_cmp_gt_u64_e32 vcc, s[44:45], v[4:5]
	s_and_saveexec_b64 s[58:59], vcc
	s_cbranch_execz .LBB4_165
; %bb.158:                              ;   in Loop: Header=BB4_124 Depth=2
	v_cmp_ne_u32_e32 vcc, 0, v2
	v_mov_b32_e32 v9, 0
	s_and_saveexec_b64 s[60:61], vcc
	s_cbranch_execz .LBB4_164
; %bb.159:                              ;   in Loop: Header=BB4_124 Depth=2
	v_bfe_u32 v2, v2, 23, 8
	v_sub_u32_e32 v4, 0x79, v2
	v_cmp_gt_u32_e32 vcc, s77, v2
	v_add_u32_e32 v3, 0xffffff81, v2
	v_cndmask_b32_e32 v4, 0, v4, vcc
	v_cmp_eq_u32_e32 vcc, 0, v2
	v_mov_b32_e32 v2, 0xffffff82
	v_cndmask_b32_e32 v6, v3, v2, vcc
	v_mov_b32_e32 v2, 0x78
	v_or_b32_e32 v5, 0x800000, v38
	v_cndmask_b32_e32 v4, v4, v2, vcc
	v_cndmask_b32_e32 v38, v5, v38, vcc
	v_add_u32_e32 v2, 20, v4
	v_lshlrev_b64 v[2:3], v2, -1
	v_add_u32_e32 v5, 19, v4
	v_lshrrev_b64 v[14:15], v4, v[38:39]
	v_not_b32_e32 v3, v3
	v_not_b32_e32 v2, v2
	v_lshlrev_b64 v[8:9], v5, 1
	v_lshrrev_b32_e32 v5, 23, v14
	v_and_b32_e32 v3, 0, v3
	v_and_b32_e32 v2, v38, v2
	v_add3_u32 v6, v4, v6, v5
	v_bfe_u32 v4, v14, 20, 1
	v_add_u32_e32 v4, -1, v4
	v_cmp_eq_u64_e32 vcc, v[2:3], v[8:9]
	v_cndmask_b32_e32 v2, 0, v4, vcc
	v_add_u32_e32 v2, v2, v14
	v_and_b32_e32 v2, 0xfffff, v2
	v_add_co_u32_e32 v2, vcc, v2, v14
	v_add_u32_e32 v5, 6, v6
	v_addc_co_u32_e32 v3, vcc, 0, v15, vcc
	v_cmp_ne_u32_e32 vcc, 0, v5
                                        ; implicit-def: $vgpr4
	s_and_saveexec_b64 s[22:23], vcc
	s_xor_b64 s[22:23], exec, s[22:23]
; %bb.160:                              ;   in Loop: Header=BB4_124 Depth=2
	v_add_u32_e32 v4, 7, v6
	v_cmp_lt_u64_e32 vcc, s[48:49], v[2:3]
	v_cndmask_b32_e32 v4, v5, v4, vcc
	v_cndmask_b32_e64 v5, 0, 1, vcc
	v_lshrrev_b64 v[2:3], v5, v[2:3]
; %bb.161:                              ;   in Loop: Header=BB4_124 Depth=2
	s_andn2_saveexec_b64 s[22:23], s[22:23]
; %bb.162:                              ;   in Loop: Header=BB4_124 Depth=2
	v_bfe_u32 v4, v2, 23, 1
; %bb.163:                              ;   in Loop: Header=BB4_124 Depth=2
	s_or_b64 exec, exec, s[22:23]
	v_lshrrev_b64 v[2:3], 20, v[2:3]
	v_cmp_gt_i32_e32 vcc, 16, v4
	v_cndmask_b32_e32 v3, 0, v3, vcc
	v_cndmask_b32_e32 v2, 7, v2, vcc
	v_cmp_eq_u64_e64 s[22:23], 0, v[2:3]
	v_min_i32_e32 v3, 15, v4
	v_cmp_eq_u32_e32 vcc, 0, v4
	v_lshlrev_b32_e32 v3, 3, v3
	v_and_or_b32 v2, v2, 7, v3
	s_and_b64 s[22:23], vcc, s[22:23]
	v_cndmask_b32_e64 v2, v2, 0, s[22:23]
	v_or_b32_e32 v9, v2, v0
.LBB4_164:                              ;   in Loop: Header=BB4_124 Depth=2
	s_or_b64 exec, exec, s[60:61]
.LBB4_165:                              ;   in Loop: Header=BB4_124 Depth=2
	s_or_b64 exec, exec, s[58:59]
                                        ; implicit-def: $vgpr2
.LBB4_166:                              ;   in Loop: Header=BB4_124 Depth=2
	s_andn2_saveexec_b64 s[22:23], s[56:57]
; %bb.167:                              ;   in Loop: Header=BB4_124 Depth=2
	v_or_b32_sdwa v0, v2, s75 dst_sel:DWORD dst_unused:UNUSED_PAD src0_sel:BYTE_3 src1_sel:DWORD
	v_cmp_eq_u64_e32 vcc, 0, v[38:39]
	v_cndmask_b32_e32 v9, v0, v9, vcc
; %bb.168:                              ;   in Loop: Header=BB4_124 Depth=2
	s_or_b64 exec, exec, s[22:23]
	v_lshrrev_b32_e32 v2, 16, v10
	v_cmp_ne_u16_sdwa vcc, v2, v39 src0_sel:BYTE_0 src1_sel:DWORD
	v_mov_b32_e32 v0, 0
	s_and_saveexec_b64 s[22:23], vcc
	s_cbranch_execz .LBB4_174
; %bb.169:                              ;   in Loop: Header=BB4_124 Depth=2
	v_cmp_ne_u16_sdwa vcc, v2, s76 src0_sel:BYTE_0 src1_sel:DWORD
	v_bfrev_b32_e32 v0, 1
	s_and_saveexec_b64 s[56:57], vcc
	s_cbranch_execz .LBB4_173
; %bb.170:                              ;   in Loop: Header=BB4_124 Depth=2
	v_bfe_u32 v3, v10, 16, 7
	v_cmp_ne_u32_e32 vcc, s75, v3
	v_mov_b32_e32 v0, 0x7f800001
	s_and_saveexec_b64 s[58:59], vcc
	s_cbranch_execz .LBB4_172
; %bb.171:                              ;   in Loop: Header=BB4_124 Depth=2
	v_and_b32_e32 v0, 7, v2
	v_ffbh_u32_e32 v4, v0
	v_min_u32_e32 v8, 32, v4
	v_subrev_u32_e32 v4, 28, v8
	v_lshlrev_b64 v[4:5], v4, v[2:3]
	v_lshrrev_b32_e32 v6, 3, v3
	v_sub_u32_e32 v5, 29, v8
	v_and_b32_e32 v4, 7, v4
	v_cmp_gt_u32_e32 vcc, 8, v3
	v_cndmask_b32_e32 v3, v6, v5, vcc
	v_cndmask_b32_e32 v0, v0, v4, vcc
	v_lshlrev_b32_e32 v2, 24, v2
	v_bfrev_b32_e32 v4, 60
	v_lshlrev_b32_e32 v0, 20, v0
	v_and_b32_e32 v2, 0x80000000, v2
	v_lshl_add_u32 v3, v3, 23, v4
	v_or3_b32 v0, v2, v3, v0
.LBB4_172:                              ;   in Loop: Header=BB4_124 Depth=2
	s_or_b64 exec, exec, s[58:59]
.LBB4_173:                              ;   in Loop: Header=BB4_124 Depth=2
	s_or_b64 exec, exec, s[56:57]
.LBB4_174:                              ;   in Loop: Header=BB4_124 Depth=2
	s_or_b64 exec, exec, s[22:23]
	v_mul_f32_e32 v3, v7, v0
	v_and_b32_sdwa v0, v3, s76 dst_sel:DWORD dst_unused:UNUSED_PAD src0_sel:BYTE_3 src1_sel:DWORD
	v_and_b32_e32 v4, 0x7f800000, v3
	v_mov_b32_e32 v5, v39
	v_and_b32_e32 v38, 0x7fffff, v3
	v_or_b32_e32 v2, 0x7e, v0
	v_cmp_ne_u64_e32 vcc, s[42:43], v[4:5]
	s_and_saveexec_b64 s[22:23], vcc
	s_xor_b64 s[56:57], exec, s[22:23]
	s_cbranch_execz .LBB4_184
; %bb.175:                              ;   in Loop: Header=BB4_124 Depth=2
	v_and_b32_e32 v4, 0x7fffffff, v3
	v_mov_b32_e32 v5, v39
	v_cmp_gt_u64_e32 vcc, s[44:45], v[4:5]
	s_and_saveexec_b64 s[58:59], vcc
	s_cbranch_execz .LBB4_183
; %bb.176:                              ;   in Loop: Header=BB4_124 Depth=2
	v_cmp_ne_u32_e32 vcc, 0, v3
	v_mov_b32_e32 v2, 0
	s_and_saveexec_b64 s[60:61], vcc
	s_cbranch_execz .LBB4_182
; %bb.177:                              ;   in Loop: Header=BB4_124 Depth=2
	v_bfe_u32 v2, v3, 23, 8
	v_sub_u32_e32 v4, 0x79, v2
	v_cmp_gt_u32_e32 vcc, s77, v2
	v_add_u32_e32 v3, 0xffffff81, v2
	v_cndmask_b32_e32 v4, 0, v4, vcc
	v_cmp_eq_u32_e32 vcc, 0, v2
	v_mov_b32_e32 v2, 0xffffff82
	v_cndmask_b32_e32 v6, v3, v2, vcc
	v_mov_b32_e32 v2, 0x78
	v_or_b32_e32 v5, 0x800000, v38
	v_cndmask_b32_e32 v4, v4, v2, vcc
	v_cndmask_b32_e32 v38, v5, v38, vcc
	v_add_u32_e32 v2, 20, v4
	v_lshlrev_b64 v[2:3], v2, -1
	v_add_u32_e32 v5, 19, v4
	v_lshrrev_b64 v[16:17], v4, v[38:39]
	v_not_b32_e32 v3, v3
	v_not_b32_e32 v2, v2
	v_lshlrev_b64 v[14:15], v5, 1
	v_lshrrev_b32_e32 v5, 23, v16
	v_and_b32_e32 v3, 0, v3
	v_and_b32_e32 v2, v38, v2
	v_add3_u32 v6, v4, v6, v5
	v_bfe_u32 v4, v16, 20, 1
	v_add_u32_e32 v4, -1, v4
	v_cmp_eq_u64_e32 vcc, v[2:3], v[14:15]
	v_cndmask_b32_e32 v2, 0, v4, vcc
	v_add_u32_e32 v2, v2, v16
	v_and_b32_e32 v2, 0xfffff, v2
	v_add_co_u32_e32 v2, vcc, v2, v16
	v_add_u32_e32 v5, 6, v6
	v_addc_co_u32_e32 v3, vcc, 0, v17, vcc
	v_cmp_ne_u32_e32 vcc, 0, v5
                                        ; implicit-def: $vgpr4
	s_and_saveexec_b64 s[22:23], vcc
	s_xor_b64 s[22:23], exec, s[22:23]
; %bb.178:                              ;   in Loop: Header=BB4_124 Depth=2
	v_add_u32_e32 v4, 7, v6
	v_cmp_lt_u64_e32 vcc, s[48:49], v[2:3]
	v_cndmask_b32_e32 v4, v5, v4, vcc
	v_cndmask_b32_e64 v5, 0, 1, vcc
	v_lshrrev_b64 v[2:3], v5, v[2:3]
; %bb.179:                              ;   in Loop: Header=BB4_124 Depth=2
	s_andn2_saveexec_b64 s[22:23], s[22:23]
; %bb.180:                              ;   in Loop: Header=BB4_124 Depth=2
	v_bfe_u32 v4, v2, 23, 1
; %bb.181:                              ;   in Loop: Header=BB4_124 Depth=2
	s_or_b64 exec, exec, s[22:23]
	v_lshrrev_b64 v[2:3], 20, v[2:3]
	v_cmp_gt_i32_e32 vcc, 16, v4
	v_cndmask_b32_e32 v3, 0, v3, vcc
	v_cndmask_b32_e32 v2, 7, v2, vcc
	v_cmp_eq_u64_e64 s[22:23], 0, v[2:3]
	v_min_i32_e32 v3, 15, v4
	v_cmp_eq_u32_e32 vcc, 0, v4
	v_lshlrev_b32_e32 v3, 3, v3
	v_and_or_b32 v2, v2, 7, v3
	s_and_b64 s[22:23], vcc, s[22:23]
	v_cndmask_b32_e64 v2, v2, 0, s[22:23]
	v_or_b32_e32 v2, v2, v0
.LBB4_182:                              ;   in Loop: Header=BB4_124 Depth=2
	s_or_b64 exec, exec, s[60:61]
.LBB4_183:                              ;   in Loop: Header=BB4_124 Depth=2
	s_or_b64 exec, exec, s[58:59]
                                        ; implicit-def: $vgpr3
.LBB4_184:                              ;   in Loop: Header=BB4_124 Depth=2
	s_andn2_saveexec_b64 s[22:23], s[56:57]
; %bb.185:                              ;   in Loop: Header=BB4_124 Depth=2
	v_or_b32_sdwa v0, v3, s75 dst_sel:DWORD dst_unused:UNUSED_PAD src0_sel:BYTE_3 src1_sel:DWORD
	v_cmp_eq_u64_e32 vcc, 0, v[38:39]
	v_cndmask_b32_e32 v2, v0, v2, vcc
; %bb.186:                              ;   in Loop: Header=BB4_124 Depth=2
	s_or_b64 exec, exec, s[22:23]
	v_cmp_lt_u32_e32 vcc, s47, v10
	v_mov_b32_e32 v0, 0
	s_and_saveexec_b64 s[22:23], vcc
	s_cbranch_execz .LBB4_192
; %bb.187:                              ;   in Loop: Header=BB4_124 Depth=2
	v_lshrrev_b32_e32 v14, 24, v10
	v_cmp_ne_u32_e32 vcc, s76, v14
	v_bfrev_b32_e32 v0, 1
	s_and_saveexec_b64 s[56:57], vcc
	s_cbranch_execz .LBB4_191
; %bb.188:                              ;   in Loop: Header=BB4_124 Depth=2
	v_bfe_u32 v3, v10, 24, 7
	v_cmp_ne_u32_e32 vcc, s75, v3
	v_mov_b32_e32 v0, 0x7f800001
	s_and_saveexec_b64 s[58:59], vcc
	s_cbranch_execz .LBB4_190
; %bb.189:                              ;   in Loop: Header=BB4_124 Depth=2
	v_and_b32_e32 v0, 7, v14
	v_ffbh_u32_e32 v4, v0
	v_min_u32_e32 v8, 32, v4
	v_subrev_u32_e32 v4, 28, v8
	v_lshlrev_b64 v[4:5], v4, v[14:15]
	v_lshrrev_b32_e32 v6, 3, v3
	v_sub_u32_e32 v5, 29, v8
	v_and_b32_e32 v4, 7, v4
	v_cmp_gt_u32_e32 vcc, 8, v3
	v_cndmask_b32_e32 v3, v6, v5, vcc
	v_cndmask_b32_e32 v0, v0, v4, vcc
	v_lshlrev_b32_e32 v4, 24, v14
	v_bfrev_b32_e32 v5, 60
	v_lshlrev_b32_e32 v0, 20, v0
	v_and_b32_e32 v4, 0x80000000, v4
	v_lshl_add_u32 v3, v3, 23, v5
	v_or3_b32 v0, v4, v3, v0
.LBB4_190:                              ;   in Loop: Header=BB4_124 Depth=2
	s_or_b64 exec, exec, s[58:59]
.LBB4_191:                              ;   in Loop: Header=BB4_124 Depth=2
	s_or_b64 exec, exec, s[56:57]
.LBB4_192:                              ;   in Loop: Header=BB4_124 Depth=2
	s_or_b64 exec, exec, s[22:23]
	v_mul_f32_e32 v3, v7, v0
	v_and_b32_sdwa v0, v3, s76 dst_sel:DWORD dst_unused:UNUSED_PAD src0_sel:BYTE_3 src1_sel:DWORD
	v_and_b32_e32 v4, 0x7f800000, v3
	v_mov_b32_e32 v5, v39
	v_and_b32_e32 v38, 0x7fffff, v3
	v_or_b32_e32 v30, 0x7e, v0
	v_cmp_ne_u64_e32 vcc, s[42:43], v[4:5]
	s_and_saveexec_b64 s[22:23], vcc
	s_xor_b64 s[56:57], exec, s[22:23]
	s_cbranch_execz .LBB4_202
; %bb.193:                              ;   in Loop: Header=BB4_124 Depth=2
	v_and_b32_e32 v4, 0x7fffffff, v3
	v_mov_b32_e32 v5, v39
	v_cmp_gt_u64_e32 vcc, s[44:45], v[4:5]
	s_and_saveexec_b64 s[58:59], vcc
	s_cbranch_execz .LBB4_201
; %bb.194:                              ;   in Loop: Header=BB4_124 Depth=2
	v_cmp_ne_u32_e32 vcc, 0, v3
	v_mov_b32_e32 v30, 0
	s_and_saveexec_b64 s[60:61], vcc
	s_cbranch_execz .LBB4_200
; %bb.195:                              ;   in Loop: Header=BB4_124 Depth=2
	v_bfe_u32 v3, v3, 23, 8
	v_sub_u32_e32 v5, 0x79, v3
	v_cmp_gt_u32_e32 vcc, s77, v3
	v_add_u32_e32 v4, 0xffffff81, v3
	v_cndmask_b32_e32 v5, 0, v5, vcc
	v_cmp_eq_u32_e32 vcc, 0, v3
	v_mov_b32_e32 v3, 0xffffff82
	v_cndmask_b32_e32 v3, v4, v3, vcc
	v_mov_b32_e32 v4, 0x78
	v_cndmask_b32_e32 v8, v5, v4, vcc
	v_add_u32_e32 v4, 20, v8
	v_or_b32_e32 v6, 0x800000, v38
	v_lshlrev_b64 v[4:5], v4, -1
	v_cndmask_b32_e32 v38, v6, v38, vcc
	v_not_b32_e32 v4, v4
	v_and_b32_e32 v14, v38, v4
	v_add_u32_e32 v4, 19, v8
	v_lshrrev_b64 v[22:23], v8, v[38:39]
	v_not_b32_e32 v5, v5
	v_lshlrev_b64 v[16:17], v4, 1
	v_lshrrev_b32_e32 v4, 23, v22
	v_and_b32_e32 v15, 0, v5
	v_add3_u32 v5, v8, v3, v4
	v_bfe_u32 v3, v22, 20, 1
	v_add_u32_e32 v3, -1, v3
	v_cmp_eq_u64_e32 vcc, v[14:15], v[16:17]
	v_cndmask_b32_e32 v3, 0, v3, vcc
	v_add_u32_e32 v3, v3, v22
	v_and_b32_e32 v3, 0xfffff, v3
	v_add_co_u32_e32 v14, vcc, v3, v22
	v_add_u32_e32 v4, 6, v5
	v_addc_co_u32_e32 v15, vcc, 0, v23, vcc
	v_cmp_ne_u32_e32 vcc, 0, v4
                                        ; implicit-def: $vgpr3
	s_and_saveexec_b64 s[22:23], vcc
	s_xor_b64 s[22:23], exec, s[22:23]
; %bb.196:                              ;   in Loop: Header=BB4_124 Depth=2
	v_add_u32_e32 v3, 7, v5
	v_cmp_lt_u64_e32 vcc, s[48:49], v[14:15]
	v_cndmask_b32_e32 v3, v4, v3, vcc
	v_cndmask_b32_e64 v4, 0, 1, vcc
	v_lshrrev_b64 v[14:15], v4, v[14:15]
; %bb.197:                              ;   in Loop: Header=BB4_124 Depth=2
	s_andn2_saveexec_b64 s[22:23], s[22:23]
; %bb.198:                              ;   in Loop: Header=BB4_124 Depth=2
	v_bfe_u32 v3, v14, 23, 1
; %bb.199:                              ;   in Loop: Header=BB4_124 Depth=2
	s_or_b64 exec, exec, s[22:23]
	v_lshrrev_b64 v[4:5], 20, v[14:15]
	v_cmp_gt_i32_e32 vcc, 16, v3
	v_cndmask_b32_e32 v5, 0, v5, vcc
	v_cndmask_b32_e32 v4, 7, v4, vcc
	v_cmp_eq_u32_e32 vcc, 0, v3
	v_min_i32_e32 v3, 15, v3
	v_cmp_eq_u64_e64 s[22:23], 0, v[4:5]
	v_lshlrev_b32_e32 v3, 3, v3
	v_and_or_b32 v3, v4, 7, v3
	s_and_b64 s[22:23], vcc, s[22:23]
	v_cndmask_b32_e64 v3, v3, 0, s[22:23]
	v_or_b32_e32 v30, v3, v0
.LBB4_200:                              ;   in Loop: Header=BB4_124 Depth=2
	s_or_b64 exec, exec, s[60:61]
.LBB4_201:                              ;   in Loop: Header=BB4_124 Depth=2
	s_or_b64 exec, exec, s[58:59]
                                        ; implicit-def: $vgpr3
.LBB4_202:                              ;   in Loop: Header=BB4_124 Depth=2
	s_andn2_saveexec_b64 s[22:23], s[56:57]
; %bb.203:                              ;   in Loop: Header=BB4_124 Depth=2
	v_or_b32_sdwa v0, v3, s75 dst_sel:DWORD dst_unused:UNUSED_PAD src0_sel:BYTE_3 src1_sel:DWORD
	v_cmp_eq_u64_e32 vcc, 0, v[38:39]
	v_cndmask_b32_e32 v30, v0, v30, vcc
; %bb.204:                              ;   in Loop: Header=BB4_124 Depth=2
	s_or_b64 exec, exec, s[22:23]
	v_mov_b32_e32 v38, v11
	v_cmp_ne_u16_sdwa vcc, v11, v39 src0_sel:BYTE_0 src1_sel:DWORD
	v_mov_b32_e32 v0, 0
	s_and_saveexec_b64 s[22:23], vcc
	s_cbranch_execz .LBB4_210
; %bb.205:                              ;   in Loop: Header=BB4_124 Depth=2
	v_cmp_ne_u16_sdwa vcc, v11, s76 src0_sel:BYTE_0 src1_sel:DWORD
	v_bfrev_b32_e32 v0, 1
	s_and_saveexec_b64 s[56:57], vcc
	s_cbranch_execz .LBB4_209
; %bb.206:                              ;   in Loop: Header=BB4_124 Depth=2
	v_and_b32_e32 v3, 0x7f, v11
	v_cmp_ne_u32_e32 vcc, s75, v3
	v_mov_b32_e32 v0, 0x7f800001
	s_and_saveexec_b64 s[58:59], vcc
	s_cbranch_execz .LBB4_208
; %bb.207:                              ;   in Loop: Header=BB4_124 Depth=2
	v_and_b32_e32 v0, 7, v11
	v_ffbh_u32_e32 v0, v0
	v_min_u32_e32 v0, 32, v0
	v_subrev_u32_e32 v5, 28, v0
	v_cmp_gt_u32_e32 vcc, 8, v3
	v_lshrrev_b32_e32 v4, 3, v3
	v_sub_u32_e32 v0, 29, v0
	v_cndmask_b32_e32 v3, 0, v5, vcc
	v_cndmask_b32_e32 v0, v4, v0, vcc
	v_lshlrev_b64 v[4:5], v3, v[38:39]
	v_lshlrev_b32_e32 v3, 20, v4
	v_lshlrev_b32_e32 v4, 24, v38
	v_bfrev_b32_e32 v5, 60
	v_and_b32_e32 v3, 0x700000, v3
	v_and_b32_e32 v4, 0x80000000, v4
	v_lshl_add_u32 v0, v0, 23, v5
	v_or3_b32 v0, v4, v0, v3
.LBB4_208:                              ;   in Loop: Header=BB4_124 Depth=2
	s_or_b64 exec, exec, s[58:59]
.LBB4_209:                              ;   in Loop: Header=BB4_124 Depth=2
	s_or_b64 exec, exec, s[56:57]
.LBB4_210:                              ;   in Loop: Header=BB4_124 Depth=2
	s_or_b64 exec, exec, s[22:23]
	v_mul_f32_e32 v3, v7, v0
	v_and_b32_sdwa v0, v3, s76 dst_sel:DWORD dst_unused:UNUSED_PAD src0_sel:BYTE_3 src1_sel:DWORD
	v_and_b32_e32 v4, 0x7f800000, v3
	v_mov_b32_e32 v5, v39
	v_and_b32_e32 v14, 0x7fffff, v3
	v_mov_b32_e32 v15, v39
	v_or_b32_e32 v62, 0x7e, v0
	v_cmp_ne_u64_e32 vcc, s[42:43], v[4:5]
	s_and_saveexec_b64 s[22:23], vcc
	s_xor_b64 s[56:57], exec, s[22:23]
	s_cbranch_execz .LBB4_220
; %bb.211:                              ;   in Loop: Header=BB4_124 Depth=2
	v_and_b32_e32 v4, 0x7fffffff, v3
	v_mov_b32_e32 v5, v39
	v_cmp_gt_u64_e32 vcc, s[44:45], v[4:5]
	s_and_saveexec_b64 s[58:59], vcc
	s_cbranch_execz .LBB4_219
; %bb.212:                              ;   in Loop: Header=BB4_124 Depth=2
	v_cmp_ne_u32_e32 vcc, 0, v3
	v_mov_b32_e32 v62, 0
	s_and_saveexec_b64 s[60:61], vcc
	s_cbranch_execz .LBB4_218
; %bb.213:                              ;   in Loop: Header=BB4_124 Depth=2
	v_bfe_u32 v3, v3, 23, 8
	v_sub_u32_e32 v5, 0x79, v3
	v_cmp_gt_u32_e32 vcc, s77, v3
	v_add_u32_e32 v4, 0xffffff81, v3
	v_cndmask_b32_e32 v5, 0, v5, vcc
	v_cmp_eq_u32_e32 vcc, 0, v3
	v_mov_b32_e32 v3, 0xffffff82
	v_cndmask_b32_e32 v3, v4, v3, vcc
	v_mov_b32_e32 v4, 0x78
	v_cndmask_b32_e32 v8, v5, v4, vcc
	v_add_u32_e32 v4, 20, v8
	v_or_b32_e32 v6, 0x800000, v14
	v_lshlrev_b64 v[4:5], v4, -1
	v_cndmask_b32_e32 v14, v6, v14, vcc
	v_not_b32_e32 v4, v4
	v_and_b32_e32 v16, v14, v4
	v_add_u32_e32 v4, 19, v8
	v_lshrrev_b64 v[14:15], v8, v[14:15]
	v_not_b32_e32 v5, v5
	v_lshlrev_b64 v[22:23], v4, 1
	v_lshrrev_b32_e32 v4, 23, v14
	v_and_b32_e32 v17, 0, v5
	v_add3_u32 v5, v8, v3, v4
	v_bfe_u32 v3, v14, 20, 1
	v_add_u32_e32 v3, -1, v3
	v_cmp_eq_u64_e32 vcc, v[16:17], v[22:23]
	v_cndmask_b32_e32 v3, 0, v3, vcc
	v_add_u32_e32 v3, v3, v14
	v_and_b32_e32 v3, 0xfffff, v3
	v_add_co_u32_e32 v14, vcc, v3, v14
	v_add_u32_e32 v4, 6, v5
	v_addc_co_u32_e32 v15, vcc, 0, v15, vcc
	v_cmp_ne_u32_e32 vcc, 0, v4
                                        ; implicit-def: $vgpr3
	s_and_saveexec_b64 s[22:23], vcc
	s_xor_b64 s[22:23], exec, s[22:23]
; %bb.214:                              ;   in Loop: Header=BB4_124 Depth=2
	v_add_u32_e32 v3, 7, v5
	v_cmp_lt_u64_e32 vcc, s[48:49], v[14:15]
	v_cndmask_b32_e32 v3, v4, v3, vcc
	v_cndmask_b32_e64 v4, 0, 1, vcc
	v_lshrrev_b64 v[14:15], v4, v[14:15]
; %bb.215:                              ;   in Loop: Header=BB4_124 Depth=2
	s_andn2_saveexec_b64 s[22:23], s[22:23]
; %bb.216:                              ;   in Loop: Header=BB4_124 Depth=2
	v_bfe_u32 v3, v14, 23, 1
; %bb.217:                              ;   in Loop: Header=BB4_124 Depth=2
	s_or_b64 exec, exec, s[22:23]
	v_lshrrev_b64 v[4:5], 20, v[14:15]
	v_cmp_gt_i32_e32 vcc, 16, v3
	v_cndmask_b32_e32 v5, 0, v5, vcc
	v_cndmask_b32_e32 v4, 7, v4, vcc
	v_cmp_eq_u32_e32 vcc, 0, v3
	v_min_i32_e32 v3, 15, v3
	v_cmp_eq_u64_e64 s[22:23], 0, v[4:5]
	v_lshlrev_b32_e32 v3, 3, v3
	v_and_or_b32 v3, v4, 7, v3
	s_and_b64 s[22:23], vcc, s[22:23]
	v_cndmask_b32_e64 v3, v3, 0, s[22:23]
	v_or_b32_e32 v62, v3, v0
.LBB4_218:                              ;   in Loop: Header=BB4_124 Depth=2
	s_or_b64 exec, exec, s[60:61]
.LBB4_219:                              ;   in Loop: Header=BB4_124 Depth=2
	s_or_b64 exec, exec, s[58:59]
                                        ; implicit-def: $vgpr3
                                        ; implicit-def: $vgpr14_vgpr15
.LBB4_220:                              ;   in Loop: Header=BB4_124 Depth=2
	s_andn2_saveexec_b64 s[22:23], s[56:57]
; %bb.221:                              ;   in Loop: Header=BB4_124 Depth=2
	v_or_b32_sdwa v0, v3, s75 dst_sel:DWORD dst_unused:UNUSED_PAD src0_sel:BYTE_3 src1_sel:DWORD
	v_cmp_eq_u64_e32 vcc, 0, v[14:15]
	v_cndmask_b32_e32 v62, v0, v62, vcc
; %bb.222:                              ;   in Loop: Header=BB4_124 Depth=2
	s_or_b64 exec, exec, s[22:23]
	v_lshrrev_b16_e32 v14, 8, v38
	v_cmp_ne_u16_e32 vcc, 0, v14
	v_mov_b32_e32 v0, 0
	s_and_saveexec_b64 s[22:23], vcc
	s_cbranch_execz .LBB4_228
; %bb.223:                              ;   in Loop: Header=BB4_124 Depth=2
	v_cmp_ne_u16_e32 vcc, s76, v14
	v_bfrev_b32_e32 v0, 1
	s_and_saveexec_b64 s[56:57], vcc
	s_cbranch_execz .LBB4_227
; %bb.224:                              ;   in Loop: Header=BB4_124 Depth=2
	v_and_b32_e32 v3, 0x7f, v14
	v_cmp_ne_u32_e32 vcc, s75, v3
	v_mov_b32_e32 v0, 0x7f800001
	s_and_saveexec_b64 s[58:59], vcc
	s_cbranch_execz .LBB4_226
; %bb.225:                              ;   in Loop: Header=BB4_124 Depth=2
	v_and_b32_e32 v0, 7, v14
	v_ffbh_u32_e32 v4, v0
	v_min_u32_e32 v8, 32, v4
	v_subrev_u32_e32 v4, 28, v8
	v_lshlrev_b64 v[4:5], v4, v[14:15]
	v_lshrrev_b32_e32 v6, 3, v3
	v_sub_u32_e32 v5, 29, v8
	v_and_b32_e32 v4, 7, v4
	v_cmp_gt_u32_e32 vcc, 8, v3
	v_cndmask_b32_e32 v3, v6, v5, vcc
	v_cndmask_b32_e32 v0, v0, v4, vcc
	v_lshlrev_b32_e32 v4, 16, v38
	v_bfrev_b32_e32 v5, 60
	v_lshlrev_b32_e32 v0, 20, v0
	v_and_b32_e32 v4, 0x80000000, v4
	v_lshl_add_u32 v3, v3, 23, v5
	v_or3_b32 v0, v4, v3, v0
.LBB4_226:                              ;   in Loop: Header=BB4_124 Depth=2
	s_or_b64 exec, exec, s[58:59]
.LBB4_227:                              ;   in Loop: Header=BB4_124 Depth=2
	s_or_b64 exec, exec, s[56:57]
.LBB4_228:                              ;   in Loop: Header=BB4_124 Depth=2
	s_or_b64 exec, exec, s[22:23]
	v_mul_f32_e32 v3, v7, v0
	v_and_b32_sdwa v0, v3, s76 dst_sel:DWORD dst_unused:UNUSED_PAD src0_sel:BYTE_3 src1_sel:DWORD
	v_and_b32_e32 v4, 0x7f800000, v3
	v_mov_b32_e32 v5, v39
	v_and_b32_e32 v38, 0x7fffff, v3
	v_or_b32_e32 v6, 0x7e, v0
	v_cmp_ne_u64_e32 vcc, s[42:43], v[4:5]
	s_and_saveexec_b64 s[22:23], vcc
	s_xor_b64 s[56:57], exec, s[22:23]
	s_cbranch_execz .LBB4_238
; %bb.229:                              ;   in Loop: Header=BB4_124 Depth=2
	v_and_b32_e32 v4, 0x7fffffff, v3
	v_mov_b32_e32 v5, v39
	v_cmp_gt_u64_e32 vcc, s[44:45], v[4:5]
	s_and_saveexec_b64 s[58:59], vcc
	s_cbranch_execz .LBB4_237
; %bb.230:                              ;   in Loop: Header=BB4_124 Depth=2
	v_cmp_ne_u32_e32 vcc, 0, v3
	v_mov_b32_e32 v6, 0
	s_and_saveexec_b64 s[60:61], vcc
	s_cbranch_execz .LBB4_236
; %bb.231:                              ;   in Loop: Header=BB4_124 Depth=2
	v_bfe_u32 v3, v3, 23, 8
	v_sub_u32_e32 v5, 0x79, v3
	v_cmp_gt_u32_e32 vcc, s77, v3
	v_add_u32_e32 v4, 0xffffff81, v3
	v_cndmask_b32_e32 v5, 0, v5, vcc
	v_cmp_eq_u32_e32 vcc, 0, v3
	v_mov_b32_e32 v3, 0xffffff82
	v_cndmask_b32_e32 v3, v4, v3, vcc
	v_mov_b32_e32 v4, 0x78
	v_cndmask_b32_e32 v8, v5, v4, vcc
	v_add_u32_e32 v4, 20, v8
	v_or_b32_e32 v6, 0x800000, v38
	v_lshlrev_b64 v[4:5], v4, -1
	v_cndmask_b32_e32 v38, v6, v38, vcc
	v_not_b32_e32 v4, v4
	v_and_b32_e32 v14, v38, v4
	v_add_u32_e32 v4, 19, v8
	v_lshrrev_b64 v[22:23], v8, v[38:39]
	v_not_b32_e32 v5, v5
	v_lshlrev_b64 v[16:17], v4, 1
	v_lshrrev_b32_e32 v4, 23, v22
	v_and_b32_e32 v15, 0, v5
	v_add3_u32 v5, v8, v3, v4
	v_bfe_u32 v3, v22, 20, 1
	v_add_u32_e32 v3, -1, v3
	v_cmp_eq_u64_e32 vcc, v[14:15], v[16:17]
	v_cndmask_b32_e32 v3, 0, v3, vcc
	v_add_u32_e32 v3, v3, v22
	v_and_b32_e32 v3, 0xfffff, v3
	v_add_co_u32_e32 v14, vcc, v3, v22
	v_add_u32_e32 v4, 6, v5
	v_addc_co_u32_e32 v15, vcc, 0, v23, vcc
	v_cmp_ne_u32_e32 vcc, 0, v4
                                        ; implicit-def: $vgpr3
	s_and_saveexec_b64 s[22:23], vcc
	s_xor_b64 s[22:23], exec, s[22:23]
; %bb.232:                              ;   in Loop: Header=BB4_124 Depth=2
	v_add_u32_e32 v3, 7, v5
	v_cmp_lt_u64_e32 vcc, s[48:49], v[14:15]
	v_cndmask_b32_e32 v3, v4, v3, vcc
	v_cndmask_b32_e64 v4, 0, 1, vcc
	v_lshrrev_b64 v[14:15], v4, v[14:15]
; %bb.233:                              ;   in Loop: Header=BB4_124 Depth=2
	s_andn2_saveexec_b64 s[22:23], s[22:23]
; %bb.234:                              ;   in Loop: Header=BB4_124 Depth=2
	v_bfe_u32 v3, v14, 23, 1
; %bb.235:                              ;   in Loop: Header=BB4_124 Depth=2
	s_or_b64 exec, exec, s[22:23]
	v_lshrrev_b64 v[4:5], 20, v[14:15]
	v_cmp_gt_i32_e32 vcc, 16, v3
	v_cndmask_b32_e32 v5, 0, v5, vcc
	v_cndmask_b32_e32 v4, 7, v4, vcc
	v_cmp_eq_u32_e32 vcc, 0, v3
	v_min_i32_e32 v3, 15, v3
	v_lshlrev_b32_e32 v3, 3, v3
	v_cmp_eq_u64_e64 s[22:23], 0, v[4:5]
	v_and_b32_e32 v3, 0xf8, v3
	v_and_or_b32 v3, v4, 7, v3
	s_and_b64 s[22:23], vcc, s[22:23]
	v_cndmask_b32_e64 v3, v3, 0, s[22:23]
	v_or_b32_e32 v6, v3, v0
.LBB4_236:                              ;   in Loop: Header=BB4_124 Depth=2
	s_or_b64 exec, exec, s[60:61]
.LBB4_237:                              ;   in Loop: Header=BB4_124 Depth=2
	s_or_b64 exec, exec, s[58:59]
                                        ; implicit-def: $vgpr3
.LBB4_238:                              ;   in Loop: Header=BB4_124 Depth=2
	s_andn2_saveexec_b64 s[22:23], s[56:57]
; %bb.239:                              ;   in Loop: Header=BB4_124 Depth=2
	v_or_b32_sdwa v0, v3, s75 dst_sel:DWORD dst_unused:UNUSED_PAD src0_sel:BYTE_3 src1_sel:DWORD
	v_cmp_eq_u64_e32 vcc, 0, v[38:39]
	v_cndmask_b32_e32 v6, v0, v6, vcc
; %bb.240:                              ;   in Loop: Header=BB4_124 Depth=2
	s_or_b64 exec, exec, s[22:23]
	v_lshrrev_b32_e32 v14, 16, v11
	v_cmp_ne_u16_sdwa vcc, v14, v39 src0_sel:BYTE_0 src1_sel:DWORD
	v_mov_b32_e32 v0, 0
	s_and_saveexec_b64 s[22:23], vcc
	s_cbranch_execz .LBB4_246
; %bb.241:                              ;   in Loop: Header=BB4_124 Depth=2
	v_cmp_ne_u16_sdwa vcc, v14, s76 src0_sel:BYTE_0 src1_sel:DWORD
	v_bfrev_b32_e32 v0, 1
	s_and_saveexec_b64 s[56:57], vcc
	s_cbranch_execz .LBB4_245
; %bb.242:                              ;   in Loop: Header=BB4_124 Depth=2
	v_bfe_u32 v3, v11, 16, 7
	v_cmp_ne_u32_e32 vcc, s75, v3
	v_mov_b32_e32 v0, 0x7f800001
	s_and_saveexec_b64 s[58:59], vcc
	s_cbranch_execz .LBB4_244
; %bb.243:                              ;   in Loop: Header=BB4_124 Depth=2
	v_and_b32_e32 v0, 7, v14
	v_ffbh_u32_e32 v4, v0
	v_min_u32_e32 v15, 32, v4
	v_subrev_u32_e32 v4, 28, v15
	v_lshlrev_b64 v[4:5], v4, v[14:15]
	v_lshrrev_b32_e32 v8, 3, v3
	v_sub_u32_e32 v5, 29, v15
	v_and_b32_e32 v4, 7, v4
	v_cmp_gt_u32_e32 vcc, 8, v3
	v_cndmask_b32_e32 v3, v8, v5, vcc
	v_cndmask_b32_e32 v0, v0, v4, vcc
	v_lshlrev_b32_e32 v4, 24, v14
	v_bfrev_b32_e32 v5, 60
	v_lshlrev_b32_e32 v0, 20, v0
	v_and_b32_e32 v4, 0x80000000, v4
	v_lshl_add_u32 v3, v3, 23, v5
	v_or3_b32 v0, v4, v3, v0
.LBB4_244:                              ;   in Loop: Header=BB4_124 Depth=2
	s_or_b64 exec, exec, s[58:59]
.LBB4_245:                              ;   in Loop: Header=BB4_124 Depth=2
	s_or_b64 exec, exec, s[56:57]
.LBB4_246:                              ;   in Loop: Header=BB4_124 Depth=2
	s_or_b64 exec, exec, s[22:23]
	v_mul_f32_e32 v3, v7, v0
	v_and_b32_sdwa v0, v3, s76 dst_sel:DWORD dst_unused:UNUSED_PAD src0_sel:BYTE_3 src1_sel:DWORD
	v_and_b32_e32 v4, 0x7f800000, v3
	v_mov_b32_e32 v5, v39
	v_and_b32_e32 v38, 0x7fffff, v3
	v_or_b32_e32 v8, 0x7e, v0
	v_cmp_ne_u64_e32 vcc, s[42:43], v[4:5]
	s_and_saveexec_b64 s[22:23], vcc
	s_xor_b64 s[56:57], exec, s[22:23]
	s_cbranch_execz .LBB4_256
; %bb.247:                              ;   in Loop: Header=BB4_124 Depth=2
	v_and_b32_e32 v4, 0x7fffffff, v3
	v_mov_b32_e32 v5, v39
	v_cmp_gt_u64_e32 vcc, s[44:45], v[4:5]
	s_and_saveexec_b64 s[58:59], vcc
	s_cbranch_execz .LBB4_255
; %bb.248:                              ;   in Loop: Header=BB4_124 Depth=2
	v_cmp_ne_u32_e32 vcc, 0, v3
	v_mov_b32_e32 v8, 0
	s_and_saveexec_b64 s[60:61], vcc
	s_cbranch_execz .LBB4_254
; %bb.249:                              ;   in Loop: Header=BB4_124 Depth=2
	v_bfe_u32 v3, v3, 23, 8
	v_sub_u32_e32 v5, 0x79, v3
	v_cmp_gt_u32_e32 vcc, s77, v3
	v_add_u32_e32 v4, 0xffffff81, v3
	v_cndmask_b32_e32 v5, 0, v5, vcc
	v_cmp_eq_u32_e32 vcc, 0, v3
	v_mov_b32_e32 v3, 0xffffff82
	v_cndmask_b32_e32 v3, v4, v3, vcc
	v_mov_b32_e32 v4, 0x78
	v_cndmask_b32_e32 v18, v5, v4, vcc
	v_add_u32_e32 v4, 20, v18
	v_or_b32_e32 v8, 0x800000, v38
	v_lshlrev_b64 v[4:5], v4, -1
	v_cndmask_b32_e32 v38, v8, v38, vcc
	v_not_b32_e32 v4, v4
	v_and_b32_e32 v14, v38, v4
	v_add_u32_e32 v4, 19, v18
	v_lshrrev_b64 v[22:23], v18, v[38:39]
	v_not_b32_e32 v5, v5
	v_lshlrev_b64 v[16:17], v4, 1
	v_lshrrev_b32_e32 v4, 23, v22
	v_and_b32_e32 v15, 0, v5
	v_add3_u32 v5, v18, v3, v4
	v_bfe_u32 v3, v22, 20, 1
	v_add_u32_e32 v3, -1, v3
	v_cmp_eq_u64_e32 vcc, v[14:15], v[16:17]
	v_cndmask_b32_e32 v3, 0, v3, vcc
	v_add_u32_e32 v3, v3, v22
	v_and_b32_e32 v3, 0xfffff, v3
	v_add_co_u32_e32 v14, vcc, v3, v22
	v_add_u32_e32 v4, 6, v5
	v_addc_co_u32_e32 v15, vcc, 0, v23, vcc
	v_cmp_ne_u32_e32 vcc, 0, v4
                                        ; implicit-def: $vgpr3
	s_and_saveexec_b64 s[22:23], vcc
	s_xor_b64 s[22:23], exec, s[22:23]
; %bb.250:                              ;   in Loop: Header=BB4_124 Depth=2
	v_add_u32_e32 v3, 7, v5
	v_cmp_lt_u64_e32 vcc, s[48:49], v[14:15]
	v_cndmask_b32_e32 v3, v4, v3, vcc
	v_cndmask_b32_e64 v4, 0, 1, vcc
	v_lshrrev_b64 v[14:15], v4, v[14:15]
; %bb.251:                              ;   in Loop: Header=BB4_124 Depth=2
	s_andn2_saveexec_b64 s[22:23], s[22:23]
; %bb.252:                              ;   in Loop: Header=BB4_124 Depth=2
	v_bfe_u32 v3, v14, 23, 1
; %bb.253:                              ;   in Loop: Header=BB4_124 Depth=2
	s_or_b64 exec, exec, s[22:23]
	v_lshrrev_b64 v[4:5], 20, v[14:15]
	v_cmp_gt_i32_e32 vcc, 16, v3
	v_cndmask_b32_e32 v5, 0, v5, vcc
	v_cndmask_b32_e32 v4, 7, v4, vcc
	v_cmp_eq_u32_e32 vcc, 0, v3
	v_min_i32_e32 v3, 15, v3
	v_lshlrev_b32_e32 v3, 3, v3
	v_cmp_eq_u64_e64 s[22:23], 0, v[4:5]
	v_and_b32_e32 v3, 0xf8, v3
	v_and_or_b32 v3, v4, 7, v3
	s_and_b64 s[22:23], vcc, s[22:23]
	v_cndmask_b32_e64 v3, v3, 0, s[22:23]
	v_or_b32_e32 v8, v3, v0
.LBB4_254:                              ;   in Loop: Header=BB4_124 Depth=2
	s_or_b64 exec, exec, s[60:61]
.LBB4_255:                              ;   in Loop: Header=BB4_124 Depth=2
	s_or_b64 exec, exec, s[58:59]
                                        ; implicit-def: $vgpr3
.LBB4_256:                              ;   in Loop: Header=BB4_124 Depth=2
	s_andn2_saveexec_b64 s[22:23], s[56:57]
; %bb.257:                              ;   in Loop: Header=BB4_124 Depth=2
	v_or_b32_sdwa v0, v3, s75 dst_sel:DWORD dst_unused:UNUSED_PAD src0_sel:BYTE_3 src1_sel:DWORD
	v_cmp_eq_u64_e32 vcc, 0, v[38:39]
	v_cndmask_b32_e32 v8, v0, v8, vcc
; %bb.258:                              ;   in Loop: Header=BB4_124 Depth=2
	s_or_b64 exec, exec, s[22:23]
	v_cmp_lt_u64_e32 vcc, s[46:47], v[10:11]
	v_mov_b32_e32 v0, 0
	s_and_saveexec_b64 s[22:23], vcc
	s_cbranch_execz .LBB4_264
; %bb.259:                              ;   in Loop: Header=BB4_124 Depth=2
	v_lshrrev_b32_e32 v10, 24, v11
	v_cmp_ne_u32_e32 vcc, s76, v10
	v_bfrev_b32_e32 v0, 1
	s_and_saveexec_b64 s[56:57], vcc
	s_cbranch_execz .LBB4_263
; %bb.260:                              ;   in Loop: Header=BB4_124 Depth=2
	v_bfe_u32 v3, v11, 24, 7
	v_cmp_ne_u32_e32 vcc, s75, v3
	v_mov_b32_e32 v0, 0x7f800001
	s_and_saveexec_b64 s[58:59], vcc
	s_cbranch_execz .LBB4_262
; %bb.261:                              ;   in Loop: Header=BB4_124 Depth=2
	v_and_b32_e32 v0, 7, v10
	v_ffbh_u32_e32 v4, v0
	v_min_u32_e32 v14, 32, v4
	v_lshrrev_b32_e32 v11, 3, v3
	v_subrev_u32_e32 v4, 28, v14
	v_lshlrev_b64 v[4:5], v4, v[10:11]
	v_sub_u32_e32 v5, 29, v14
	v_and_b32_e32 v4, 7, v4
	v_cmp_gt_u32_e32 vcc, 8, v3
	v_cndmask_b32_e32 v3, v11, v5, vcc
	v_cndmask_b32_e32 v0, v0, v4, vcc
	v_lshlrev_b32_e32 v4, 24, v10
	v_bfrev_b32_e32 v5, 60
	v_lshlrev_b32_e32 v0, 20, v0
	v_and_b32_e32 v4, 0x80000000, v4
	v_lshl_add_u32 v3, v3, 23, v5
	v_or3_b32 v0, v4, v3, v0
.LBB4_262:                              ;   in Loop: Header=BB4_124 Depth=2
	s_or_b64 exec, exec, s[58:59]
.LBB4_263:                              ;   in Loop: Header=BB4_124 Depth=2
	s_or_b64 exec, exec, s[56:57]
.LBB4_264:                              ;   in Loop: Header=BB4_124 Depth=2
	s_or_b64 exec, exec, s[22:23]
	v_mul_f32_e32 v3, v7, v0
	v_and_b32_sdwa v0, v3, s76 dst_sel:DWORD dst_unused:UNUSED_PAD src0_sel:BYTE_3 src1_sel:DWORD
	v_and_b32_e32 v4, 0x7f800000, v3
	v_mov_b32_e32 v5, v39
	v_and_b32_e32 v38, 0x7fffff, v3
	v_or_b32_e32 v22, 0x7e, v0
	v_cmp_ne_u64_e32 vcc, s[42:43], v[4:5]
	s_and_saveexec_b64 s[22:23], vcc
	s_xor_b64 s[56:57], exec, s[22:23]
	s_cbranch_execz .LBB4_274
; %bb.265:                              ;   in Loop: Header=BB4_124 Depth=2
	v_and_b32_e32 v4, 0x7fffffff, v3
	v_mov_b32_e32 v5, v39
	v_cmp_gt_u64_e32 vcc, s[44:45], v[4:5]
	s_and_saveexec_b64 s[58:59], vcc
	s_cbranch_execz .LBB4_273
; %bb.266:                              ;   in Loop: Header=BB4_124 Depth=2
	v_cmp_ne_u32_e32 vcc, 0, v3
	v_mov_b32_e32 v22, 0
	s_and_saveexec_b64 s[60:61], vcc
	s_cbranch_execz .LBB4_272
; %bb.267:                              ;   in Loop: Header=BB4_124 Depth=2
	v_bfe_u32 v3, v3, 23, 8
	v_sub_u32_e32 v5, 0x79, v3
	v_cmp_gt_u32_e32 vcc, s77, v3
	v_add_u32_e32 v4, 0xffffff81, v3
	v_cndmask_b32_e32 v5, 0, v5, vcc
	v_cmp_eq_u32_e32 vcc, 0, v3
	v_mov_b32_e32 v3, 0xffffff82
	v_cndmask_b32_e32 v3, v4, v3, vcc
	v_mov_b32_e32 v4, 0x78
	v_cndmask_b32_e32 v18, v5, v4, vcc
	v_add_u32_e32 v4, 20, v18
	v_or_b32_e32 v10, 0x800000, v38
	v_lshlrev_b64 v[4:5], v4, -1
	v_cndmask_b32_e32 v38, v10, v38, vcc
	v_not_b32_e32 v4, v4
	v_and_b32_e32 v10, v38, v4
	v_add_u32_e32 v4, 19, v18
	v_lshrrev_b64 v[16:17], v18, v[38:39]
	v_not_b32_e32 v5, v5
	v_lshlrev_b64 v[14:15], v4, 1
	v_lshrrev_b32_e32 v4, 23, v16
	v_and_b32_e32 v11, 0, v5
	v_add3_u32 v5, v18, v3, v4
	v_bfe_u32 v3, v16, 20, 1
	v_add_u32_e32 v3, -1, v3
	v_cmp_eq_u64_e32 vcc, v[10:11], v[14:15]
	v_cndmask_b32_e32 v3, 0, v3, vcc
	v_add_u32_e32 v3, v3, v16
	v_and_b32_e32 v3, 0xfffff, v3
	v_add_co_u32_e32 v10, vcc, v3, v16
	v_add_u32_e32 v4, 6, v5
	v_addc_co_u32_e32 v11, vcc, 0, v17, vcc
	v_cmp_ne_u32_e32 vcc, 0, v4
                                        ; implicit-def: $vgpr3
	s_and_saveexec_b64 s[22:23], vcc
	s_xor_b64 s[22:23], exec, s[22:23]
; %bb.268:                              ;   in Loop: Header=BB4_124 Depth=2
	v_add_u32_e32 v3, 7, v5
	v_cmp_lt_u64_e32 vcc, s[48:49], v[10:11]
	v_cndmask_b32_e32 v3, v4, v3, vcc
	v_cndmask_b32_e64 v4, 0, 1, vcc
	v_lshrrev_b64 v[10:11], v4, v[10:11]
; %bb.269:                              ;   in Loop: Header=BB4_124 Depth=2
	s_andn2_saveexec_b64 s[22:23], s[22:23]
; %bb.270:                              ;   in Loop: Header=BB4_124 Depth=2
	v_bfe_u32 v3, v10, 23, 1
; %bb.271:                              ;   in Loop: Header=BB4_124 Depth=2
	s_or_b64 exec, exec, s[22:23]
	v_lshrrev_b64 v[4:5], 20, v[10:11]
	v_cmp_gt_i32_e32 vcc, 16, v3
	v_cndmask_b32_e32 v5, 0, v5, vcc
	v_cndmask_b32_e32 v4, 7, v4, vcc
	v_cmp_eq_u32_e32 vcc, 0, v3
	v_min_i32_e32 v3, 15, v3
	v_lshlrev_b32_e32 v3, 3, v3
	v_cmp_eq_u64_e64 s[22:23], 0, v[4:5]
	v_and_b32_e32 v3, 0xf8, v3
	v_and_or_b32 v3, v4, 7, v3
	s_and_b64 s[22:23], vcc, s[22:23]
	v_cndmask_b32_e64 v3, v3, 0, s[22:23]
	v_or_b32_e32 v22, v3, v0
.LBB4_272:                              ;   in Loop: Header=BB4_124 Depth=2
	s_or_b64 exec, exec, s[60:61]
.LBB4_273:                              ;   in Loop: Header=BB4_124 Depth=2
	s_or_b64 exec, exec, s[58:59]
                                        ; implicit-def: $vgpr3
.LBB4_274:                              ;   in Loop: Header=BB4_124 Depth=2
	s_andn2_saveexec_b64 s[22:23], s[56:57]
; %bb.275:                              ;   in Loop: Header=BB4_124 Depth=2
	v_or_b32_sdwa v0, v3, s75 dst_sel:DWORD dst_unused:UNUSED_PAD src0_sel:BYTE_3 src1_sel:DWORD
	v_cmp_eq_u64_e32 vcc, 0, v[38:39]
	v_cndmask_b32_e32 v22, v0, v22, vcc
; %bb.276:                              ;   in Loop: Header=BB4_124 Depth=2
	s_or_b64 exec, exec, s[22:23]
	v_cmp_ne_u16_sdwa vcc, v12, v39 src0_sel:BYTE_0 src1_sel:DWORD
	v_mov_b32_e32 v0, 0
	s_and_saveexec_b64 s[22:23], vcc
	s_cbranch_execz .LBB4_282
; %bb.277:                              ;   in Loop: Header=BB4_124 Depth=2
	v_cmp_ne_u16_sdwa vcc, v12, s76 src0_sel:BYTE_0 src1_sel:DWORD
	v_bfrev_b32_e32 v0, 1
	s_and_saveexec_b64 s[56:57], vcc
	s_cbranch_execz .LBB4_281
; %bb.278:                              ;   in Loop: Header=BB4_124 Depth=2
	v_and_b32_e32 v3, 0x7f, v12
	v_cmp_ne_u32_e32 vcc, s75, v3
	v_mov_b32_e32 v0, 0x7f800001
	s_and_saveexec_b64 s[58:59], vcc
	s_cbranch_execz .LBB4_280
; %bb.279:                              ;   in Loop: Header=BB4_124 Depth=2
	v_and_b32_e32 v0, 7, v12
	v_ffbh_u32_e32 v0, v0
	v_min_u32_e32 v0, 32, v0
	v_subrev_u32_e32 v5, 28, v0
	v_cmp_gt_u32_e32 vcc, 8, v3
	v_lshrrev_b32_e32 v4, 3, v3
	v_sub_u32_e32 v0, 29, v0
	v_cndmask_b32_e32 v3, 0, v5, vcc
	v_cndmask_b32_e32 v0, v4, v0, vcc
	v_lshlrev_b64 v[4:5], v3, v[12:13]
	v_lshlrev_b32_e32 v3, 20, v4
	v_lshlrev_b32_e32 v4, 24, v12
	v_bfrev_b32_e32 v5, 60
	v_and_b32_e32 v3, 0x700000, v3
	v_and_b32_e32 v4, 0x80000000, v4
	v_lshl_add_u32 v0, v0, 23, v5
	v_or3_b32 v0, v4, v0, v3
.LBB4_280:                              ;   in Loop: Header=BB4_124 Depth=2
	s_or_b64 exec, exec, s[58:59]
.LBB4_281:                              ;   in Loop: Header=BB4_124 Depth=2
	s_or_b64 exec, exec, s[56:57]
.LBB4_282:                              ;   in Loop: Header=BB4_124 Depth=2
	s_or_b64 exec, exec, s[22:23]
	v_mul_f32_e32 v3, v7, v0
	v_and_b32_sdwa v0, v3, s76 dst_sel:DWORD dst_unused:UNUSED_PAD src0_sel:BYTE_3 src1_sel:DWORD
	v_and_b32_e32 v10, 0x7f800000, v3
	v_mov_b32_e32 v11, v39
	v_and_b32_e32 v38, 0x7fffff, v3
	v_or_b32_e32 v5, 0x7e, v0
	v_cmp_ne_u64_e32 vcc, s[42:43], v[10:11]
	s_and_saveexec_b64 s[22:23], vcc
	s_xor_b64 s[56:57], exec, s[22:23]
	s_cbranch_execz .LBB4_292
; %bb.283:                              ;   in Loop: Header=BB4_124 Depth=2
	v_and_b32_e32 v10, 0x7fffffff, v3
	v_mov_b32_e32 v11, v39
	v_cmp_gt_u64_e32 vcc, s[44:45], v[10:11]
	s_and_saveexec_b64 s[58:59], vcc
	s_cbranch_execz .LBB4_291
; %bb.284:                              ;   in Loop: Header=BB4_124 Depth=2
	v_cmp_ne_u32_e32 vcc, 0, v3
	v_mov_b32_e32 v5, 0
	s_and_saveexec_b64 s[60:61], vcc
	s_cbranch_execz .LBB4_290
; %bb.285:                              ;   in Loop: Header=BB4_124 Depth=2
	v_bfe_u32 v3, v3, 23, 8
	v_sub_u32_e32 v5, 0x79, v3
	v_cmp_gt_u32_e32 vcc, s77, v3
	v_add_u32_e32 v4, 0xffffff81, v3
	v_cndmask_b32_e32 v5, 0, v5, vcc
	v_cmp_eq_u32_e32 vcc, 0, v3
	v_mov_b32_e32 v3, 0xffffff82
	v_cndmask_b32_e32 v3, v4, v3, vcc
	v_mov_b32_e32 v4, 0x78
	v_cndmask_b32_e32 v18, v5, v4, vcc
	v_add_u32_e32 v4, 20, v18
	v_or_b32_e32 v10, 0x800000, v38
	v_lshlrev_b64 v[4:5], v4, -1
	v_cndmask_b32_e32 v38, v10, v38, vcc
	v_not_b32_e32 v4, v4
	v_and_b32_e32 v10, v38, v4
	v_add_u32_e32 v4, 19, v18
	v_lshrrev_b64 v[16:17], v18, v[38:39]
	v_not_b32_e32 v5, v5
	v_lshlrev_b64 v[14:15], v4, 1
	v_lshrrev_b32_e32 v4, 23, v16
	v_and_b32_e32 v11, 0, v5
	v_add3_u32 v5, v18, v3, v4
	v_bfe_u32 v3, v16, 20, 1
	v_add_u32_e32 v3, -1, v3
	v_cmp_eq_u64_e32 vcc, v[10:11], v[14:15]
	v_cndmask_b32_e32 v3, 0, v3, vcc
	v_add_u32_e32 v3, v3, v16
	v_and_b32_e32 v3, 0xfffff, v3
	v_add_co_u32_e32 v10, vcc, v3, v16
	v_add_u32_e32 v4, 6, v5
	v_addc_co_u32_e32 v11, vcc, 0, v17, vcc
	v_cmp_ne_u32_e32 vcc, 0, v4
                                        ; implicit-def: $vgpr3
	s_and_saveexec_b64 s[22:23], vcc
	s_xor_b64 s[22:23], exec, s[22:23]
; %bb.286:                              ;   in Loop: Header=BB4_124 Depth=2
	v_add_u32_e32 v3, 7, v5
	v_cmp_lt_u64_e32 vcc, s[48:49], v[10:11]
	v_cndmask_b32_e32 v3, v4, v3, vcc
	v_cndmask_b32_e64 v4, 0, 1, vcc
	v_lshrrev_b64 v[10:11], v4, v[10:11]
; %bb.287:                              ;   in Loop: Header=BB4_124 Depth=2
	s_andn2_saveexec_b64 s[22:23], s[22:23]
; %bb.288:                              ;   in Loop: Header=BB4_124 Depth=2
	v_bfe_u32 v3, v10, 23, 1
; %bb.289:                              ;   in Loop: Header=BB4_124 Depth=2
	s_or_b64 exec, exec, s[22:23]
	v_lshrrev_b64 v[4:5], 20, v[10:11]
	v_cmp_gt_i32_e32 vcc, 16, v3
	v_cndmask_b32_e32 v5, 0, v5, vcc
	v_cndmask_b32_e32 v4, 7, v4, vcc
	v_cmp_eq_u32_e32 vcc, 0, v3
	v_min_i32_e32 v3, 15, v3
	v_cmp_eq_u64_e64 s[22:23], 0, v[4:5]
	v_lshlrev_b32_e32 v3, 3, v3
	v_and_or_b32 v3, v4, 7, v3
	s_and_b64 s[22:23], vcc, s[22:23]
	v_cndmask_b32_e64 v3, v3, 0, s[22:23]
	v_or_b32_e32 v5, v3, v0
.LBB4_290:                              ;   in Loop: Header=BB4_124 Depth=2
	s_or_b64 exec, exec, s[60:61]
.LBB4_291:                              ;   in Loop: Header=BB4_124 Depth=2
	s_or_b64 exec, exec, s[58:59]
                                        ; implicit-def: $vgpr3
.LBB4_292:                              ;   in Loop: Header=BB4_124 Depth=2
	s_andn2_saveexec_b64 s[22:23], s[56:57]
; %bb.293:                              ;   in Loop: Header=BB4_124 Depth=2
	v_or_b32_sdwa v0, v3, s75 dst_sel:DWORD dst_unused:UNUSED_PAD src0_sel:BYTE_3 src1_sel:DWORD
	v_cmp_eq_u64_e32 vcc, 0, v[38:39]
	v_cndmask_b32_e32 v5, v0, v5, vcc
; %bb.294:                              ;   in Loop: Header=BB4_124 Depth=2
	s_or_b64 exec, exec, s[22:23]
	v_lshrrev_b16_e32 v10, 8, v12
	v_cmp_ne_u16_e32 vcc, 0, v10
	v_mov_b32_e32 v0, 0
	s_and_saveexec_b64 s[22:23], vcc
	s_cbranch_execz .LBB4_300
; %bb.295:                              ;   in Loop: Header=BB4_124 Depth=2
	v_cmp_ne_u16_e32 vcc, s76, v10
	v_bfrev_b32_e32 v0, 1
	s_and_saveexec_b64 s[56:57], vcc
	s_cbranch_execz .LBB4_299
; %bb.296:                              ;   in Loop: Header=BB4_124 Depth=2
	v_and_b32_e32 v3, 0x7f, v10
	v_cmp_ne_u32_e32 vcc, s75, v3
	v_mov_b32_e32 v0, 0x7f800001
	s_and_saveexec_b64 s[58:59], vcc
	s_cbranch_execz .LBB4_298
; %bb.297:                              ;   in Loop: Header=BB4_124 Depth=2
	v_and_b32_e32 v0, 7, v10
	v_ffbh_u32_e32 v11, v0
	v_min_u32_e32 v14, 32, v11
	v_subrev_u32_e32 v11, 28, v14
	v_lshlrev_b64 v[10:11], v11, v[10:11]
	v_lshrrev_b32_e32 v4, 3, v3
	v_sub_u32_e32 v11, 29, v14
	v_and_b32_e32 v10, 7, v10
	v_cmp_gt_u32_e32 vcc, 8, v3
	v_cndmask_b32_e32 v3, v4, v11, vcc
	v_cndmask_b32_e32 v0, v0, v10, vcc
	v_lshlrev_b32_e32 v4, 16, v12
	v_bfrev_b32_e32 v10, 60
	v_lshlrev_b32_e32 v0, 20, v0
	v_and_b32_e32 v4, 0x80000000, v4
	v_lshl_add_u32 v3, v3, 23, v10
	v_or3_b32 v0, v4, v3, v0
.LBB4_298:                              ;   in Loop: Header=BB4_124 Depth=2
	s_or_b64 exec, exec, s[58:59]
.LBB4_299:                              ;   in Loop: Header=BB4_124 Depth=2
	s_or_b64 exec, exec, s[56:57]
.LBB4_300:                              ;   in Loop: Header=BB4_124 Depth=2
	s_or_b64 exec, exec, s[22:23]
	v_mul_f32_e32 v3, v7, v0
	v_and_b32_sdwa v0, v3, s76 dst_sel:DWORD dst_unused:UNUSED_PAD src0_sel:BYTE_3 src1_sel:DWORD
	v_and_b32_e32 v10, 0x7f800000, v3
	v_mov_b32_e32 v11, v39
	v_and_b32_e32 v38, 0x7fffff, v3
	v_or_b32_e32 v37, 0x7e, v0
	v_cmp_ne_u64_e32 vcc, s[42:43], v[10:11]
	s_and_saveexec_b64 s[22:23], vcc
	s_xor_b64 s[56:57], exec, s[22:23]
	s_cbranch_execz .LBB4_310
; %bb.301:                              ;   in Loop: Header=BB4_124 Depth=2
	v_and_b32_e32 v10, 0x7fffffff, v3
	v_mov_b32_e32 v11, v39
	v_cmp_gt_u64_e32 vcc, s[44:45], v[10:11]
	s_and_saveexec_b64 s[58:59], vcc
	s_cbranch_execz .LBB4_309
; %bb.302:                              ;   in Loop: Header=BB4_124 Depth=2
	v_cmp_ne_u32_e32 vcc, 0, v3
	v_mov_b32_e32 v37, 0
	s_and_saveexec_b64 s[60:61], vcc
	s_cbranch_execz .LBB4_308
; %bb.303:                              ;   in Loop: Header=BB4_124 Depth=2
	v_bfe_u32 v3, v3, 23, 8
	v_sub_u32_e32 v10, 0x79, v3
	v_cmp_gt_u32_e32 vcc, s77, v3
	v_add_u32_e32 v4, 0xffffff81, v3
	v_cndmask_b32_e32 v10, 0, v10, vcc
	v_cmp_eq_u32_e32 vcc, 0, v3
	v_mov_b32_e32 v3, 0xffffff82
	v_cndmask_b32_e32 v3, v4, v3, vcc
	v_mov_b32_e32 v4, 0x78
	v_or_b32_e32 v11, 0x800000, v38
	v_cndmask_b32_e32 v4, v10, v4, vcc
	v_cndmask_b32_e32 v38, v11, v38, vcc
	v_add_u32_e32 v10, 20, v4
	v_lshlrev_b64 v[10:11], v10, -1
	v_add_u32_e32 v14, 19, v4
	v_lshrrev_b64 v[24:25], v4, v[38:39]
	v_not_b32_e32 v11, v11
	v_not_b32_e32 v10, v10
	v_lshlrev_b64 v[16:17], v14, 1
	v_lshrrev_b32_e32 v14, 23, v24
	v_and_b32_e32 v11, 0, v11
	v_and_b32_e32 v10, v38, v10
	v_add3_u32 v14, v4, v3, v14
	v_bfe_u32 v3, v24, 20, 1
	v_add_u32_e32 v3, -1, v3
	v_cmp_eq_u64_e32 vcc, v[10:11], v[16:17]
	v_cndmask_b32_e32 v3, 0, v3, vcc
	v_add_u32_e32 v3, v3, v24
	v_and_b32_e32 v3, 0xfffff, v3
	v_add_co_u32_e32 v10, vcc, v3, v24
	v_add_u32_e32 v4, 6, v14
	v_addc_co_u32_e32 v11, vcc, 0, v25, vcc
	v_cmp_ne_u32_e32 vcc, 0, v4
                                        ; implicit-def: $vgpr3
	s_and_saveexec_b64 s[22:23], vcc
	s_xor_b64 s[22:23], exec, s[22:23]
; %bb.304:                              ;   in Loop: Header=BB4_124 Depth=2
	v_add_u32_e32 v3, 7, v14
	v_cmp_lt_u64_e32 vcc, s[48:49], v[10:11]
	v_cndmask_b32_e32 v3, v4, v3, vcc
	v_cndmask_b32_e64 v4, 0, 1, vcc
	v_lshrrev_b64 v[10:11], v4, v[10:11]
; %bb.305:                              ;   in Loop: Header=BB4_124 Depth=2
	s_andn2_saveexec_b64 s[22:23], s[22:23]
; %bb.306:                              ;   in Loop: Header=BB4_124 Depth=2
	v_bfe_u32 v3, v10, 23, 1
; %bb.307:                              ;   in Loop: Header=BB4_124 Depth=2
	s_or_b64 exec, exec, s[22:23]
	v_lshrrev_b64 v[10:11], 20, v[10:11]
	v_cmp_gt_i32_e32 vcc, 16, v3
	v_cndmask_b32_e32 v11, 0, v11, vcc
	v_cndmask_b32_e32 v10, 7, v10, vcc
	v_cmp_eq_u32_e32 vcc, 0, v3
	v_min_i32_e32 v3, 15, v3
	v_cmp_eq_u64_e64 s[22:23], 0, v[10:11]
	v_lshlrev_b32_e32 v3, 3, v3
	v_and_or_b32 v3, v10, 7, v3
	s_and_b64 s[22:23], vcc, s[22:23]
	v_cndmask_b32_e64 v3, v3, 0, s[22:23]
	v_or_b32_e32 v37, v3, v0
.LBB4_308:                              ;   in Loop: Header=BB4_124 Depth=2
	s_or_b64 exec, exec, s[60:61]
.LBB4_309:                              ;   in Loop: Header=BB4_124 Depth=2
	s_or_b64 exec, exec, s[58:59]
                                        ; implicit-def: $vgpr3
.LBB4_310:                              ;   in Loop: Header=BB4_124 Depth=2
	s_andn2_saveexec_b64 s[22:23], s[56:57]
; %bb.311:                              ;   in Loop: Header=BB4_124 Depth=2
	v_or_b32_sdwa v0, v3, s75 dst_sel:DWORD dst_unused:UNUSED_PAD src0_sel:BYTE_3 src1_sel:DWORD
	v_cmp_eq_u64_e32 vcc, 0, v[38:39]
	v_cndmask_b32_e32 v37, v0, v37, vcc
; %bb.312:                              ;   in Loop: Header=BB4_124 Depth=2
	s_or_b64 exec, exec, s[22:23]
	v_lshrrev_b32_e32 v10, 16, v12
	v_cmp_ne_u16_sdwa vcc, v10, v39 src0_sel:BYTE_0 src1_sel:DWORD
	v_mov_b32_e32 v0, 0
	s_and_saveexec_b64 s[22:23], vcc
	s_cbranch_execz .LBB4_318
; %bb.313:                              ;   in Loop: Header=BB4_124 Depth=2
	v_cmp_ne_u16_sdwa vcc, v10, s76 src0_sel:BYTE_0 src1_sel:DWORD
	v_bfrev_b32_e32 v0, 1
	s_and_saveexec_b64 s[56:57], vcc
	s_cbranch_execz .LBB4_317
; %bb.314:                              ;   in Loop: Header=BB4_124 Depth=2
	v_bfe_u32 v3, v12, 16, 7
	v_cmp_ne_u32_e32 vcc, s75, v3
	v_mov_b32_e32 v0, 0x7f800001
	s_and_saveexec_b64 s[58:59], vcc
	s_cbranch_execz .LBB4_316
; %bb.315:                              ;   in Loop: Header=BB4_124 Depth=2
	v_and_b32_e32 v0, 7, v10
	v_ffbh_u32_e32 v11, v0
	v_min_u32_e32 v11, 32, v11
	v_subrev_u32_e32 v14, 28, v11
	v_lshlrev_b64 v[14:15], v14, v[10:11]
	v_lshrrev_b32_e32 v4, 3, v3
	v_sub_u32_e32 v11, 29, v11
	v_and_b32_e32 v14, 7, v14
	v_cmp_gt_u32_e32 vcc, 8, v3
	v_cndmask_b32_e32 v3, v4, v11, vcc
	v_cndmask_b32_e32 v0, v0, v14, vcc
	v_lshlrev_b32_e32 v4, 24, v10
	v_bfrev_b32_e32 v10, 60
	v_lshlrev_b32_e32 v0, 20, v0
	v_and_b32_e32 v4, 0x80000000, v4
	v_lshl_add_u32 v3, v3, 23, v10
	v_or3_b32 v0, v4, v3, v0
.LBB4_316:                              ;   in Loop: Header=BB4_124 Depth=2
	s_or_b64 exec, exec, s[58:59]
.LBB4_317:                              ;   in Loop: Header=BB4_124 Depth=2
	s_or_b64 exec, exec, s[56:57]
.LBB4_318:                              ;   in Loop: Header=BB4_124 Depth=2
	s_or_b64 exec, exec, s[22:23]
	v_mul_f32_e32 v3, v7, v0
	v_and_b32_sdwa v0, v3, s76 dst_sel:DWORD dst_unused:UNUSED_PAD src0_sel:BYTE_3 src1_sel:DWORD
	v_and_b32_e32 v10, 0x7f800000, v3
	v_mov_b32_e32 v11, v39
	v_and_b32_e32 v38, 0x7fffff, v3
	v_or_b32_e32 v48, 0x7e, v0
	v_cmp_ne_u64_e32 vcc, s[42:43], v[10:11]
	s_and_saveexec_b64 s[22:23], vcc
	s_xor_b64 s[56:57], exec, s[22:23]
	s_cbranch_execz .LBB4_328
; %bb.319:                              ;   in Loop: Header=BB4_124 Depth=2
	v_and_b32_e32 v10, 0x7fffffff, v3
	v_mov_b32_e32 v11, v39
	v_cmp_gt_u64_e32 vcc, s[44:45], v[10:11]
	s_and_saveexec_b64 s[58:59], vcc
	s_cbranch_execz .LBB4_327
; %bb.320:                              ;   in Loop: Header=BB4_124 Depth=2
	v_cmp_ne_u32_e32 vcc, 0, v3
	v_mov_b32_e32 v48, 0
	s_and_saveexec_b64 s[60:61], vcc
	s_cbranch_execz .LBB4_326
; %bb.321:                              ;   in Loop: Header=BB4_124 Depth=2
	v_bfe_u32 v3, v3, 23, 8
	v_sub_u32_e32 v10, 0x79, v3
	v_cmp_gt_u32_e32 vcc, s77, v3
	v_add_u32_e32 v4, 0xffffff81, v3
	v_cndmask_b32_e32 v10, 0, v10, vcc
	v_cmp_eq_u32_e32 vcc, 0, v3
	v_mov_b32_e32 v3, 0xffffff82
	v_cndmask_b32_e32 v3, v4, v3, vcc
	v_mov_b32_e32 v4, 0x78
	v_or_b32_e32 v11, 0x800000, v38
	v_cndmask_b32_e32 v4, v10, v4, vcc
	v_cndmask_b32_e32 v38, v11, v38, vcc
	v_add_u32_e32 v10, 20, v4
	v_lshlrev_b64 v[10:11], v10, -1
	v_add_u32_e32 v14, 19, v4
	v_lshrrev_b64 v[24:25], v4, v[38:39]
	v_not_b32_e32 v11, v11
	v_not_b32_e32 v10, v10
	v_lshlrev_b64 v[16:17], v14, 1
	v_lshrrev_b32_e32 v14, 23, v24
	v_and_b32_e32 v11, 0, v11
	v_and_b32_e32 v10, v38, v10
	v_add3_u32 v14, v4, v3, v14
	v_bfe_u32 v3, v24, 20, 1
	v_add_u32_e32 v3, -1, v3
	v_cmp_eq_u64_e32 vcc, v[10:11], v[16:17]
	v_cndmask_b32_e32 v3, 0, v3, vcc
	v_add_u32_e32 v3, v3, v24
	v_and_b32_e32 v3, 0xfffff, v3
	v_add_co_u32_e32 v10, vcc, v3, v24
	v_add_u32_e32 v4, 6, v14
	v_addc_co_u32_e32 v11, vcc, 0, v25, vcc
	v_cmp_ne_u32_e32 vcc, 0, v4
                                        ; implicit-def: $vgpr3
	s_and_saveexec_b64 s[22:23], vcc
	s_xor_b64 s[22:23], exec, s[22:23]
; %bb.322:                              ;   in Loop: Header=BB4_124 Depth=2
	v_add_u32_e32 v3, 7, v14
	v_cmp_lt_u64_e32 vcc, s[48:49], v[10:11]
	v_cndmask_b32_e32 v3, v4, v3, vcc
	v_cndmask_b32_e64 v4, 0, 1, vcc
	v_lshrrev_b64 v[10:11], v4, v[10:11]
; %bb.323:                              ;   in Loop: Header=BB4_124 Depth=2
	s_andn2_saveexec_b64 s[22:23], s[22:23]
; %bb.324:                              ;   in Loop: Header=BB4_124 Depth=2
	v_bfe_u32 v3, v10, 23, 1
; %bb.325:                              ;   in Loop: Header=BB4_124 Depth=2
	s_or_b64 exec, exec, s[22:23]
	v_lshrrev_b64 v[10:11], 20, v[10:11]
	v_cmp_gt_i32_e32 vcc, 16, v3
	v_cndmask_b32_e32 v11, 0, v11, vcc
	v_cndmask_b32_e32 v10, 7, v10, vcc
	v_cmp_eq_u32_e32 vcc, 0, v3
	v_min_i32_e32 v3, 15, v3
	v_cmp_eq_u64_e64 s[22:23], 0, v[10:11]
	v_lshlrev_b32_e32 v3, 3, v3
	v_and_or_b32 v3, v10, 7, v3
	s_and_b64 s[22:23], vcc, s[22:23]
	v_cndmask_b32_e64 v3, v3, 0, s[22:23]
	v_or_b32_e32 v48, v3, v0
.LBB4_326:                              ;   in Loop: Header=BB4_124 Depth=2
	s_or_b64 exec, exec, s[60:61]
.LBB4_327:                              ;   in Loop: Header=BB4_124 Depth=2
	s_or_b64 exec, exec, s[58:59]
                                        ; implicit-def: $vgpr3
.LBB4_328:                              ;   in Loop: Header=BB4_124 Depth=2
	s_andn2_saveexec_b64 s[22:23], s[56:57]
; %bb.329:                              ;   in Loop: Header=BB4_124 Depth=2
	v_or_b32_sdwa v0, v3, s75 dst_sel:DWORD dst_unused:UNUSED_PAD src0_sel:BYTE_3 src1_sel:DWORD
	v_cmp_eq_u64_e32 vcc, 0, v[38:39]
	v_cndmask_b32_e32 v48, v0, v48, vcc
; %bb.330:                              ;   in Loop: Header=BB4_124 Depth=2
	s_or_b64 exec, exec, s[22:23]
	v_cmp_lt_u32_e32 vcc, s47, v12
	v_mov_b32_e32 v0, 0
	s_and_saveexec_b64 s[22:23], vcc
	s_cbranch_execz .LBB4_336
; %bb.331:                              ;   in Loop: Header=BB4_124 Depth=2
	v_lshrrev_b32_e32 v10, 24, v12
	v_cmp_ne_u32_e32 vcc, s76, v10
	v_bfrev_b32_e32 v0, 1
	s_and_saveexec_b64 s[56:57], vcc
	s_cbranch_execz .LBB4_335
; %bb.332:                              ;   in Loop: Header=BB4_124 Depth=2
	v_bfe_u32 v3, v12, 24, 7
	v_cmp_ne_u32_e32 vcc, s75, v3
	v_mov_b32_e32 v0, 0x7f800001
	s_and_saveexec_b64 s[58:59], vcc
	s_cbranch_execz .LBB4_334
; %bb.333:                              ;   in Loop: Header=BB4_124 Depth=2
	v_and_b32_e32 v0, 7, v10
	v_ffbh_u32_e32 v11, v0
	v_min_u32_e32 v11, 32, v11
	v_subrev_u32_e32 v14, 28, v11
	v_lshlrev_b64 v[14:15], v14, v[10:11]
	v_lshrrev_b32_e32 v4, 3, v3
	v_sub_u32_e32 v11, 29, v11
	v_and_b32_e32 v14, 7, v14
	v_cmp_gt_u32_e32 vcc, 8, v3
	v_cndmask_b32_e32 v3, v4, v11, vcc
	v_cndmask_b32_e32 v0, v0, v14, vcc
	v_lshlrev_b32_e32 v4, 24, v10
	v_bfrev_b32_e32 v10, 60
	v_lshlrev_b32_e32 v0, 20, v0
	v_and_b32_e32 v4, 0x80000000, v4
	v_lshl_add_u32 v3, v3, 23, v10
	v_or3_b32 v0, v4, v3, v0
.LBB4_334:                              ;   in Loop: Header=BB4_124 Depth=2
	s_or_b64 exec, exec, s[58:59]
.LBB4_335:                              ;   in Loop: Header=BB4_124 Depth=2
	s_or_b64 exec, exec, s[56:57]
.LBB4_336:                              ;   in Loop: Header=BB4_124 Depth=2
	s_or_b64 exec, exec, s[22:23]
	v_mul_f32_e32 v3, v7, v0
	v_and_b32_sdwa v0, v3, s76 dst_sel:DWORD dst_unused:UNUSED_PAD src0_sel:BYTE_3 src1_sel:DWORD
	v_and_b32_e32 v10, 0x7f800000, v3
	v_mov_b32_e32 v11, v39
	v_and_b32_e32 v38, 0x7fffff, v3
	v_or_b32_e32 v4, 0x7e, v0
	v_cmp_ne_u64_e32 vcc, s[42:43], v[10:11]
	s_and_saveexec_b64 s[22:23], vcc
	s_xor_b64 s[56:57], exec, s[22:23]
	s_cbranch_execz .LBB4_346
; %bb.337:                              ;   in Loop: Header=BB4_124 Depth=2
	v_and_b32_e32 v10, 0x7fffffff, v3
	v_mov_b32_e32 v11, v39
	v_cmp_gt_u64_e32 vcc, s[44:45], v[10:11]
	s_and_saveexec_b64 s[58:59], vcc
	s_cbranch_execz .LBB4_345
; %bb.338:                              ;   in Loop: Header=BB4_124 Depth=2
	v_cmp_ne_u32_e32 vcc, 0, v3
	v_mov_b32_e32 v4, 0
	s_and_saveexec_b64 s[60:61], vcc
	s_cbranch_execz .LBB4_344
; %bb.339:                              ;   in Loop: Header=BB4_124 Depth=2
	v_bfe_u32 v3, v3, 23, 8
	v_sub_u32_e32 v10, 0x79, v3
	v_cmp_gt_u32_e32 vcc, s77, v3
	v_add_u32_e32 v4, 0xffffff81, v3
	v_cndmask_b32_e32 v10, 0, v10, vcc
	v_cmp_eq_u32_e32 vcc, 0, v3
	v_mov_b32_e32 v3, 0xffffff82
	v_cndmask_b32_e32 v3, v4, v3, vcc
	v_mov_b32_e32 v4, 0x78
	v_or_b32_e32 v11, 0x800000, v38
	v_cndmask_b32_e32 v4, v10, v4, vcc
	v_cndmask_b32_e32 v38, v11, v38, vcc
	v_add_u32_e32 v10, 20, v4
	v_lshlrev_b64 v[10:11], v10, -1
	v_add_u32_e32 v14, 19, v4
	v_lshrrev_b64 v[24:25], v4, v[38:39]
	v_not_b32_e32 v11, v11
	v_not_b32_e32 v10, v10
	v_lshlrev_b64 v[16:17], v14, 1
	v_lshrrev_b32_e32 v14, 23, v24
	v_and_b32_e32 v11, 0, v11
	v_and_b32_e32 v10, v38, v10
	v_add3_u32 v14, v4, v3, v14
	v_bfe_u32 v3, v24, 20, 1
	v_add_u32_e32 v3, -1, v3
	v_cmp_eq_u64_e32 vcc, v[10:11], v[16:17]
	v_cndmask_b32_e32 v3, 0, v3, vcc
	v_add_u32_e32 v3, v3, v24
	v_and_b32_e32 v3, 0xfffff, v3
	v_add_co_u32_e32 v10, vcc, v3, v24
	v_add_u32_e32 v4, 6, v14
	v_addc_co_u32_e32 v11, vcc, 0, v25, vcc
	v_cmp_ne_u32_e32 vcc, 0, v4
                                        ; implicit-def: $vgpr3
	s_and_saveexec_b64 s[22:23], vcc
	s_xor_b64 s[22:23], exec, s[22:23]
; %bb.340:                              ;   in Loop: Header=BB4_124 Depth=2
	v_add_u32_e32 v3, 7, v14
	v_cmp_lt_u64_e32 vcc, s[48:49], v[10:11]
	v_cndmask_b32_e32 v3, v4, v3, vcc
	v_cndmask_b32_e64 v4, 0, 1, vcc
	v_lshrrev_b64 v[10:11], v4, v[10:11]
; %bb.341:                              ;   in Loop: Header=BB4_124 Depth=2
	s_andn2_saveexec_b64 s[22:23], s[22:23]
; %bb.342:                              ;   in Loop: Header=BB4_124 Depth=2
	v_bfe_u32 v3, v10, 23, 1
; %bb.343:                              ;   in Loop: Header=BB4_124 Depth=2
	s_or_b64 exec, exec, s[22:23]
	v_lshrrev_b64 v[10:11], 20, v[10:11]
	v_cmp_gt_i32_e32 vcc, 16, v3
	v_cndmask_b32_e32 v11, 0, v11, vcc
	v_cndmask_b32_e32 v10, 7, v10, vcc
	v_cmp_eq_u32_e32 vcc, 0, v3
	v_min_i32_e32 v3, 15, v3
	v_cmp_eq_u64_e64 s[22:23], 0, v[10:11]
	v_lshlrev_b32_e32 v3, 3, v3
	v_and_or_b32 v3, v10, 7, v3
	s_and_b64 s[22:23], vcc, s[22:23]
	v_cndmask_b32_e64 v3, v3, 0, s[22:23]
	v_or_b32_e32 v4, v3, v0
.LBB4_344:                              ;   in Loop: Header=BB4_124 Depth=2
	s_or_b64 exec, exec, s[60:61]
.LBB4_345:                              ;   in Loop: Header=BB4_124 Depth=2
	s_or_b64 exec, exec, s[58:59]
                                        ; implicit-def: $vgpr3
.LBB4_346:                              ;   in Loop: Header=BB4_124 Depth=2
	s_andn2_saveexec_b64 s[22:23], s[56:57]
; %bb.347:                              ;   in Loop: Header=BB4_124 Depth=2
	v_or_b32_sdwa v0, v3, s75 dst_sel:DWORD dst_unused:UNUSED_PAD src0_sel:BYTE_3 src1_sel:DWORD
	v_cmp_eq_u64_e32 vcc, 0, v[38:39]
	v_cndmask_b32_e32 v4, v0, v4, vcc
; %bb.348:                              ;   in Loop: Header=BB4_124 Depth=2
	s_or_b64 exec, exec, s[22:23]
	v_mov_b32_e32 v38, v13
	v_cmp_ne_u16_sdwa vcc, v13, v39 src0_sel:BYTE_0 src1_sel:DWORD
	v_mov_b32_e32 v0, 0
	s_and_saveexec_b64 s[22:23], vcc
	s_cbranch_execz .LBB4_354
; %bb.349:                              ;   in Loop: Header=BB4_124 Depth=2
	v_cmp_ne_u16_sdwa vcc, v13, s76 src0_sel:BYTE_0 src1_sel:DWORD
	v_bfrev_b32_e32 v0, 1
	s_and_saveexec_b64 s[56:57], vcc
	s_cbranch_execz .LBB4_353
; %bb.350:                              ;   in Loop: Header=BB4_124 Depth=2
	v_and_b32_e32 v3, 0x7f, v13
	v_cmp_ne_u32_e32 vcc, s75, v3
	v_mov_b32_e32 v0, 0x7f800001
	s_and_saveexec_b64 s[58:59], vcc
	s_cbranch_execz .LBB4_352
; %bb.351:                              ;   in Loop: Header=BB4_124 Depth=2
	v_and_b32_e32 v0, 7, v13
	v_ffbh_u32_e32 v0, v0
	v_min_u32_e32 v0, 32, v0
	v_subrev_u32_e32 v11, 28, v0
	v_cmp_gt_u32_e32 vcc, 8, v3
	v_lshrrev_b32_e32 v10, 3, v3
	v_sub_u32_e32 v0, 29, v0
	v_cndmask_b32_e32 v3, 0, v11, vcc
	v_cndmask_b32_e32 v0, v10, v0, vcc
	v_lshlrev_b64 v[10:11], v3, v[38:39]
	v_lshlrev_b32_e32 v3, 20, v10
	v_lshlrev_b32_e32 v10, 24, v38
	v_bfrev_b32_e32 v11, 60
	v_and_b32_e32 v3, 0x700000, v3
	v_and_b32_e32 v10, 0x80000000, v10
	v_lshl_add_u32 v0, v0, 23, v11
	v_or3_b32 v0, v10, v0, v3
.LBB4_352:                              ;   in Loop: Header=BB4_124 Depth=2
	s_or_b64 exec, exec, s[58:59]
.LBB4_353:                              ;   in Loop: Header=BB4_124 Depth=2
	s_or_b64 exec, exec, s[56:57]
.LBB4_354:                              ;   in Loop: Header=BB4_124 Depth=2
	s_or_b64 exec, exec, s[22:23]
	v_mul_f32_e32 v3, v7, v0
	v_and_b32_sdwa v0, v3, s76 dst_sel:DWORD dst_unused:UNUSED_PAD src0_sel:BYTE_3 src1_sel:DWORD
	v_and_b32_e32 v14, 0x7f800000, v3
	v_mov_b32_e32 v15, v39
	v_and_b32_e32 v10, 0x7fffff, v3
	v_mov_b32_e32 v11, v39
	v_or_b32_e32 v61, 0x7e, v0
	v_cmp_ne_u64_e32 vcc, s[42:43], v[14:15]
	s_and_saveexec_b64 s[22:23], vcc
	s_xor_b64 s[56:57], exec, s[22:23]
	s_cbranch_execz .LBB4_364
; %bb.355:                              ;   in Loop: Header=BB4_124 Depth=2
	v_and_b32_e32 v14, 0x7fffffff, v3
	v_mov_b32_e32 v15, v39
	v_cmp_gt_u64_e32 vcc, s[44:45], v[14:15]
	s_and_saveexec_b64 s[58:59], vcc
	s_cbranch_execz .LBB4_363
; %bb.356:                              ;   in Loop: Header=BB4_124 Depth=2
	v_cmp_ne_u32_e32 vcc, 0, v3
	v_mov_b32_e32 v61, 0
	s_and_saveexec_b64 s[60:61], vcc
	s_cbranch_execz .LBB4_362
; %bb.357:                              ;   in Loop: Header=BB4_124 Depth=2
	v_bfe_u32 v3, v3, 23, 8
	v_sub_u32_e32 v15, 0x79, v3
	v_cmp_gt_u32_e32 vcc, s77, v3
	v_add_u32_e32 v14, 0xffffff81, v3
	v_cndmask_b32_e32 v15, 0, v15, vcc
	v_cmp_eq_u32_e32 vcc, 0, v3
	v_mov_b32_e32 v3, 0xffffff82
	v_cndmask_b32_e32 v3, v14, v3, vcc
	v_mov_b32_e32 v14, 0x78
	v_cndmask_b32_e32 v18, v15, v14, vcc
	v_add_u32_e32 v14, 20, v18
	v_or_b32_e32 v16, 0x800000, v10
	v_lshlrev_b64 v[14:15], v14, -1
	v_cndmask_b32_e32 v10, v16, v10, vcc
	v_not_b32_e32 v14, v14
	v_and_b32_e32 v16, v10, v14
	v_add_u32_e32 v14, 19, v18
	v_lshrrev_b64 v[10:11], v18, v[10:11]
	v_not_b32_e32 v15, v15
	v_lshlrev_b64 v[24:25], v14, 1
	v_lshrrev_b32_e32 v14, 23, v10
	v_and_b32_e32 v17, 0, v15
	v_add3_u32 v15, v18, v3, v14
	v_bfe_u32 v3, v10, 20, 1
	v_add_u32_e32 v3, -1, v3
	v_cmp_eq_u64_e32 vcc, v[16:17], v[24:25]
	v_cndmask_b32_e32 v3, 0, v3, vcc
	v_add_u32_e32 v3, v3, v10
	v_and_b32_e32 v3, 0xfffff, v3
	v_add_co_u32_e32 v10, vcc, v3, v10
	v_add_u32_e32 v14, 6, v15
	v_addc_co_u32_e32 v11, vcc, 0, v11, vcc
	v_cmp_ne_u32_e32 vcc, 0, v14
                                        ; implicit-def: $vgpr3
	s_and_saveexec_b64 s[22:23], vcc
	s_xor_b64 s[22:23], exec, s[22:23]
; %bb.358:                              ;   in Loop: Header=BB4_124 Depth=2
	v_add_u32_e32 v3, 7, v15
	v_cmp_lt_u64_e32 vcc, s[48:49], v[10:11]
	v_cndmask_b32_e32 v3, v14, v3, vcc
	v_cndmask_b32_e64 v14, 0, 1, vcc
	v_lshrrev_b64 v[10:11], v14, v[10:11]
; %bb.359:                              ;   in Loop: Header=BB4_124 Depth=2
	s_andn2_saveexec_b64 s[22:23], s[22:23]
; %bb.360:                              ;   in Loop: Header=BB4_124 Depth=2
	v_bfe_u32 v3, v10, 23, 1
; %bb.361:                              ;   in Loop: Header=BB4_124 Depth=2
	s_or_b64 exec, exec, s[22:23]
	v_lshrrev_b64 v[10:11], 20, v[10:11]
	v_cmp_gt_i32_e32 vcc, 16, v3
	v_cndmask_b32_e32 v11, 0, v11, vcc
	v_cndmask_b32_e32 v10, 7, v10, vcc
	v_cmp_eq_u32_e32 vcc, 0, v3
	v_min_i32_e32 v3, 15, v3
	v_cmp_eq_u64_e64 s[22:23], 0, v[10:11]
	v_lshlrev_b32_e32 v3, 3, v3
	v_and_or_b32 v3, v10, 7, v3
	s_and_b64 s[22:23], vcc, s[22:23]
	v_cndmask_b32_e64 v3, v3, 0, s[22:23]
	v_or_b32_e32 v61, v3, v0
.LBB4_362:                              ;   in Loop: Header=BB4_124 Depth=2
	s_or_b64 exec, exec, s[60:61]
.LBB4_363:                              ;   in Loop: Header=BB4_124 Depth=2
	s_or_b64 exec, exec, s[58:59]
                                        ; implicit-def: $vgpr3
                                        ; implicit-def: $vgpr10_vgpr11
.LBB4_364:                              ;   in Loop: Header=BB4_124 Depth=2
	s_andn2_saveexec_b64 s[22:23], s[56:57]
; %bb.365:                              ;   in Loop: Header=BB4_124 Depth=2
	v_or_b32_sdwa v0, v3, s75 dst_sel:DWORD dst_unused:UNUSED_PAD src0_sel:BYTE_3 src1_sel:DWORD
	v_cmp_eq_u64_e32 vcc, 0, v[10:11]
	v_cndmask_b32_e32 v61, v0, v61, vcc
; %bb.366:                              ;   in Loop: Header=BB4_124 Depth=2
	s_or_b64 exec, exec, s[22:23]
	v_lshrrev_b16_e32 v10, 8, v38
	v_cmp_ne_u16_e32 vcc, 0, v10
	v_mov_b32_e32 v0, 0
	s_and_saveexec_b64 s[22:23], vcc
	s_cbranch_execz .LBB4_372
; %bb.367:                              ;   in Loop: Header=BB4_124 Depth=2
	v_cmp_ne_u16_e32 vcc, s76, v10
	v_bfrev_b32_e32 v0, 1
	s_and_saveexec_b64 s[56:57], vcc
	s_cbranch_execz .LBB4_371
; %bb.368:                              ;   in Loop: Header=BB4_124 Depth=2
	v_and_b32_e32 v3, 0x7f, v10
	v_cmp_ne_u32_e32 vcc, s75, v3
	v_mov_b32_e32 v0, 0x7f800001
	s_and_saveexec_b64 s[58:59], vcc
	s_cbranch_execz .LBB4_370
; %bb.369:                              ;   in Loop: Header=BB4_124 Depth=2
	v_and_b32_e32 v0, 7, v10
	v_ffbh_u32_e32 v11, v0
	v_min_u32_e32 v15, 32, v11
	v_subrev_u32_e32 v11, 28, v15
	v_lshlrev_b64 v[10:11], v11, v[10:11]
	v_lshrrev_b32_e32 v14, 3, v3
	v_sub_u32_e32 v11, 29, v15
	v_and_b32_e32 v10, 7, v10
	v_cmp_gt_u32_e32 vcc, 8, v3
	v_cndmask_b32_e32 v3, v14, v11, vcc
	v_cndmask_b32_e32 v0, v0, v10, vcc
	v_lshlrev_b32_e32 v10, 16, v38
	v_bfrev_b32_e32 v11, 60
	v_lshlrev_b32_e32 v0, 20, v0
	v_and_b32_e32 v10, 0x80000000, v10
	v_lshl_add_u32 v3, v3, 23, v11
	v_or3_b32 v0, v10, v3, v0
.LBB4_370:                              ;   in Loop: Header=BB4_124 Depth=2
	s_or_b64 exec, exec, s[58:59]
.LBB4_371:                              ;   in Loop: Header=BB4_124 Depth=2
	s_or_b64 exec, exec, s[56:57]
.LBB4_372:                              ;   in Loop: Header=BB4_124 Depth=2
	s_or_b64 exec, exec, s[22:23]
	v_mul_f32_e32 v3, v7, v0
	v_and_b32_sdwa v0, v3, s76 dst_sel:DWORD dst_unused:UNUSED_PAD src0_sel:BYTE_3 src1_sel:DWORD
	v_and_b32_e32 v10, 0x7f800000, v3
	v_mov_b32_e32 v11, v39
	v_and_b32_e32 v38, 0x7fffff, v3
	v_or_b32_e32 v33, 0x7e, v0
	v_cmp_ne_u64_e32 vcc, s[42:43], v[10:11]
	s_and_saveexec_b64 s[22:23], vcc
	s_xor_b64 s[56:57], exec, s[22:23]
	s_cbranch_execz .LBB4_382
; %bb.373:                              ;   in Loop: Header=BB4_124 Depth=2
	v_and_b32_e32 v10, 0x7fffffff, v3
	v_mov_b32_e32 v11, v39
	v_cmp_gt_u64_e32 vcc, s[44:45], v[10:11]
	s_and_saveexec_b64 s[58:59], vcc
	s_cbranch_execz .LBB4_381
; %bb.374:                              ;   in Loop: Header=BB4_124 Depth=2
	v_cmp_ne_u32_e32 vcc, 0, v3
	v_mov_b32_e32 v33, 0
	s_and_saveexec_b64 s[60:61], vcc
	s_cbranch_execz .LBB4_380
; %bb.375:                              ;   in Loop: Header=BB4_124 Depth=2
	v_bfe_u32 v3, v3, 23, 8
	v_sub_u32_e32 v11, 0x79, v3
	v_cmp_gt_u32_e32 vcc, s77, v3
	v_add_u32_e32 v10, 0xffffff81, v3
	v_cndmask_b32_e32 v11, 0, v11, vcc
	v_cmp_eq_u32_e32 vcc, 0, v3
	v_mov_b32_e32 v3, 0xffffff82
	v_cndmask_b32_e32 v3, v10, v3, vcc
	v_mov_b32_e32 v10, 0x78
	v_or_b32_e32 v14, 0x800000, v38
	v_cndmask_b32_e32 v15, v11, v10, vcc
	v_cndmask_b32_e32 v38, v14, v38, vcc
	v_add_u32_e32 v10, 20, v15
	v_lshlrev_b64 v[10:11], v10, -1
	v_add_u32_e32 v14, 19, v15
	v_lshrrev_b64 v[24:25], v15, v[38:39]
	v_not_b32_e32 v11, v11
	v_not_b32_e32 v10, v10
	v_lshlrev_b64 v[16:17], v14, 1
	v_lshrrev_b32_e32 v14, 23, v24
	v_and_b32_e32 v11, 0, v11
	v_and_b32_e32 v10, v38, v10
	v_add3_u32 v15, v15, v3, v14
	v_bfe_u32 v3, v24, 20, 1
	v_add_u32_e32 v3, -1, v3
	v_cmp_eq_u64_e32 vcc, v[10:11], v[16:17]
	v_cndmask_b32_e32 v3, 0, v3, vcc
	v_add_u32_e32 v3, v3, v24
	v_and_b32_e32 v3, 0xfffff, v3
	v_add_co_u32_e32 v10, vcc, v3, v24
	v_add_u32_e32 v14, 6, v15
	v_addc_co_u32_e32 v11, vcc, 0, v25, vcc
	v_cmp_ne_u32_e32 vcc, 0, v14
                                        ; implicit-def: $vgpr3
	s_and_saveexec_b64 s[22:23], vcc
	s_xor_b64 s[22:23], exec, s[22:23]
; %bb.376:                              ;   in Loop: Header=BB4_124 Depth=2
	v_add_u32_e32 v3, 7, v15
	v_cmp_lt_u64_e32 vcc, s[48:49], v[10:11]
	v_cndmask_b32_e32 v3, v14, v3, vcc
	v_cndmask_b32_e64 v14, 0, 1, vcc
	v_lshrrev_b64 v[10:11], v14, v[10:11]
; %bb.377:                              ;   in Loop: Header=BB4_124 Depth=2
	s_andn2_saveexec_b64 s[22:23], s[22:23]
; %bb.378:                              ;   in Loop: Header=BB4_124 Depth=2
	v_bfe_u32 v3, v10, 23, 1
; %bb.379:                              ;   in Loop: Header=BB4_124 Depth=2
	s_or_b64 exec, exec, s[22:23]
	v_lshrrev_b64 v[10:11], 20, v[10:11]
	v_cmp_gt_i32_e32 vcc, 16, v3
	v_cndmask_b32_e32 v11, 0, v11, vcc
	v_cndmask_b32_e32 v10, 7, v10, vcc
	v_cmp_eq_u32_e32 vcc, 0, v3
	v_min_i32_e32 v3, 15, v3
	v_lshlrev_b32_e32 v3, 3, v3
	v_cmp_eq_u64_e64 s[22:23], 0, v[10:11]
	v_and_b32_e32 v3, 0xf8, v3
	v_and_or_b32 v3, v10, 7, v3
	s_and_b64 s[22:23], vcc, s[22:23]
	v_cndmask_b32_e64 v3, v3, 0, s[22:23]
	v_or_b32_e32 v33, v3, v0
.LBB4_380:                              ;   in Loop: Header=BB4_124 Depth=2
	s_or_b64 exec, exec, s[60:61]
.LBB4_381:                              ;   in Loop: Header=BB4_124 Depth=2
	s_or_b64 exec, exec, s[58:59]
                                        ; implicit-def: $vgpr3
.LBB4_382:                              ;   in Loop: Header=BB4_124 Depth=2
	s_andn2_saveexec_b64 s[22:23], s[56:57]
; %bb.383:                              ;   in Loop: Header=BB4_124 Depth=2
	v_or_b32_sdwa v0, v3, s75 dst_sel:DWORD dst_unused:UNUSED_PAD src0_sel:BYTE_3 src1_sel:DWORD
	v_cmp_eq_u64_e32 vcc, 0, v[38:39]
	v_cndmask_b32_e32 v33, v0, v33, vcc
; %bb.384:                              ;   in Loop: Header=BB4_124 Depth=2
	s_or_b64 exec, exec, s[22:23]
	v_lshrrev_b32_e32 v10, 16, v13
	v_cmp_ne_u16_sdwa vcc, v10, v39 src0_sel:BYTE_0 src1_sel:DWORD
	v_mov_b32_e32 v0, 0
	s_and_saveexec_b64 s[22:23], vcc
	s_cbranch_execz .LBB4_390
; %bb.385:                              ;   in Loop: Header=BB4_124 Depth=2
	v_cmp_ne_u16_sdwa vcc, v10, s76 src0_sel:BYTE_0 src1_sel:DWORD
	v_bfrev_b32_e32 v0, 1
	s_and_saveexec_b64 s[56:57], vcc
	s_cbranch_execz .LBB4_389
; %bb.386:                              ;   in Loop: Header=BB4_124 Depth=2
	v_bfe_u32 v3, v13, 16, 7
	v_cmp_ne_u32_e32 vcc, s75, v3
	v_mov_b32_e32 v0, 0x7f800001
	s_and_saveexec_b64 s[58:59], vcc
	s_cbranch_execz .LBB4_388
; %bb.387:                              ;   in Loop: Header=BB4_124 Depth=2
	v_and_b32_e32 v0, 7, v10
	v_ffbh_u32_e32 v14, v0
	v_min_u32_e32 v16, 32, v14
	v_lshrrev_b32_e32 v11, 3, v3
	v_subrev_u32_e32 v14, 28, v16
	v_lshlrev_b64 v[14:15], v14, v[10:11]
	v_sub_u32_e32 v15, 29, v16
	v_and_b32_e32 v14, 7, v14
	v_cmp_gt_u32_e32 vcc, 8, v3
	v_cndmask_b32_e32 v3, v11, v15, vcc
	v_cndmask_b32_e32 v0, v0, v14, vcc
	v_lshlrev_b32_e32 v10, 24, v10
	v_bfrev_b32_e32 v11, 60
	v_lshlrev_b32_e32 v0, 20, v0
	v_and_b32_e32 v10, 0x80000000, v10
	v_lshl_add_u32 v3, v3, 23, v11
	v_or3_b32 v0, v10, v3, v0
.LBB4_388:                              ;   in Loop: Header=BB4_124 Depth=2
	s_or_b64 exec, exec, s[58:59]
.LBB4_389:                              ;   in Loop: Header=BB4_124 Depth=2
	s_or_b64 exec, exec, s[56:57]
.LBB4_390:                              ;   in Loop: Header=BB4_124 Depth=2
	s_or_b64 exec, exec, s[22:23]
	v_mul_f32_e32 v3, v7, v0
	v_and_b32_sdwa v0, v3, s76 dst_sel:DWORD dst_unused:UNUSED_PAD src0_sel:BYTE_3 src1_sel:DWORD
	v_and_b32_e32 v10, 0x7f800000, v3
	v_mov_b32_e32 v11, v39
	v_and_b32_e32 v38, 0x7fffff, v3
	v_or_b32_e32 v36, 0x7e, v0
	v_cmp_ne_u64_e32 vcc, s[42:43], v[10:11]
	s_and_saveexec_b64 s[22:23], vcc
	s_xor_b64 s[56:57], exec, s[22:23]
	s_cbranch_execz .LBB4_400
; %bb.391:                              ;   in Loop: Header=BB4_124 Depth=2
	v_and_b32_e32 v10, 0x7fffffff, v3
	v_mov_b32_e32 v11, v39
	v_cmp_gt_u64_e32 vcc, s[44:45], v[10:11]
	s_and_saveexec_b64 s[58:59], vcc
	s_cbranch_execz .LBB4_399
; %bb.392:                              ;   in Loop: Header=BB4_124 Depth=2
	v_cmp_ne_u32_e32 vcc, 0, v3
	v_mov_b32_e32 v36, 0
	s_and_saveexec_b64 s[60:61], vcc
	s_cbranch_execz .LBB4_398
; %bb.393:                              ;   in Loop: Header=BB4_124 Depth=2
	v_bfe_u32 v3, v3, 23, 8
	v_sub_u32_e32 v11, 0x79, v3
	v_cmp_gt_u32_e32 vcc, s77, v3
	v_add_u32_e32 v10, 0xffffff81, v3
	v_cndmask_b32_e32 v11, 0, v11, vcc
	v_cmp_eq_u32_e32 vcc, 0, v3
	v_mov_b32_e32 v3, 0xffffff82
	v_cndmask_b32_e32 v3, v10, v3, vcc
	v_mov_b32_e32 v10, 0x78
	v_or_b32_e32 v14, 0x800000, v38
	v_cndmask_b32_e32 v15, v11, v10, vcc
	v_cndmask_b32_e32 v38, v14, v38, vcc
	v_add_u32_e32 v10, 20, v15
	v_lshlrev_b64 v[10:11], v10, -1
	v_add_u32_e32 v14, 19, v15
	v_lshrrev_b64 v[24:25], v15, v[38:39]
	v_not_b32_e32 v11, v11
	v_not_b32_e32 v10, v10
	v_lshlrev_b64 v[16:17], v14, 1
	v_lshrrev_b32_e32 v14, 23, v24
	v_and_b32_e32 v11, 0, v11
	v_and_b32_e32 v10, v38, v10
	v_add3_u32 v15, v15, v3, v14
	v_bfe_u32 v3, v24, 20, 1
	v_add_u32_e32 v3, -1, v3
	v_cmp_eq_u64_e32 vcc, v[10:11], v[16:17]
	v_cndmask_b32_e32 v3, 0, v3, vcc
	v_add_u32_e32 v3, v3, v24
	v_and_b32_e32 v3, 0xfffff, v3
	v_add_co_u32_e32 v10, vcc, v3, v24
	v_add_u32_e32 v14, 6, v15
	v_addc_co_u32_e32 v11, vcc, 0, v25, vcc
	v_cmp_ne_u32_e32 vcc, 0, v14
                                        ; implicit-def: $vgpr3
	s_and_saveexec_b64 s[22:23], vcc
	s_xor_b64 s[22:23], exec, s[22:23]
; %bb.394:                              ;   in Loop: Header=BB4_124 Depth=2
	v_add_u32_e32 v3, 7, v15
	v_cmp_lt_u64_e32 vcc, s[48:49], v[10:11]
	v_cndmask_b32_e32 v3, v14, v3, vcc
	v_cndmask_b32_e64 v14, 0, 1, vcc
	v_lshrrev_b64 v[10:11], v14, v[10:11]
; %bb.395:                              ;   in Loop: Header=BB4_124 Depth=2
	s_andn2_saveexec_b64 s[22:23], s[22:23]
; %bb.396:                              ;   in Loop: Header=BB4_124 Depth=2
	v_bfe_u32 v3, v10, 23, 1
; %bb.397:                              ;   in Loop: Header=BB4_124 Depth=2
	s_or_b64 exec, exec, s[22:23]
	v_lshrrev_b64 v[10:11], 20, v[10:11]
	v_cmp_gt_i32_e32 vcc, 16, v3
	v_cndmask_b32_e32 v11, 0, v11, vcc
	v_cndmask_b32_e32 v10, 7, v10, vcc
	v_cmp_eq_u32_e32 vcc, 0, v3
	v_min_i32_e32 v3, 15, v3
	v_lshlrev_b32_e32 v3, 3, v3
	v_cmp_eq_u64_e64 s[22:23], 0, v[10:11]
	v_and_b32_e32 v3, 0xf8, v3
	v_and_or_b32 v3, v10, 7, v3
	s_and_b64 s[22:23], vcc, s[22:23]
	v_cndmask_b32_e64 v3, v3, 0, s[22:23]
	v_or_b32_e32 v36, v3, v0
.LBB4_398:                              ;   in Loop: Header=BB4_124 Depth=2
	s_or_b64 exec, exec, s[60:61]
.LBB4_399:                              ;   in Loop: Header=BB4_124 Depth=2
	s_or_b64 exec, exec, s[58:59]
                                        ; implicit-def: $vgpr3
.LBB4_400:                              ;   in Loop: Header=BB4_124 Depth=2
	s_andn2_saveexec_b64 s[22:23], s[56:57]
; %bb.401:                              ;   in Loop: Header=BB4_124 Depth=2
	v_or_b32_sdwa v0, v3, s75 dst_sel:DWORD dst_unused:UNUSED_PAD src0_sel:BYTE_3 src1_sel:DWORD
	v_cmp_eq_u64_e32 vcc, 0, v[38:39]
	v_cndmask_b32_e32 v36, v0, v36, vcc
; %bb.402:                              ;   in Loop: Header=BB4_124 Depth=2
	s_or_b64 exec, exec, s[22:23]
	v_cmp_lt_u64_e32 vcc, s[46:47], v[12:13]
	v_mov_b32_e32 v0, 0
	s_and_saveexec_b64 s[22:23], vcc
	s_cbranch_execz .LBB4_408
; %bb.403:                              ;   in Loop: Header=BB4_124 Depth=2
	v_lshrrev_b32_e32 v10, 24, v13
	v_cmp_ne_u32_e32 vcc, s76, v10
	v_bfrev_b32_e32 v0, 1
	s_and_saveexec_b64 s[56:57], vcc
	s_cbranch_execz .LBB4_407
; %bb.404:                              ;   in Loop: Header=BB4_124 Depth=2
	v_bfe_u32 v3, v13, 24, 7
	v_cmp_ne_u32_e32 vcc, s75, v3
	v_mov_b32_e32 v0, 0x7f800001
	s_and_saveexec_b64 s[58:59], vcc
	s_cbranch_execz .LBB4_406
; %bb.405:                              ;   in Loop: Header=BB4_124 Depth=2
	v_and_b32_e32 v0, 7, v10
	v_ffbh_u32_e32 v12, v0
	v_min_u32_e32 v14, 32, v12
	v_lshrrev_b32_e32 v11, 3, v3
	v_subrev_u32_e32 v12, 28, v14
	v_lshlrev_b64 v[12:13], v12, v[10:11]
	v_sub_u32_e32 v13, 29, v14
	v_and_b32_e32 v12, 7, v12
	v_cmp_gt_u32_e32 vcc, 8, v3
	v_cndmask_b32_e32 v3, v11, v13, vcc
	v_cndmask_b32_e32 v0, v0, v12, vcc
	v_lshlrev_b32_e32 v10, 24, v10
	v_bfrev_b32_e32 v11, 60
	v_lshlrev_b32_e32 v0, 20, v0
	v_and_b32_e32 v10, 0x80000000, v10
	v_lshl_add_u32 v3, v3, 23, v11
	v_or3_b32 v0, v10, v3, v0
.LBB4_406:                              ;   in Loop: Header=BB4_124 Depth=2
	s_or_b64 exec, exec, s[58:59]
.LBB4_407:                              ;   in Loop: Header=BB4_124 Depth=2
	s_or_b64 exec, exec, s[56:57]
.LBB4_408:                              ;   in Loop: Header=BB4_124 Depth=2
	s_or_b64 exec, exec, s[22:23]
	v_mul_f32_e32 v3, v7, v0
	v_and_b32_sdwa v0, v3, s76 dst_sel:DWORD dst_unused:UNUSED_PAD src0_sel:BYTE_3 src1_sel:DWORD
	v_and_b32_e32 v10, 0x7f800000, v3
	v_mov_b32_e32 v11, v39
	v_and_b32_e32 v38, 0x7fffff, v3
	v_or_b32_e32 v21, 0x7e, v0
	v_cmp_ne_u64_e32 vcc, s[42:43], v[10:11]
	s_and_saveexec_b64 s[22:23], vcc
	s_xor_b64 s[56:57], exec, s[22:23]
	s_cbranch_execz .LBB4_418
; %bb.409:                              ;   in Loop: Header=BB4_124 Depth=2
	v_and_b32_e32 v10, 0x7fffffff, v3
	v_mov_b32_e32 v11, v39
	v_cmp_gt_u64_e32 vcc, s[44:45], v[10:11]
	s_and_saveexec_b64 s[58:59], vcc
	s_cbranch_execz .LBB4_417
; %bb.410:                              ;   in Loop: Header=BB4_124 Depth=2
	v_cmp_ne_u32_e32 vcc, 0, v3
	v_mov_b32_e32 v21, 0
	s_and_saveexec_b64 s[60:61], vcc
	s_cbranch_execz .LBB4_416
; %bb.411:                              ;   in Loop: Header=BB4_124 Depth=2
	v_bfe_u32 v3, v3, 23, 8
	v_sub_u32_e32 v11, 0x79, v3
	v_cmp_gt_u32_e32 vcc, s77, v3
	v_add_u32_e32 v10, 0xffffff81, v3
	v_cndmask_b32_e32 v11, 0, v11, vcc
	v_cmp_eq_u32_e32 vcc, 0, v3
	v_mov_b32_e32 v3, 0xffffff82
	v_cndmask_b32_e32 v3, v10, v3, vcc
	v_mov_b32_e32 v10, 0x78
	v_or_b32_e32 v12, 0x800000, v38
	v_cndmask_b32_e32 v13, v11, v10, vcc
	v_cndmask_b32_e32 v38, v12, v38, vcc
	v_add_u32_e32 v10, 20, v13
	v_lshlrev_b64 v[10:11], v10, -1
	v_add_u32_e32 v12, 19, v13
	v_lshrrev_b64 v[16:17], v13, v[38:39]
	v_not_b32_e32 v11, v11
	v_not_b32_e32 v10, v10
	v_lshlrev_b64 v[14:15], v12, 1
	v_lshrrev_b32_e32 v12, 23, v16
	v_and_b32_e32 v11, 0, v11
	v_and_b32_e32 v10, v38, v10
	v_add3_u32 v13, v13, v3, v12
	v_bfe_u32 v3, v16, 20, 1
	v_add_u32_e32 v3, -1, v3
	v_cmp_eq_u64_e32 vcc, v[10:11], v[14:15]
	v_cndmask_b32_e32 v3, 0, v3, vcc
	v_add_u32_e32 v3, v3, v16
	v_and_b32_e32 v3, 0xfffff, v3
	v_add_co_u32_e32 v10, vcc, v3, v16
	v_add_u32_e32 v12, 6, v13
	v_addc_co_u32_e32 v11, vcc, 0, v17, vcc
	v_cmp_ne_u32_e32 vcc, 0, v12
                                        ; implicit-def: $vgpr3
	s_and_saveexec_b64 s[22:23], vcc
	s_xor_b64 s[22:23], exec, s[22:23]
; %bb.412:                              ;   in Loop: Header=BB4_124 Depth=2
	v_add_u32_e32 v3, 7, v13
	v_cmp_lt_u64_e32 vcc, s[48:49], v[10:11]
	v_cndmask_b32_e32 v3, v12, v3, vcc
	v_cndmask_b32_e64 v12, 0, 1, vcc
	v_lshrrev_b64 v[10:11], v12, v[10:11]
; %bb.413:                              ;   in Loop: Header=BB4_124 Depth=2
	s_andn2_saveexec_b64 s[22:23], s[22:23]
; %bb.414:                              ;   in Loop: Header=BB4_124 Depth=2
	v_bfe_u32 v3, v10, 23, 1
; %bb.415:                              ;   in Loop: Header=BB4_124 Depth=2
	s_or_b64 exec, exec, s[22:23]
	v_lshrrev_b64 v[10:11], 20, v[10:11]
	v_cmp_gt_i32_e32 vcc, 16, v3
	v_cndmask_b32_e32 v11, 0, v11, vcc
	v_cndmask_b32_e32 v10, 7, v10, vcc
	v_cmp_eq_u32_e32 vcc, 0, v3
	v_min_i32_e32 v3, 15, v3
	v_lshlrev_b32_e32 v3, 3, v3
	v_cmp_eq_u64_e64 s[22:23], 0, v[10:11]
	v_and_b32_e32 v3, 0xf8, v3
	v_and_or_b32 v3, v10, 7, v3
	s_and_b64 s[22:23], vcc, s[22:23]
	v_cndmask_b32_e64 v3, v3, 0, s[22:23]
	v_or_b32_e32 v21, v3, v0
.LBB4_416:                              ;   in Loop: Header=BB4_124 Depth=2
	s_or_b64 exec, exec, s[60:61]
.LBB4_417:                              ;   in Loop: Header=BB4_124 Depth=2
	s_or_b64 exec, exec, s[58:59]
                                        ; implicit-def: $vgpr3
.LBB4_418:                              ;   in Loop: Header=BB4_124 Depth=2
	s_andn2_saveexec_b64 s[22:23], s[56:57]
; %bb.419:                              ;   in Loop: Header=BB4_124 Depth=2
	v_or_b32_sdwa v0, v3, s75 dst_sel:DWORD dst_unused:UNUSED_PAD src0_sel:BYTE_3 src1_sel:DWORD
	v_cmp_eq_u64_e32 vcc, 0, v[38:39]
	v_cndmask_b32_e32 v21, v0, v21, vcc
; %bb.420:                              ;   in Loop: Header=BB4_124 Depth=2
	s_or_b64 exec, exec, s[22:23]
	global_load_dwordx4 v[10:13], v[44:45], off offset:1024 glc slc
	v_mov_b32_e32 v0, 0
	s_waitcnt vmcnt(0)
	v_cmp_ne_u16_sdwa vcc, v10, v39 src0_sel:BYTE_0 src1_sel:DWORD
	s_and_saveexec_b64 s[22:23], vcc
	s_cbranch_execz .LBB4_426
; %bb.421:                              ;   in Loop: Header=BB4_124 Depth=2
	v_cmp_ne_u16_sdwa vcc, v10, s76 src0_sel:BYTE_0 src1_sel:DWORD
	v_bfrev_b32_e32 v0, 1
	s_and_saveexec_b64 s[56:57], vcc
	s_cbranch_execz .LBB4_425
; %bb.422:                              ;   in Loop: Header=BB4_124 Depth=2
	v_and_b32_e32 v3, 0x7f, v10
	v_cmp_ne_u32_e32 vcc, s75, v3
	v_mov_b32_e32 v0, 0x7f800001
	s_and_saveexec_b64 s[58:59], vcc
	s_cbranch_execz .LBB4_424
; %bb.423:                              ;   in Loop: Header=BB4_124 Depth=2
	v_and_b32_e32 v0, 7, v10
	v_ffbh_u32_e32 v0, v0
	v_min_u32_e32 v0, 32, v0
	v_subrev_u32_e32 v15, 28, v0
	v_cmp_gt_u32_e32 vcc, 8, v3
	v_lshrrev_b32_e32 v14, 3, v3
	v_sub_u32_e32 v0, 29, v0
	v_cndmask_b32_e32 v3, 0, v15, vcc
	v_cndmask_b32_e32 v0, v14, v0, vcc
	v_lshlrev_b64 v[14:15], v3, v[10:11]
	v_lshlrev_b32_e32 v3, 20, v14
	v_lshlrev_b32_e32 v14, 24, v10
	v_bfrev_b32_e32 v15, 60
	v_and_b32_e32 v3, 0x700000, v3
	v_and_b32_e32 v14, 0x80000000, v14
	v_lshl_add_u32 v0, v0, 23, v15
	v_or3_b32 v0, v14, v0, v3
.LBB4_424:                              ;   in Loop: Header=BB4_124 Depth=2
	s_or_b64 exec, exec, s[58:59]
.LBB4_425:                              ;   in Loop: Header=BB4_124 Depth=2
	s_or_b64 exec, exec, s[56:57]
.LBB4_426:                              ;   in Loop: Header=BB4_124 Depth=2
	s_or_b64 exec, exec, s[22:23]
	v_mul_f32_e32 v3, v7, v0
	v_and_b32_sdwa v0, v3, s76 dst_sel:DWORD dst_unused:UNUSED_PAD src0_sel:BYTE_3 src1_sel:DWORD
	v_and_b32_e32 v14, 0x7f800000, v3
	v_mov_b32_e32 v15, v39
	v_and_b32_e32 v38, 0x7fffff, v3
	v_or_b32_e32 v31, 0x7e, v0
	v_cmp_ne_u64_e32 vcc, s[42:43], v[14:15]
	s_and_saveexec_b64 s[22:23], vcc
	s_xor_b64 s[56:57], exec, s[22:23]
	s_cbranch_execz .LBB4_436
; %bb.427:                              ;   in Loop: Header=BB4_124 Depth=2
	v_and_b32_e32 v14, 0x7fffffff, v3
	v_mov_b32_e32 v15, v39
	v_cmp_gt_u64_e32 vcc, s[44:45], v[14:15]
	s_and_saveexec_b64 s[58:59], vcc
	s_cbranch_execz .LBB4_435
; %bb.428:                              ;   in Loop: Header=BB4_124 Depth=2
	v_cmp_ne_u32_e32 vcc, 0, v3
	v_mov_b32_e32 v31, 0
	s_and_saveexec_b64 s[60:61], vcc
	s_cbranch_execz .LBB4_434
; %bb.429:                              ;   in Loop: Header=BB4_124 Depth=2
	v_bfe_u32 v3, v3, 23, 8
	v_sub_u32_e32 v15, 0x79, v3
	v_cmp_gt_u32_e32 vcc, s77, v3
	v_add_u32_e32 v14, 0xffffff81, v3
	v_cndmask_b32_e32 v15, 0, v15, vcc
	v_cmp_eq_u32_e32 vcc, 0, v3
	v_mov_b32_e32 v3, 0xffffff82
	v_cndmask_b32_e32 v3, v14, v3, vcc
	v_mov_b32_e32 v14, 0x78
	v_or_b32_e32 v16, 0x800000, v38
	v_cndmask_b32_e32 v17, v15, v14, vcc
	v_cndmask_b32_e32 v38, v16, v38, vcc
	v_add_u32_e32 v14, 20, v17
	v_lshlrev_b64 v[14:15], v14, -1
	v_add_u32_e32 v16, 19, v17
	v_lshrrev_b64 v[26:27], v17, v[38:39]
	v_not_b32_e32 v15, v15
	v_not_b32_e32 v14, v14
	v_lshlrev_b64 v[24:25], v16, 1
	v_lshrrev_b32_e32 v16, 23, v26
	v_and_b32_e32 v15, 0, v15
	v_and_b32_e32 v14, v38, v14
	v_add3_u32 v17, v17, v3, v16
	v_bfe_u32 v3, v26, 20, 1
	v_add_u32_e32 v3, -1, v3
	v_cmp_eq_u64_e32 vcc, v[14:15], v[24:25]
	v_cndmask_b32_e32 v3, 0, v3, vcc
	v_add_u32_e32 v3, v3, v26
	v_and_b32_e32 v3, 0xfffff, v3
	v_add_co_u32_e32 v14, vcc, v3, v26
	v_add_u32_e32 v16, 6, v17
	v_addc_co_u32_e32 v15, vcc, 0, v27, vcc
	v_cmp_ne_u32_e32 vcc, 0, v16
                                        ; implicit-def: $vgpr3
	s_and_saveexec_b64 s[22:23], vcc
	s_xor_b64 s[22:23], exec, s[22:23]
; %bb.430:                              ;   in Loop: Header=BB4_124 Depth=2
	v_add_u32_e32 v3, 7, v17
	v_cmp_lt_u64_e32 vcc, s[48:49], v[14:15]
	v_cndmask_b32_e32 v3, v16, v3, vcc
	v_cndmask_b32_e64 v16, 0, 1, vcc
	v_lshrrev_b64 v[14:15], v16, v[14:15]
; %bb.431:                              ;   in Loop: Header=BB4_124 Depth=2
	s_andn2_saveexec_b64 s[22:23], s[22:23]
; %bb.432:                              ;   in Loop: Header=BB4_124 Depth=2
	v_bfe_u32 v3, v14, 23, 1
; %bb.433:                              ;   in Loop: Header=BB4_124 Depth=2
	s_or_b64 exec, exec, s[22:23]
	v_lshrrev_b64 v[14:15], 20, v[14:15]
	v_cmp_gt_i32_e32 vcc, 16, v3
	v_cndmask_b32_e32 v15, 0, v15, vcc
	v_cndmask_b32_e32 v14, 7, v14, vcc
	v_cmp_eq_u32_e32 vcc, 0, v3
	v_min_i32_e32 v3, 15, v3
	v_cmp_eq_u64_e64 s[22:23], 0, v[14:15]
	v_lshlrev_b32_e32 v3, 3, v3
	v_and_or_b32 v3, v14, 7, v3
	s_and_b64 s[22:23], vcc, s[22:23]
	v_cndmask_b32_e64 v3, v3, 0, s[22:23]
	v_or_b32_e32 v31, v3, v0
.LBB4_434:                              ;   in Loop: Header=BB4_124 Depth=2
	s_or_b64 exec, exec, s[60:61]
.LBB4_435:                              ;   in Loop: Header=BB4_124 Depth=2
	s_or_b64 exec, exec, s[58:59]
                                        ; implicit-def: $vgpr3
.LBB4_436:                              ;   in Loop: Header=BB4_124 Depth=2
	s_andn2_saveexec_b64 s[22:23], s[56:57]
; %bb.437:                              ;   in Loop: Header=BB4_124 Depth=2
	v_or_b32_sdwa v0, v3, s75 dst_sel:DWORD dst_unused:UNUSED_PAD src0_sel:BYTE_3 src1_sel:DWORD
	v_cmp_eq_u64_e32 vcc, 0, v[38:39]
	v_cndmask_b32_e32 v31, v0, v31, vcc
; %bb.438:                              ;   in Loop: Header=BB4_124 Depth=2
	s_or_b64 exec, exec, s[22:23]
	v_lshrrev_b16_e32 v14, 8, v10
	v_cmp_ne_u16_e32 vcc, 0, v14
	v_mov_b32_e32 v0, 0
	s_and_saveexec_b64 s[22:23], vcc
	s_cbranch_execz .LBB4_444
; %bb.439:                              ;   in Loop: Header=BB4_124 Depth=2
	v_cmp_ne_u16_e32 vcc, s76, v14
	v_bfrev_b32_e32 v0, 1
	s_and_saveexec_b64 s[56:57], vcc
	s_cbranch_execz .LBB4_443
; %bb.440:                              ;   in Loop: Header=BB4_124 Depth=2
	v_and_b32_e32 v3, 0x7f, v14
	v_cmp_ne_u32_e32 vcc, s75, v3
	v_mov_b32_e32 v0, 0x7f800001
	s_and_saveexec_b64 s[58:59], vcc
	s_cbranch_execz .LBB4_442
; %bb.441:                              ;   in Loop: Header=BB4_124 Depth=2
	v_and_b32_e32 v0, 7, v14
	v_ffbh_u32_e32 v15, v0
	v_min_u32_e32 v17, 32, v15
	v_subrev_u32_e32 v15, 28, v17
	v_lshlrev_b64 v[14:15], v15, v[14:15]
	v_lshrrev_b32_e32 v16, 3, v3
	v_sub_u32_e32 v15, 29, v17
	v_and_b32_e32 v14, 7, v14
	v_cmp_gt_u32_e32 vcc, 8, v3
	v_cndmask_b32_e32 v3, v16, v15, vcc
	v_cndmask_b32_e32 v0, v0, v14, vcc
	v_lshlrev_b32_e32 v14, 16, v10
	v_bfrev_b32_e32 v15, 60
	v_lshlrev_b32_e32 v0, 20, v0
	v_and_b32_e32 v14, 0x80000000, v14
	v_lshl_add_u32 v3, v3, 23, v15
	v_or3_b32 v0, v14, v3, v0
.LBB4_442:                              ;   in Loop: Header=BB4_124 Depth=2
	s_or_b64 exec, exec, s[58:59]
.LBB4_443:                              ;   in Loop: Header=BB4_124 Depth=2
	s_or_b64 exec, exec, s[56:57]
.LBB4_444:                              ;   in Loop: Header=BB4_124 Depth=2
	s_or_b64 exec, exec, s[22:23]
	v_mul_f32_e32 v3, v7, v0
	v_and_b32_sdwa v0, v3, s76 dst_sel:DWORD dst_unused:UNUSED_PAD src0_sel:BYTE_3 src1_sel:DWORD
	v_and_b32_e32 v14, 0x7f800000, v3
	v_mov_b32_e32 v15, v39
	v_and_b32_e32 v38, 0x7fffff, v3
	v_or_b32_e32 v35, 0x7e, v0
	v_cmp_ne_u64_e32 vcc, s[42:43], v[14:15]
	s_and_saveexec_b64 s[22:23], vcc
	s_xor_b64 s[56:57], exec, s[22:23]
	s_cbranch_execz .LBB4_454
; %bb.445:                              ;   in Loop: Header=BB4_124 Depth=2
	v_and_b32_e32 v14, 0x7fffffff, v3
	v_mov_b32_e32 v15, v39
	v_cmp_gt_u64_e32 vcc, s[44:45], v[14:15]
	s_and_saveexec_b64 s[58:59], vcc
	s_cbranch_execz .LBB4_453
; %bb.446:                              ;   in Loop: Header=BB4_124 Depth=2
	v_cmp_ne_u32_e32 vcc, 0, v3
	v_mov_b32_e32 v35, 0
	s_and_saveexec_b64 s[60:61], vcc
	s_cbranch_execz .LBB4_452
; %bb.447:                              ;   in Loop: Header=BB4_124 Depth=2
	v_bfe_u32 v3, v3, 23, 8
	v_sub_u32_e32 v15, 0x79, v3
	v_cmp_gt_u32_e32 vcc, s77, v3
	v_add_u32_e32 v14, 0xffffff81, v3
	v_cndmask_b32_e32 v15, 0, v15, vcc
	v_cmp_eq_u32_e32 vcc, 0, v3
	v_mov_b32_e32 v3, 0xffffff82
	v_cndmask_b32_e32 v3, v14, v3, vcc
	v_mov_b32_e32 v14, 0x78
	v_or_b32_e32 v16, 0x800000, v38
	v_cndmask_b32_e32 v17, v15, v14, vcc
	v_cndmask_b32_e32 v38, v16, v38, vcc
	v_add_u32_e32 v14, 20, v17
	v_lshlrev_b64 v[14:15], v14, -1
	v_add_u32_e32 v16, 19, v17
	v_lshrrev_b64 v[26:27], v17, v[38:39]
	v_not_b32_e32 v15, v15
	v_not_b32_e32 v14, v14
	v_lshlrev_b64 v[24:25], v16, 1
	v_lshrrev_b32_e32 v16, 23, v26
	v_and_b32_e32 v15, 0, v15
	v_and_b32_e32 v14, v38, v14
	v_add3_u32 v17, v17, v3, v16
	v_bfe_u32 v3, v26, 20, 1
	v_add_u32_e32 v3, -1, v3
	v_cmp_eq_u64_e32 vcc, v[14:15], v[24:25]
	v_cndmask_b32_e32 v3, 0, v3, vcc
	v_add_u32_e32 v3, v3, v26
	v_and_b32_e32 v3, 0xfffff, v3
	v_add_co_u32_e32 v14, vcc, v3, v26
	v_add_u32_e32 v16, 6, v17
	v_addc_co_u32_e32 v15, vcc, 0, v27, vcc
	v_cmp_ne_u32_e32 vcc, 0, v16
                                        ; implicit-def: $vgpr3
	s_and_saveexec_b64 s[22:23], vcc
	s_xor_b64 s[22:23], exec, s[22:23]
; %bb.448:                              ;   in Loop: Header=BB4_124 Depth=2
	v_add_u32_e32 v3, 7, v17
	v_cmp_lt_u64_e32 vcc, s[48:49], v[14:15]
	v_cndmask_b32_e32 v3, v16, v3, vcc
	v_cndmask_b32_e64 v16, 0, 1, vcc
	v_lshrrev_b64 v[14:15], v16, v[14:15]
; %bb.449:                              ;   in Loop: Header=BB4_124 Depth=2
	s_andn2_saveexec_b64 s[22:23], s[22:23]
; %bb.450:                              ;   in Loop: Header=BB4_124 Depth=2
	v_bfe_u32 v3, v14, 23, 1
; %bb.451:                              ;   in Loop: Header=BB4_124 Depth=2
	s_or_b64 exec, exec, s[22:23]
	v_lshrrev_b64 v[14:15], 20, v[14:15]
	v_cmp_gt_i32_e32 vcc, 16, v3
	v_cndmask_b32_e32 v15, 0, v15, vcc
	v_cndmask_b32_e32 v14, 7, v14, vcc
	v_cmp_eq_u32_e32 vcc, 0, v3
	v_min_i32_e32 v3, 15, v3
	v_cmp_eq_u64_e64 s[22:23], 0, v[14:15]
	v_lshlrev_b32_e32 v3, 3, v3
	v_and_or_b32 v3, v14, 7, v3
	s_and_b64 s[22:23], vcc, s[22:23]
	v_cndmask_b32_e64 v3, v3, 0, s[22:23]
	v_or_b32_e32 v35, v3, v0
.LBB4_452:                              ;   in Loop: Header=BB4_124 Depth=2
	s_or_b64 exec, exec, s[60:61]
.LBB4_453:                              ;   in Loop: Header=BB4_124 Depth=2
	s_or_b64 exec, exec, s[58:59]
                                        ; implicit-def: $vgpr3
.LBB4_454:                              ;   in Loop: Header=BB4_124 Depth=2
	s_andn2_saveexec_b64 s[22:23], s[56:57]
; %bb.455:                              ;   in Loop: Header=BB4_124 Depth=2
	v_or_b32_sdwa v0, v3, s75 dst_sel:DWORD dst_unused:UNUSED_PAD src0_sel:BYTE_3 src1_sel:DWORD
	v_cmp_eq_u64_e32 vcc, 0, v[38:39]
	v_cndmask_b32_e32 v35, v0, v35, vcc
; %bb.456:                              ;   in Loop: Header=BB4_124 Depth=2
	s_or_b64 exec, exec, s[22:23]
	v_lshrrev_b32_e32 v14, 16, v10
	v_cmp_ne_u16_sdwa vcc, v14, v39 src0_sel:BYTE_0 src1_sel:DWORD
	v_mov_b32_e32 v0, 0
	s_and_saveexec_b64 s[22:23], vcc
	s_cbranch_execz .LBB4_462
; %bb.457:                              ;   in Loop: Header=BB4_124 Depth=2
	v_cmp_ne_u16_sdwa vcc, v14, s76 src0_sel:BYTE_0 src1_sel:DWORD
	v_bfrev_b32_e32 v0, 1
	s_and_saveexec_b64 s[56:57], vcc
	s_cbranch_execz .LBB4_461
; %bb.458:                              ;   in Loop: Header=BB4_124 Depth=2
	v_bfe_u32 v3, v10, 16, 7
	v_cmp_ne_u32_e32 vcc, s75, v3
	v_mov_b32_e32 v0, 0x7f800001
	s_and_saveexec_b64 s[58:59], vcc
	s_cbranch_execz .LBB4_460
; %bb.459:                              ;   in Loop: Header=BB4_124 Depth=2
	v_and_b32_e32 v0, 7, v14
	v_ffbh_u32_e32 v16, v0
	v_min_u32_e32 v18, 32, v16
	v_lshrrev_b32_e32 v15, 3, v3
	v_subrev_u32_e32 v16, 28, v18
	v_lshlrev_b64 v[16:17], v16, v[14:15]
	v_sub_u32_e32 v17, 29, v18
	v_and_b32_e32 v16, 7, v16
	v_cmp_gt_u32_e32 vcc, 8, v3
	v_cndmask_b32_e32 v3, v15, v17, vcc
	v_cndmask_b32_e32 v0, v0, v16, vcc
	v_lshlrev_b32_e32 v14, 24, v14
	v_bfrev_b32_e32 v15, 60
	v_lshlrev_b32_e32 v0, 20, v0
	v_and_b32_e32 v14, 0x80000000, v14
	v_lshl_add_u32 v3, v3, 23, v15
	v_or3_b32 v0, v14, v3, v0
.LBB4_460:                              ;   in Loop: Header=BB4_124 Depth=2
	s_or_b64 exec, exec, s[58:59]
.LBB4_461:                              ;   in Loop: Header=BB4_124 Depth=2
	s_or_b64 exec, exec, s[56:57]
.LBB4_462:                              ;   in Loop: Header=BB4_124 Depth=2
	s_or_b64 exec, exec, s[22:23]
	v_mul_f32_e32 v3, v7, v0
	v_and_b32_sdwa v0, v3, s76 dst_sel:DWORD dst_unused:UNUSED_PAD src0_sel:BYTE_3 src1_sel:DWORD
	v_and_b32_e32 v14, 0x7f800000, v3
	v_mov_b32_e32 v15, v39
	v_and_b32_e32 v38, 0x7fffff, v3
	v_or_b32_e32 v60, 0x7e, v0
	v_cmp_ne_u64_e32 vcc, s[42:43], v[14:15]
	s_and_saveexec_b64 s[22:23], vcc
	s_xor_b64 s[56:57], exec, s[22:23]
	s_cbranch_execz .LBB4_472
; %bb.463:                              ;   in Loop: Header=BB4_124 Depth=2
	v_and_b32_e32 v14, 0x7fffffff, v3
	v_mov_b32_e32 v15, v39
	v_cmp_gt_u64_e32 vcc, s[44:45], v[14:15]
	s_and_saveexec_b64 s[58:59], vcc
	s_cbranch_execz .LBB4_471
; %bb.464:                              ;   in Loop: Header=BB4_124 Depth=2
	v_cmp_ne_u32_e32 vcc, 0, v3
	v_mov_b32_e32 v60, 0
	s_and_saveexec_b64 s[60:61], vcc
	s_cbranch_execz .LBB4_470
; %bb.465:                              ;   in Loop: Header=BB4_124 Depth=2
	v_bfe_u32 v3, v3, 23, 8
	v_sub_u32_e32 v15, 0x79, v3
	v_cmp_gt_u32_e32 vcc, s77, v3
	v_add_u32_e32 v14, 0xffffff81, v3
	v_cndmask_b32_e32 v15, 0, v15, vcc
	v_cmp_eq_u32_e32 vcc, 0, v3
	v_mov_b32_e32 v3, 0xffffff82
	v_cndmask_b32_e32 v3, v14, v3, vcc
	v_mov_b32_e32 v14, 0x78
	v_or_b32_e32 v16, 0x800000, v38
	v_cndmask_b32_e32 v17, v15, v14, vcc
	v_cndmask_b32_e32 v38, v16, v38, vcc
	v_add_u32_e32 v14, 20, v17
	v_lshlrev_b64 v[14:15], v14, -1
	v_add_u32_e32 v16, 19, v17
	v_lshrrev_b64 v[26:27], v17, v[38:39]
	v_not_b32_e32 v15, v15
	v_not_b32_e32 v14, v14
	v_lshlrev_b64 v[24:25], v16, 1
	v_lshrrev_b32_e32 v16, 23, v26
	v_and_b32_e32 v15, 0, v15
	v_and_b32_e32 v14, v38, v14
	v_add3_u32 v17, v17, v3, v16
	v_bfe_u32 v3, v26, 20, 1
	v_add_u32_e32 v3, -1, v3
	v_cmp_eq_u64_e32 vcc, v[14:15], v[24:25]
	v_cndmask_b32_e32 v3, 0, v3, vcc
	v_add_u32_e32 v3, v3, v26
	v_and_b32_e32 v3, 0xfffff, v3
	v_add_co_u32_e32 v14, vcc, v3, v26
	v_add_u32_e32 v16, 6, v17
	v_addc_co_u32_e32 v15, vcc, 0, v27, vcc
	v_cmp_ne_u32_e32 vcc, 0, v16
                                        ; implicit-def: $vgpr3
	s_and_saveexec_b64 s[22:23], vcc
	s_xor_b64 s[22:23], exec, s[22:23]
; %bb.466:                              ;   in Loop: Header=BB4_124 Depth=2
	v_add_u32_e32 v3, 7, v17
	v_cmp_lt_u64_e32 vcc, s[48:49], v[14:15]
	v_cndmask_b32_e32 v3, v16, v3, vcc
	v_cndmask_b32_e64 v16, 0, 1, vcc
	v_lshrrev_b64 v[14:15], v16, v[14:15]
; %bb.467:                              ;   in Loop: Header=BB4_124 Depth=2
	s_andn2_saveexec_b64 s[22:23], s[22:23]
; %bb.468:                              ;   in Loop: Header=BB4_124 Depth=2
	v_bfe_u32 v3, v14, 23, 1
; %bb.469:                              ;   in Loop: Header=BB4_124 Depth=2
	s_or_b64 exec, exec, s[22:23]
	v_lshrrev_b64 v[14:15], 20, v[14:15]
	v_cmp_gt_i32_e32 vcc, 16, v3
	v_cndmask_b32_e32 v15, 0, v15, vcc
	v_cndmask_b32_e32 v14, 7, v14, vcc
	v_cmp_eq_u32_e32 vcc, 0, v3
	v_min_i32_e32 v3, 15, v3
	v_cmp_eq_u64_e64 s[22:23], 0, v[14:15]
	v_lshlrev_b32_e32 v3, 3, v3
	v_and_or_b32 v3, v14, 7, v3
	s_and_b64 s[22:23], vcc, s[22:23]
	v_cndmask_b32_e64 v3, v3, 0, s[22:23]
	v_or_b32_e32 v60, v3, v0
.LBB4_470:                              ;   in Loop: Header=BB4_124 Depth=2
	s_or_b64 exec, exec, s[60:61]
.LBB4_471:                              ;   in Loop: Header=BB4_124 Depth=2
	s_or_b64 exec, exec, s[58:59]
                                        ; implicit-def: $vgpr3
.LBB4_472:                              ;   in Loop: Header=BB4_124 Depth=2
	s_andn2_saveexec_b64 s[22:23], s[56:57]
; %bb.473:                              ;   in Loop: Header=BB4_124 Depth=2
	v_or_b32_sdwa v0, v3, s75 dst_sel:DWORD dst_unused:UNUSED_PAD src0_sel:BYTE_3 src1_sel:DWORD
	v_cmp_eq_u64_e32 vcc, 0, v[38:39]
	v_cndmask_b32_e32 v60, v0, v60, vcc
; %bb.474:                              ;   in Loop: Header=BB4_124 Depth=2
	s_or_b64 exec, exec, s[22:23]
	v_cmp_lt_u32_e32 vcc, s47, v10
	v_mov_b32_e32 v0, 0
	s_and_saveexec_b64 s[22:23], vcc
	s_cbranch_execz .LBB4_480
; %bb.475:                              ;   in Loop: Header=BB4_124 Depth=2
	v_lshrrev_b32_e32 v14, 24, v10
	v_cmp_ne_u32_e32 vcc, s76, v14
	v_bfrev_b32_e32 v0, 1
	s_and_saveexec_b64 s[56:57], vcc
	s_cbranch_execz .LBB4_479
; %bb.476:                              ;   in Loop: Header=BB4_124 Depth=2
	v_bfe_u32 v3, v10, 24, 7
	v_cmp_ne_u32_e32 vcc, s75, v3
	v_mov_b32_e32 v0, 0x7f800001
	s_and_saveexec_b64 s[58:59], vcc
	s_cbranch_execz .LBB4_478
; %bb.477:                              ;   in Loop: Header=BB4_124 Depth=2
	v_and_b32_e32 v0, 7, v14
	v_ffbh_u32_e32 v16, v0
	v_min_u32_e32 v18, 32, v16
	v_lshrrev_b32_e32 v15, 3, v3
	v_subrev_u32_e32 v16, 28, v18
	v_lshlrev_b64 v[16:17], v16, v[14:15]
	v_sub_u32_e32 v17, 29, v18
	v_and_b32_e32 v16, 7, v16
	v_cmp_gt_u32_e32 vcc, 8, v3
	v_cndmask_b32_e32 v3, v15, v17, vcc
	v_cndmask_b32_e32 v0, v0, v16, vcc
	v_lshlrev_b32_e32 v14, 24, v14
	v_bfrev_b32_e32 v15, 60
	v_lshlrev_b32_e32 v0, 20, v0
	v_and_b32_e32 v14, 0x80000000, v14
	v_lshl_add_u32 v3, v3, 23, v15
	v_or3_b32 v0, v14, v3, v0
.LBB4_478:                              ;   in Loop: Header=BB4_124 Depth=2
	s_or_b64 exec, exec, s[58:59]
.LBB4_479:                              ;   in Loop: Header=BB4_124 Depth=2
	s_or_b64 exec, exec, s[56:57]
.LBB4_480:                              ;   in Loop: Header=BB4_124 Depth=2
	s_or_b64 exec, exec, s[22:23]
	v_mul_f32_e32 v3, v7, v0
	v_and_b32_sdwa v0, v3, s76 dst_sel:DWORD dst_unused:UNUSED_PAD src0_sel:BYTE_3 src1_sel:DWORD
	v_and_b32_e32 v14, 0x7f800000, v3
	v_mov_b32_e32 v15, v39
	v_and_b32_e32 v38, 0x7fffff, v3
	v_or_b32_e32 v49, 0x7e, v0
	v_cmp_ne_u64_e32 vcc, s[42:43], v[14:15]
	s_and_saveexec_b64 s[22:23], vcc
	s_xor_b64 s[56:57], exec, s[22:23]
	s_cbranch_execz .LBB4_490
; %bb.481:                              ;   in Loop: Header=BB4_124 Depth=2
	v_and_b32_e32 v14, 0x7fffffff, v3
	v_mov_b32_e32 v15, v39
	v_cmp_gt_u64_e32 vcc, s[44:45], v[14:15]
	s_and_saveexec_b64 s[58:59], vcc
	s_cbranch_execz .LBB4_489
; %bb.482:                              ;   in Loop: Header=BB4_124 Depth=2
	v_cmp_ne_u32_e32 vcc, 0, v3
	v_mov_b32_e32 v49, 0
	s_and_saveexec_b64 s[60:61], vcc
	s_cbranch_execz .LBB4_488
; %bb.483:                              ;   in Loop: Header=BB4_124 Depth=2
	v_bfe_u32 v3, v3, 23, 8
	v_sub_u32_e32 v15, 0x79, v3
	v_cmp_gt_u32_e32 vcc, s77, v3
	v_add_u32_e32 v14, 0xffffff81, v3
	v_cndmask_b32_e32 v15, 0, v15, vcc
	v_cmp_eq_u32_e32 vcc, 0, v3
	v_mov_b32_e32 v3, 0xffffff82
	v_cndmask_b32_e32 v3, v14, v3, vcc
	v_mov_b32_e32 v14, 0x78
	v_or_b32_e32 v16, 0x800000, v38
	v_cndmask_b32_e32 v17, v15, v14, vcc
	v_cndmask_b32_e32 v38, v16, v38, vcc
	v_add_u32_e32 v14, 20, v17
	v_lshlrev_b64 v[14:15], v14, -1
	v_add_u32_e32 v16, 19, v17
	v_lshrrev_b64 v[26:27], v17, v[38:39]
	v_not_b32_e32 v15, v15
	v_not_b32_e32 v14, v14
	v_lshlrev_b64 v[24:25], v16, 1
	v_lshrrev_b32_e32 v16, 23, v26
	v_and_b32_e32 v15, 0, v15
	v_and_b32_e32 v14, v38, v14
	v_add3_u32 v17, v17, v3, v16
	v_bfe_u32 v3, v26, 20, 1
	v_add_u32_e32 v3, -1, v3
	v_cmp_eq_u64_e32 vcc, v[14:15], v[24:25]
	v_cndmask_b32_e32 v3, 0, v3, vcc
	v_add_u32_e32 v3, v3, v26
	v_and_b32_e32 v3, 0xfffff, v3
	v_add_co_u32_e32 v14, vcc, v3, v26
	v_add_u32_e32 v16, 6, v17
	v_addc_co_u32_e32 v15, vcc, 0, v27, vcc
	v_cmp_ne_u32_e32 vcc, 0, v16
                                        ; implicit-def: $vgpr3
	s_and_saveexec_b64 s[22:23], vcc
	s_xor_b64 s[22:23], exec, s[22:23]
; %bb.484:                              ;   in Loop: Header=BB4_124 Depth=2
	v_add_u32_e32 v3, 7, v17
	v_cmp_lt_u64_e32 vcc, s[48:49], v[14:15]
	v_cndmask_b32_e32 v3, v16, v3, vcc
	v_cndmask_b32_e64 v16, 0, 1, vcc
	v_lshrrev_b64 v[14:15], v16, v[14:15]
; %bb.485:                              ;   in Loop: Header=BB4_124 Depth=2
	s_andn2_saveexec_b64 s[22:23], s[22:23]
; %bb.486:                              ;   in Loop: Header=BB4_124 Depth=2
	v_bfe_u32 v3, v14, 23, 1
; %bb.487:                              ;   in Loop: Header=BB4_124 Depth=2
	s_or_b64 exec, exec, s[22:23]
	v_lshrrev_b64 v[14:15], 20, v[14:15]
	v_cmp_gt_i32_e32 vcc, 16, v3
	v_cndmask_b32_e32 v15, 0, v15, vcc
	v_cndmask_b32_e32 v14, 7, v14, vcc
	v_cmp_eq_u32_e32 vcc, 0, v3
	v_min_i32_e32 v3, 15, v3
	v_cmp_eq_u64_e64 s[22:23], 0, v[14:15]
	v_lshlrev_b32_e32 v3, 3, v3
	v_and_or_b32 v3, v14, 7, v3
	s_and_b64 s[22:23], vcc, s[22:23]
	v_cndmask_b32_e64 v3, v3, 0, s[22:23]
	v_or_b32_e32 v49, v3, v0
.LBB4_488:                              ;   in Loop: Header=BB4_124 Depth=2
	s_or_b64 exec, exec, s[60:61]
.LBB4_489:                              ;   in Loop: Header=BB4_124 Depth=2
	s_or_b64 exec, exec, s[58:59]
                                        ; implicit-def: $vgpr3
.LBB4_490:                              ;   in Loop: Header=BB4_124 Depth=2
	s_andn2_saveexec_b64 s[22:23], s[56:57]
; %bb.491:                              ;   in Loop: Header=BB4_124 Depth=2
	v_or_b32_sdwa v0, v3, s75 dst_sel:DWORD dst_unused:UNUSED_PAD src0_sel:BYTE_3 src1_sel:DWORD
	v_cmp_eq_u64_e32 vcc, 0, v[38:39]
	v_cndmask_b32_e32 v49, v0, v49, vcc
; %bb.492:                              ;   in Loop: Header=BB4_124 Depth=2
	s_or_b64 exec, exec, s[22:23]
	v_mov_b32_e32 v38, v11
	v_cmp_ne_u16_sdwa vcc, v11, v39 src0_sel:BYTE_0 src1_sel:DWORD
	v_mov_b32_e32 v0, 0
	s_and_saveexec_b64 s[22:23], vcc
	s_cbranch_execz .LBB4_498
; %bb.493:                              ;   in Loop: Header=BB4_124 Depth=2
	v_cmp_ne_u16_sdwa vcc, v11, s76 src0_sel:BYTE_0 src1_sel:DWORD
	v_bfrev_b32_e32 v0, 1
	s_and_saveexec_b64 s[56:57], vcc
	s_cbranch_execz .LBB4_497
; %bb.494:                              ;   in Loop: Header=BB4_124 Depth=2
	v_and_b32_e32 v3, 0x7f, v11
	v_cmp_ne_u32_e32 vcc, s75, v3
	v_mov_b32_e32 v0, 0x7f800001
	s_and_saveexec_b64 s[58:59], vcc
	s_cbranch_execz .LBB4_496
; %bb.495:                              ;   in Loop: Header=BB4_124 Depth=2
	v_and_b32_e32 v0, 7, v11
	v_ffbh_u32_e32 v0, v0
	v_min_u32_e32 v0, 32, v0
	v_subrev_u32_e32 v15, 28, v0
	v_cmp_gt_u32_e32 vcc, 8, v3
	v_lshrrev_b32_e32 v14, 3, v3
	v_sub_u32_e32 v0, 29, v0
	v_cndmask_b32_e32 v3, 0, v15, vcc
	v_cndmask_b32_e32 v0, v14, v0, vcc
	v_lshlrev_b64 v[14:15], v3, v[38:39]
	v_lshlrev_b32_e32 v3, 20, v14
	v_lshlrev_b32_e32 v14, 24, v38
	v_bfrev_b32_e32 v15, 60
	v_and_b32_e32 v3, 0x700000, v3
	v_and_b32_e32 v14, 0x80000000, v14
	v_lshl_add_u32 v0, v0, 23, v15
	v_or3_b32 v0, v14, v0, v3
.LBB4_496:                              ;   in Loop: Header=BB4_124 Depth=2
	s_or_b64 exec, exec, s[58:59]
.LBB4_497:                              ;   in Loop: Header=BB4_124 Depth=2
	s_or_b64 exec, exec, s[56:57]
.LBB4_498:                              ;   in Loop: Header=BB4_124 Depth=2
	s_or_b64 exec, exec, s[22:23]
	v_mul_f32_e32 v3, v7, v0
	v_and_b32_sdwa v0, v3, s76 dst_sel:DWORD dst_unused:UNUSED_PAD src0_sel:BYTE_3 src1_sel:DWORD
	v_and_b32_e32 v16, 0x7f800000, v3
	v_mov_b32_e32 v17, v39
	v_and_b32_e32 v14, 0x7fffff, v3
	v_mov_b32_e32 v15, v39
	v_or_b32_e32 v27, 0x7e, v0
	v_cmp_ne_u64_e32 vcc, s[42:43], v[16:17]
	s_and_saveexec_b64 s[22:23], vcc
	s_xor_b64 s[56:57], exec, s[22:23]
	s_cbranch_execz .LBB4_508
; %bb.499:                              ;   in Loop: Header=BB4_124 Depth=2
	v_and_b32_e32 v16, 0x7fffffff, v3
	v_mov_b32_e32 v17, v39
	v_cmp_gt_u64_e32 vcc, s[44:45], v[16:17]
	s_and_saveexec_b64 s[58:59], vcc
	s_cbranch_execz .LBB4_507
; %bb.500:                              ;   in Loop: Header=BB4_124 Depth=2
	v_cmp_ne_u32_e32 vcc, 0, v3
	v_mov_b32_e32 v27, 0
	s_and_saveexec_b64 s[60:61], vcc
	s_cbranch_execz .LBB4_506
; %bb.501:                              ;   in Loop: Header=BB4_124 Depth=2
	v_bfe_u32 v3, v3, 23, 8
	v_sub_u32_e32 v17, 0x79, v3
	v_cmp_gt_u32_e32 vcc, s77, v3
	v_add_u32_e32 v16, 0xffffff81, v3
	v_cndmask_b32_e32 v17, 0, v17, vcc
	v_cmp_eq_u32_e32 vcc, 0, v3
	v_mov_b32_e32 v3, 0xffffff82
	v_cndmask_b32_e32 v3, v16, v3, vcc
	v_mov_b32_e32 v16, 0x78
	v_cndmask_b32_e32 v19, v17, v16, vcc
	v_add_u32_e32 v16, 20, v19
	v_or_b32_e32 v18, 0x800000, v14
	v_lshlrev_b64 v[16:17], v16, -1
	v_cndmask_b32_e32 v14, v18, v14, vcc
	v_not_b32_e32 v16, v16
	v_and_b32_e32 v24, v14, v16
	v_add_u32_e32 v16, 19, v19
	v_lshrrev_b64 v[14:15], v19, v[14:15]
	v_not_b32_e32 v17, v17
	v_lshlrev_b64 v[26:27], v16, 1
	v_lshrrev_b32_e32 v16, 23, v14
	v_and_b32_e32 v25, 0, v17
	v_add3_u32 v17, v19, v3, v16
	v_bfe_u32 v3, v14, 20, 1
	v_add_u32_e32 v3, -1, v3
	v_cmp_eq_u64_e32 vcc, v[24:25], v[26:27]
	v_cndmask_b32_e32 v3, 0, v3, vcc
	v_add_u32_e32 v3, v3, v14
	v_and_b32_e32 v3, 0xfffff, v3
	v_add_co_u32_e32 v14, vcc, v3, v14
	v_add_u32_e32 v16, 6, v17
	v_addc_co_u32_e32 v15, vcc, 0, v15, vcc
	v_cmp_ne_u32_e32 vcc, 0, v16
                                        ; implicit-def: $vgpr3
	s_and_saveexec_b64 s[22:23], vcc
	s_xor_b64 s[22:23], exec, s[22:23]
; %bb.502:                              ;   in Loop: Header=BB4_124 Depth=2
	v_add_u32_e32 v3, 7, v17
	v_cmp_lt_u64_e32 vcc, s[48:49], v[14:15]
	v_cndmask_b32_e32 v3, v16, v3, vcc
	v_cndmask_b32_e64 v16, 0, 1, vcc
	v_lshrrev_b64 v[14:15], v16, v[14:15]
; %bb.503:                              ;   in Loop: Header=BB4_124 Depth=2
	s_andn2_saveexec_b64 s[22:23], s[22:23]
; %bb.504:                              ;   in Loop: Header=BB4_124 Depth=2
	v_bfe_u32 v3, v14, 23, 1
; %bb.505:                              ;   in Loop: Header=BB4_124 Depth=2
	s_or_b64 exec, exec, s[22:23]
	v_lshrrev_b64 v[14:15], 20, v[14:15]
	v_cmp_gt_i32_e32 vcc, 16, v3
	v_cndmask_b32_e32 v15, 0, v15, vcc
	v_cndmask_b32_e32 v14, 7, v14, vcc
	v_cmp_eq_u32_e32 vcc, 0, v3
	v_min_i32_e32 v3, 15, v3
	v_cmp_eq_u64_e64 s[22:23], 0, v[14:15]
	v_lshlrev_b32_e32 v3, 3, v3
	v_and_or_b32 v3, v14, 7, v3
	s_and_b64 s[22:23], vcc, s[22:23]
	v_cndmask_b32_e64 v3, v3, 0, s[22:23]
	v_or_b32_e32 v27, v3, v0
.LBB4_506:                              ;   in Loop: Header=BB4_124 Depth=2
	s_or_b64 exec, exec, s[60:61]
.LBB4_507:                              ;   in Loop: Header=BB4_124 Depth=2
	s_or_b64 exec, exec, s[58:59]
                                        ; implicit-def: $vgpr3
                                        ; implicit-def: $vgpr14_vgpr15
.LBB4_508:                              ;   in Loop: Header=BB4_124 Depth=2
	s_andn2_saveexec_b64 s[22:23], s[56:57]
; %bb.509:                              ;   in Loop: Header=BB4_124 Depth=2
	v_or_b32_sdwa v0, v3, s75 dst_sel:DWORD dst_unused:UNUSED_PAD src0_sel:BYTE_3 src1_sel:DWORD
	v_cmp_eq_u64_e32 vcc, 0, v[14:15]
	v_cndmask_b32_e32 v27, v0, v27, vcc
; %bb.510:                              ;   in Loop: Header=BB4_124 Depth=2
	s_or_b64 exec, exec, s[22:23]
	v_lshrrev_b16_e32 v14, 8, v38
	v_cmp_ne_u16_e32 vcc, 0, v14
	v_mov_b32_e32 v0, 0
	s_and_saveexec_b64 s[22:23], vcc
	s_cbranch_execz .LBB4_516
; %bb.511:                              ;   in Loop: Header=BB4_124 Depth=2
	v_cmp_ne_u16_e32 vcc, s76, v14
	v_bfrev_b32_e32 v0, 1
	s_and_saveexec_b64 s[56:57], vcc
	s_cbranch_execz .LBB4_515
; %bb.512:                              ;   in Loop: Header=BB4_124 Depth=2
	v_and_b32_e32 v3, 0x7f, v14
	v_cmp_ne_u32_e32 vcc, s75, v3
	v_mov_b32_e32 v0, 0x7f800001
	s_and_saveexec_b64 s[58:59], vcc
	s_cbranch_execz .LBB4_514
; %bb.513:                              ;   in Loop: Header=BB4_124 Depth=2
	v_and_b32_e32 v0, 7, v14
	v_ffbh_u32_e32 v15, v0
	v_min_u32_e32 v17, 32, v15
	v_subrev_u32_e32 v15, 28, v17
	v_lshlrev_b64 v[14:15], v15, v[14:15]
	v_lshrrev_b32_e32 v16, 3, v3
	v_sub_u32_e32 v15, 29, v17
	v_and_b32_e32 v14, 7, v14
	v_cmp_gt_u32_e32 vcc, 8, v3
	v_cndmask_b32_e32 v3, v16, v15, vcc
	v_cndmask_b32_e32 v0, v0, v14, vcc
	v_lshlrev_b32_e32 v14, 16, v38
	v_bfrev_b32_e32 v15, 60
	v_lshlrev_b32_e32 v0, 20, v0
	v_and_b32_e32 v14, 0x80000000, v14
	v_lshl_add_u32 v3, v3, 23, v15
	v_or3_b32 v0, v14, v3, v0
.LBB4_514:                              ;   in Loop: Header=BB4_124 Depth=2
	s_or_b64 exec, exec, s[58:59]
.LBB4_515:                              ;   in Loop: Header=BB4_124 Depth=2
	s_or_b64 exec, exec, s[56:57]
.LBB4_516:                              ;   in Loop: Header=BB4_124 Depth=2
	s_or_b64 exec, exec, s[22:23]
	v_mul_f32_e32 v3, v7, v0
	v_and_b32_sdwa v0, v3, s76 dst_sel:DWORD dst_unused:UNUSED_PAD src0_sel:BYTE_3 src1_sel:DWORD
	v_and_b32_e32 v14, 0x7f800000, v3
	v_mov_b32_e32 v15, v39
	v_and_b32_e32 v38, 0x7fffff, v3
	v_or_b32_e32 v40, 0x7e, v0
	v_cmp_ne_u64_e32 vcc, s[42:43], v[14:15]
	s_and_saveexec_b64 s[22:23], vcc
	s_xor_b64 s[56:57], exec, s[22:23]
	s_cbranch_execz .LBB4_526
; %bb.517:                              ;   in Loop: Header=BB4_124 Depth=2
	v_and_b32_e32 v14, 0x7fffffff, v3
	v_mov_b32_e32 v15, v39
	v_cmp_gt_u64_e32 vcc, s[44:45], v[14:15]
	s_and_saveexec_b64 s[58:59], vcc
	s_cbranch_execz .LBB4_525
; %bb.518:                              ;   in Loop: Header=BB4_124 Depth=2
	v_cmp_ne_u32_e32 vcc, 0, v3
	v_mov_b32_e32 v40, 0
	s_and_saveexec_b64 s[60:61], vcc
	s_cbranch_execz .LBB4_524
; %bb.519:                              ;   in Loop: Header=BB4_124 Depth=2
	v_bfe_u32 v3, v3, 23, 8
	v_sub_u32_e32 v15, 0x79, v3
	v_cmp_gt_u32_e32 vcc, s77, v3
	v_add_u32_e32 v14, 0xffffff81, v3
	v_cndmask_b32_e32 v15, 0, v15, vcc
	v_cmp_eq_u32_e32 vcc, 0, v3
	v_mov_b32_e32 v3, 0xffffff82
	v_cndmask_b32_e32 v3, v14, v3, vcc
	v_mov_b32_e32 v14, 0x78
	v_or_b32_e32 v16, 0x800000, v38
	v_cndmask_b32_e32 v17, v15, v14, vcc
	v_cndmask_b32_e32 v38, v16, v38, vcc
	v_add_u32_e32 v14, 20, v17
	v_lshlrev_b64 v[14:15], v14, -1
	v_add_u32_e32 v16, 19, v17
	v_lshrrev_b64 v[50:51], v17, v[38:39]
	v_not_b32_e32 v15, v15
	v_not_b32_e32 v14, v14
	v_lshlrev_b64 v[24:25], v16, 1
	v_lshrrev_b32_e32 v16, 23, v50
	v_and_b32_e32 v15, 0, v15
	v_and_b32_e32 v14, v38, v14
	v_add3_u32 v17, v17, v3, v16
	v_bfe_u32 v3, v50, 20, 1
	v_add_u32_e32 v3, -1, v3
	v_cmp_eq_u64_e32 vcc, v[14:15], v[24:25]
	v_cndmask_b32_e32 v3, 0, v3, vcc
	v_add_u32_e32 v3, v3, v50
	v_and_b32_e32 v3, 0xfffff, v3
	v_add_co_u32_e32 v14, vcc, v3, v50
	v_add_u32_e32 v16, 6, v17
	v_addc_co_u32_e32 v15, vcc, 0, v51, vcc
	v_cmp_ne_u32_e32 vcc, 0, v16
                                        ; implicit-def: $vgpr3
	s_and_saveexec_b64 s[22:23], vcc
	s_xor_b64 s[22:23], exec, s[22:23]
; %bb.520:                              ;   in Loop: Header=BB4_124 Depth=2
	v_add_u32_e32 v3, 7, v17
	v_cmp_lt_u64_e32 vcc, s[48:49], v[14:15]
	v_cndmask_b32_e32 v3, v16, v3, vcc
	v_cndmask_b32_e64 v16, 0, 1, vcc
	v_lshrrev_b64 v[14:15], v16, v[14:15]
; %bb.521:                              ;   in Loop: Header=BB4_124 Depth=2
	s_andn2_saveexec_b64 s[22:23], s[22:23]
; %bb.522:                              ;   in Loop: Header=BB4_124 Depth=2
	v_bfe_u32 v3, v14, 23, 1
; %bb.523:                              ;   in Loop: Header=BB4_124 Depth=2
	s_or_b64 exec, exec, s[22:23]
	v_lshrrev_b64 v[14:15], 20, v[14:15]
	v_cmp_gt_i32_e32 vcc, 16, v3
	v_cndmask_b32_e32 v15, 0, v15, vcc
	v_cndmask_b32_e32 v14, 7, v14, vcc
	v_cmp_eq_u32_e32 vcc, 0, v3
	v_min_i32_e32 v3, 15, v3
	v_lshlrev_b32_e32 v3, 3, v3
	v_cmp_eq_u64_e64 s[22:23], 0, v[14:15]
	v_and_b32_e32 v3, 0xf8, v3
	v_and_or_b32 v3, v14, 7, v3
	s_and_b64 s[22:23], vcc, s[22:23]
	v_cndmask_b32_e64 v3, v3, 0, s[22:23]
	v_or_b32_e32 v40, v3, v0
.LBB4_524:                              ;   in Loop: Header=BB4_124 Depth=2
	s_or_b64 exec, exec, s[60:61]
.LBB4_525:                              ;   in Loop: Header=BB4_124 Depth=2
	s_or_b64 exec, exec, s[58:59]
                                        ; implicit-def: $vgpr3
.LBB4_526:                              ;   in Loop: Header=BB4_124 Depth=2
	s_andn2_saveexec_b64 s[22:23], s[56:57]
; %bb.527:                              ;   in Loop: Header=BB4_124 Depth=2
	v_or_b32_sdwa v0, v3, s75 dst_sel:DWORD dst_unused:UNUSED_PAD src0_sel:BYTE_3 src1_sel:DWORD
	v_cmp_eq_u64_e32 vcc, 0, v[38:39]
	v_cndmask_b32_e32 v40, v0, v40, vcc
; %bb.528:                              ;   in Loop: Header=BB4_124 Depth=2
	s_or_b64 exec, exec, s[22:23]
	v_lshrrev_b32_e32 v14, 16, v11
	v_cmp_ne_u16_sdwa vcc, v14, v39 src0_sel:BYTE_0 src1_sel:DWORD
	v_mov_b32_e32 v0, 0
	s_and_saveexec_b64 s[22:23], vcc
	s_cbranch_execz .LBB4_534
; %bb.529:                              ;   in Loop: Header=BB4_124 Depth=2
	v_cmp_ne_u16_sdwa vcc, v14, s76 src0_sel:BYTE_0 src1_sel:DWORD
	v_bfrev_b32_e32 v0, 1
	s_and_saveexec_b64 s[56:57], vcc
	s_cbranch_execz .LBB4_533
; %bb.530:                              ;   in Loop: Header=BB4_124 Depth=2
	v_bfe_u32 v3, v11, 16, 7
	v_cmp_ne_u32_e32 vcc, s75, v3
	v_mov_b32_e32 v0, 0x7f800001
	s_and_saveexec_b64 s[58:59], vcc
	s_cbranch_execz .LBB4_532
; %bb.531:                              ;   in Loop: Header=BB4_124 Depth=2
	v_and_b32_e32 v0, 7, v14
	v_ffbh_u32_e32 v16, v0
	v_min_u32_e32 v18, 32, v16
	v_lshrrev_b32_e32 v15, 3, v3
	v_subrev_u32_e32 v16, 28, v18
	v_lshlrev_b64 v[16:17], v16, v[14:15]
	v_sub_u32_e32 v17, 29, v18
	v_and_b32_e32 v16, 7, v16
	v_cmp_gt_u32_e32 vcc, 8, v3
	v_cndmask_b32_e32 v3, v15, v17, vcc
	v_cndmask_b32_e32 v0, v0, v16, vcc
	v_lshlrev_b32_e32 v14, 24, v14
	v_bfrev_b32_e32 v15, 60
	v_lshlrev_b32_e32 v0, 20, v0
	v_and_b32_e32 v14, 0x80000000, v14
	v_lshl_add_u32 v3, v3, 23, v15
	v_or3_b32 v0, v14, v3, v0
.LBB4_532:                              ;   in Loop: Header=BB4_124 Depth=2
	s_or_b64 exec, exec, s[58:59]
.LBB4_533:                              ;   in Loop: Header=BB4_124 Depth=2
	s_or_b64 exec, exec, s[56:57]
.LBB4_534:                              ;   in Loop: Header=BB4_124 Depth=2
	s_or_b64 exec, exec, s[22:23]
	v_mul_f32_e32 v3, v7, v0
	v_and_b32_sdwa v0, v3, s76 dst_sel:DWORD dst_unused:UNUSED_PAD src0_sel:BYTE_3 src1_sel:DWORD
	v_and_b32_e32 v14, 0x7f800000, v3
	v_mov_b32_e32 v15, v39
	v_and_b32_e32 v38, 0x7fffff, v3
	v_or_b32_e32 v34, 0x7e, v0
	v_cmp_ne_u64_e32 vcc, s[42:43], v[14:15]
	s_and_saveexec_b64 s[22:23], vcc
	s_xor_b64 s[56:57], exec, s[22:23]
	s_cbranch_execz .LBB4_544
; %bb.535:                              ;   in Loop: Header=BB4_124 Depth=2
	v_and_b32_e32 v14, 0x7fffffff, v3
	v_mov_b32_e32 v15, v39
	v_cmp_gt_u64_e32 vcc, s[44:45], v[14:15]
	s_and_saveexec_b64 s[58:59], vcc
	s_cbranch_execz .LBB4_543
; %bb.536:                              ;   in Loop: Header=BB4_124 Depth=2
	v_cmp_ne_u32_e32 vcc, 0, v3
	v_mov_b32_e32 v34, 0
	s_and_saveexec_b64 s[60:61], vcc
	s_cbranch_execz .LBB4_542
; %bb.537:                              ;   in Loop: Header=BB4_124 Depth=2
	v_bfe_u32 v3, v3, 23, 8
	v_sub_u32_e32 v15, 0x79, v3
	v_cmp_gt_u32_e32 vcc, s77, v3
	v_add_u32_e32 v14, 0xffffff81, v3
	v_cndmask_b32_e32 v15, 0, v15, vcc
	v_cmp_eq_u32_e32 vcc, 0, v3
	v_mov_b32_e32 v3, 0xffffff82
	v_cndmask_b32_e32 v3, v14, v3, vcc
	v_mov_b32_e32 v14, 0x78
	v_or_b32_e32 v16, 0x800000, v38
	v_cndmask_b32_e32 v17, v15, v14, vcc
	v_cndmask_b32_e32 v38, v16, v38, vcc
	v_add_u32_e32 v14, 20, v17
	v_lshlrev_b64 v[14:15], v14, -1
	v_add_u32_e32 v16, 19, v17
	v_lshrrev_b64 v[50:51], v17, v[38:39]
	v_not_b32_e32 v15, v15
	v_not_b32_e32 v14, v14
	v_lshlrev_b64 v[24:25], v16, 1
	v_lshrrev_b32_e32 v16, 23, v50
	v_and_b32_e32 v15, 0, v15
	v_and_b32_e32 v14, v38, v14
	v_add3_u32 v17, v17, v3, v16
	v_bfe_u32 v3, v50, 20, 1
	v_add_u32_e32 v3, -1, v3
	v_cmp_eq_u64_e32 vcc, v[14:15], v[24:25]
	v_cndmask_b32_e32 v3, 0, v3, vcc
	v_add_u32_e32 v3, v3, v50
	v_and_b32_e32 v3, 0xfffff, v3
	v_add_co_u32_e32 v14, vcc, v3, v50
	v_add_u32_e32 v16, 6, v17
	v_addc_co_u32_e32 v15, vcc, 0, v51, vcc
	v_cmp_ne_u32_e32 vcc, 0, v16
                                        ; implicit-def: $vgpr3
	s_and_saveexec_b64 s[22:23], vcc
	s_xor_b64 s[22:23], exec, s[22:23]
; %bb.538:                              ;   in Loop: Header=BB4_124 Depth=2
	v_add_u32_e32 v3, 7, v17
	v_cmp_lt_u64_e32 vcc, s[48:49], v[14:15]
	v_cndmask_b32_e32 v3, v16, v3, vcc
	v_cndmask_b32_e64 v16, 0, 1, vcc
	v_lshrrev_b64 v[14:15], v16, v[14:15]
; %bb.539:                              ;   in Loop: Header=BB4_124 Depth=2
	s_andn2_saveexec_b64 s[22:23], s[22:23]
; %bb.540:                              ;   in Loop: Header=BB4_124 Depth=2
	v_bfe_u32 v3, v14, 23, 1
; %bb.541:                              ;   in Loop: Header=BB4_124 Depth=2
	s_or_b64 exec, exec, s[22:23]
	v_lshrrev_b64 v[14:15], 20, v[14:15]
	v_cmp_gt_i32_e32 vcc, 16, v3
	v_cndmask_b32_e32 v15, 0, v15, vcc
	v_cndmask_b32_e32 v14, 7, v14, vcc
	v_cmp_eq_u32_e32 vcc, 0, v3
	v_min_i32_e32 v3, 15, v3
	v_lshlrev_b32_e32 v3, 3, v3
	v_cmp_eq_u64_e64 s[22:23], 0, v[14:15]
	v_and_b32_e32 v3, 0xf8, v3
	v_and_or_b32 v3, v14, 7, v3
	s_and_b64 s[22:23], vcc, s[22:23]
	v_cndmask_b32_e64 v3, v3, 0, s[22:23]
	v_or_b32_e32 v34, v3, v0
.LBB4_542:                              ;   in Loop: Header=BB4_124 Depth=2
	s_or_b64 exec, exec, s[60:61]
.LBB4_543:                              ;   in Loop: Header=BB4_124 Depth=2
	s_or_b64 exec, exec, s[58:59]
                                        ; implicit-def: $vgpr3
.LBB4_544:                              ;   in Loop: Header=BB4_124 Depth=2
	s_andn2_saveexec_b64 s[22:23], s[56:57]
; %bb.545:                              ;   in Loop: Header=BB4_124 Depth=2
	v_or_b32_sdwa v0, v3, s75 dst_sel:DWORD dst_unused:UNUSED_PAD src0_sel:BYTE_3 src1_sel:DWORD
	v_cmp_eq_u64_e32 vcc, 0, v[38:39]
	v_cndmask_b32_e32 v34, v0, v34, vcc
; %bb.546:                              ;   in Loop: Header=BB4_124 Depth=2
	s_or_b64 exec, exec, s[22:23]
	v_cmp_lt_u64_e32 vcc, s[46:47], v[10:11]
	v_mov_b32_e32 v0, 0
	s_and_saveexec_b64 s[22:23], vcc
	s_cbranch_execz .LBB4_552
; %bb.547:                              ;   in Loop: Header=BB4_124 Depth=2
	v_lshrrev_b32_e32 v10, 24, v11
	v_cmp_ne_u32_e32 vcc, s76, v10
	v_bfrev_b32_e32 v0, 1
	s_and_saveexec_b64 s[56:57], vcc
	s_cbranch_execz .LBB4_551
; %bb.548:                              ;   in Loop: Header=BB4_124 Depth=2
	v_bfe_u32 v3, v11, 24, 7
	v_cmp_ne_u32_e32 vcc, s75, v3
	v_mov_b32_e32 v0, 0x7f800001
	s_and_saveexec_b64 s[58:59], vcc
	s_cbranch_execz .LBB4_550
; %bb.549:                              ;   in Loop: Header=BB4_124 Depth=2
	v_and_b32_e32 v0, 7, v10
	v_ffbh_u32_e32 v14, v0
	v_min_u32_e32 v16, 32, v14
	v_lshrrev_b32_e32 v11, 3, v3
	v_subrev_u32_e32 v14, 28, v16
	v_lshlrev_b64 v[14:15], v14, v[10:11]
	v_sub_u32_e32 v15, 29, v16
	v_and_b32_e32 v14, 7, v14
	v_cmp_gt_u32_e32 vcc, 8, v3
	v_cndmask_b32_e32 v3, v11, v15, vcc
	v_cndmask_b32_e32 v0, v0, v14, vcc
	v_lshlrev_b32_e32 v10, 24, v10
	v_bfrev_b32_e32 v11, 60
	v_lshlrev_b32_e32 v0, 20, v0
	v_and_b32_e32 v10, 0x80000000, v10
	v_lshl_add_u32 v3, v3, 23, v11
	v_or3_b32 v0, v10, v3, v0
.LBB4_550:                              ;   in Loop: Header=BB4_124 Depth=2
	s_or_b64 exec, exec, s[58:59]
.LBB4_551:                              ;   in Loop: Header=BB4_124 Depth=2
	s_or_b64 exec, exec, s[56:57]
.LBB4_552:                              ;   in Loop: Header=BB4_124 Depth=2
	s_or_b64 exec, exec, s[22:23]
	v_mul_f32_e32 v3, v7, v0
	v_and_b32_sdwa v0, v3, s76 dst_sel:DWORD dst_unused:UNUSED_PAD src0_sel:BYTE_3 src1_sel:DWORD
	v_and_b32_e32 v10, 0x7f800000, v3
	v_mov_b32_e32 v11, v39
	v_and_b32_e32 v38, 0x7fffff, v3
	v_or_b32_e32 v32, 0x7e, v0
	v_cmp_ne_u64_e32 vcc, s[42:43], v[10:11]
	s_and_saveexec_b64 s[22:23], vcc
	s_xor_b64 s[56:57], exec, s[22:23]
	s_cbranch_execz .LBB4_562
; %bb.553:                              ;   in Loop: Header=BB4_124 Depth=2
	v_and_b32_e32 v10, 0x7fffffff, v3
	v_mov_b32_e32 v11, v39
	v_cmp_gt_u64_e32 vcc, s[44:45], v[10:11]
	s_and_saveexec_b64 s[58:59], vcc
	s_cbranch_execz .LBB4_561
; %bb.554:                              ;   in Loop: Header=BB4_124 Depth=2
	v_cmp_ne_u32_e32 vcc, 0, v3
	v_mov_b32_e32 v32, 0
	s_and_saveexec_b64 s[60:61], vcc
	s_cbranch_execz .LBB4_560
; %bb.555:                              ;   in Loop: Header=BB4_124 Depth=2
	v_bfe_u32 v3, v3, 23, 8
	v_sub_u32_e32 v11, 0x79, v3
	v_cmp_gt_u32_e32 vcc, s77, v3
	v_add_u32_e32 v10, 0xffffff81, v3
	v_cndmask_b32_e32 v11, 0, v11, vcc
	v_cmp_eq_u32_e32 vcc, 0, v3
	v_mov_b32_e32 v3, 0xffffff82
	v_cndmask_b32_e32 v3, v10, v3, vcc
	v_mov_b32_e32 v10, 0x78
	v_or_b32_e32 v14, 0x800000, v38
	v_cndmask_b32_e32 v15, v11, v10, vcc
	v_cndmask_b32_e32 v38, v14, v38, vcc
	v_add_u32_e32 v10, 20, v15
	v_lshlrev_b64 v[10:11], v10, -1
	v_add_u32_e32 v14, 19, v15
	v_lshrrev_b64 v[24:25], v15, v[38:39]
	v_not_b32_e32 v11, v11
	v_not_b32_e32 v10, v10
	v_lshlrev_b64 v[16:17], v14, 1
	v_lshrrev_b32_e32 v14, 23, v24
	v_and_b32_e32 v11, 0, v11
	v_and_b32_e32 v10, v38, v10
	v_add3_u32 v15, v15, v3, v14
	v_bfe_u32 v3, v24, 20, 1
	v_add_u32_e32 v3, -1, v3
	v_cmp_eq_u64_e32 vcc, v[10:11], v[16:17]
	v_cndmask_b32_e32 v3, 0, v3, vcc
	v_add_u32_e32 v3, v3, v24
	v_and_b32_e32 v3, 0xfffff, v3
	v_add_co_u32_e32 v10, vcc, v3, v24
	v_add_u32_e32 v14, 6, v15
	v_addc_co_u32_e32 v11, vcc, 0, v25, vcc
	v_cmp_ne_u32_e32 vcc, 0, v14
                                        ; implicit-def: $vgpr3
	s_and_saveexec_b64 s[22:23], vcc
	s_xor_b64 s[22:23], exec, s[22:23]
; %bb.556:                              ;   in Loop: Header=BB4_124 Depth=2
	v_add_u32_e32 v3, 7, v15
	v_cmp_lt_u64_e32 vcc, s[48:49], v[10:11]
	v_cndmask_b32_e32 v3, v14, v3, vcc
	v_cndmask_b32_e64 v14, 0, 1, vcc
	v_lshrrev_b64 v[10:11], v14, v[10:11]
; %bb.557:                              ;   in Loop: Header=BB4_124 Depth=2
	s_andn2_saveexec_b64 s[22:23], s[22:23]
; %bb.558:                              ;   in Loop: Header=BB4_124 Depth=2
	v_bfe_u32 v3, v10, 23, 1
; %bb.559:                              ;   in Loop: Header=BB4_124 Depth=2
	s_or_b64 exec, exec, s[22:23]
	v_lshrrev_b64 v[10:11], 20, v[10:11]
	v_cmp_gt_i32_e32 vcc, 16, v3
	v_cndmask_b32_e32 v11, 0, v11, vcc
	v_cndmask_b32_e32 v10, 7, v10, vcc
	v_cmp_eq_u32_e32 vcc, 0, v3
	v_min_i32_e32 v3, 15, v3
	v_lshlrev_b32_e32 v3, 3, v3
	v_cmp_eq_u64_e64 s[22:23], 0, v[10:11]
	v_and_b32_e32 v3, 0xf8, v3
	v_and_or_b32 v3, v10, 7, v3
	s_and_b64 s[22:23], vcc, s[22:23]
	v_cndmask_b32_e64 v3, v3, 0, s[22:23]
	v_or_b32_e32 v32, v3, v0
.LBB4_560:                              ;   in Loop: Header=BB4_124 Depth=2
	s_or_b64 exec, exec, s[60:61]
.LBB4_561:                              ;   in Loop: Header=BB4_124 Depth=2
	s_or_b64 exec, exec, s[58:59]
                                        ; implicit-def: $vgpr3
.LBB4_562:                              ;   in Loop: Header=BB4_124 Depth=2
	s_andn2_saveexec_b64 s[22:23], s[56:57]
; %bb.563:                              ;   in Loop: Header=BB4_124 Depth=2
	v_or_b32_sdwa v0, v3, s75 dst_sel:DWORD dst_unused:UNUSED_PAD src0_sel:BYTE_3 src1_sel:DWORD
	v_cmp_eq_u64_e32 vcc, 0, v[38:39]
	v_cndmask_b32_e32 v32, v0, v32, vcc
; %bb.564:                              ;   in Loop: Header=BB4_124 Depth=2
	s_or_b64 exec, exec, s[22:23]
	v_cmp_ne_u16_sdwa vcc, v12, v39 src0_sel:BYTE_0 src1_sel:DWORD
	v_mov_b32_e32 v0, 0
	s_and_saveexec_b64 s[22:23], vcc
	s_cbranch_execz .LBB4_570
; %bb.565:                              ;   in Loop: Header=BB4_124 Depth=2
	v_cmp_ne_u16_sdwa vcc, v12, s76 src0_sel:BYTE_0 src1_sel:DWORD
	v_bfrev_b32_e32 v0, 1
	s_and_saveexec_b64 s[56:57], vcc
	s_cbranch_execz .LBB4_569
; %bb.566:                              ;   in Loop: Header=BB4_124 Depth=2
	v_and_b32_e32 v3, 0x7f, v12
	v_cmp_ne_u32_e32 vcc, s75, v3
	v_mov_b32_e32 v0, 0x7f800001
	s_and_saveexec_b64 s[58:59], vcc
	s_cbranch_execz .LBB4_568
; %bb.567:                              ;   in Loop: Header=BB4_124 Depth=2
	v_and_b32_e32 v0, 7, v12
	v_ffbh_u32_e32 v0, v0
	v_min_u32_e32 v0, 32, v0
	v_subrev_u32_e32 v11, 28, v0
	v_cmp_gt_u32_e32 vcc, 8, v3
	v_lshrrev_b32_e32 v10, 3, v3
	v_sub_u32_e32 v0, 29, v0
	v_cndmask_b32_e32 v3, 0, v11, vcc
	v_cndmask_b32_e32 v0, v10, v0, vcc
	v_lshlrev_b64 v[10:11], v3, v[12:13]
	v_lshlrev_b32_e32 v3, 20, v10
	v_lshlrev_b32_e32 v10, 24, v12
	v_bfrev_b32_e32 v11, 60
	v_and_b32_e32 v3, 0x700000, v3
	v_and_b32_e32 v10, 0x80000000, v10
	v_lshl_add_u32 v0, v0, 23, v11
	v_or3_b32 v0, v10, v0, v3
.LBB4_568:                              ;   in Loop: Header=BB4_124 Depth=2
	s_or_b64 exec, exec, s[58:59]
.LBB4_569:                              ;   in Loop: Header=BB4_124 Depth=2
	s_or_b64 exec, exec, s[56:57]
.LBB4_570:                              ;   in Loop: Header=BB4_124 Depth=2
	s_or_b64 exec, exec, s[22:23]
	v_mul_f32_e32 v3, v7, v0
	v_and_b32_sdwa v0, v3, s76 dst_sel:DWORD dst_unused:UNUSED_PAD src0_sel:BYTE_3 src1_sel:DWORD
	v_and_b32_e32 v10, 0x7f800000, v3
	v_mov_b32_e32 v11, v39
	v_and_b32_e32 v38, 0x7fffff, v3
	v_or_b32_e32 v43, 0x7e, v0
	v_cmp_ne_u64_e32 vcc, s[42:43], v[10:11]
	s_and_saveexec_b64 s[22:23], vcc
	s_xor_b64 s[56:57], exec, s[22:23]
	s_cbranch_execz .LBB4_580
; %bb.571:                              ;   in Loop: Header=BB4_124 Depth=2
	v_and_b32_e32 v10, 0x7fffffff, v3
	v_mov_b32_e32 v11, v39
	v_cmp_gt_u64_e32 vcc, s[44:45], v[10:11]
	s_and_saveexec_b64 s[58:59], vcc
	s_cbranch_execz .LBB4_579
; %bb.572:                              ;   in Loop: Header=BB4_124 Depth=2
	v_cmp_ne_u32_e32 vcc, 0, v3
	v_mov_b32_e32 v43, 0
	s_and_saveexec_b64 s[60:61], vcc
	s_cbranch_execz .LBB4_578
; %bb.573:                              ;   in Loop: Header=BB4_124 Depth=2
	v_bfe_u32 v3, v3, 23, 8
	v_sub_u32_e32 v11, 0x79, v3
	v_cmp_gt_u32_e32 vcc, s77, v3
	v_add_u32_e32 v10, 0xffffff81, v3
	v_cndmask_b32_e32 v11, 0, v11, vcc
	v_cmp_eq_u32_e32 vcc, 0, v3
	v_mov_b32_e32 v3, 0xffffff82
	v_cndmask_b32_e32 v3, v10, v3, vcc
	v_mov_b32_e32 v10, 0x78
	v_or_b32_e32 v14, 0x800000, v38
	v_cndmask_b32_e32 v15, v11, v10, vcc
	v_cndmask_b32_e32 v38, v14, v38, vcc
	v_add_u32_e32 v10, 20, v15
	v_lshlrev_b64 v[10:11], v10, -1
	v_add_u32_e32 v14, 19, v15
	v_lshrrev_b64 v[24:25], v15, v[38:39]
	v_not_b32_e32 v11, v11
	v_not_b32_e32 v10, v10
	v_lshlrev_b64 v[16:17], v14, 1
	v_lshrrev_b32_e32 v14, 23, v24
	v_and_b32_e32 v11, 0, v11
	v_and_b32_e32 v10, v38, v10
	v_add3_u32 v15, v15, v3, v14
	v_bfe_u32 v3, v24, 20, 1
	v_add_u32_e32 v3, -1, v3
	v_cmp_eq_u64_e32 vcc, v[10:11], v[16:17]
	v_cndmask_b32_e32 v3, 0, v3, vcc
	v_add_u32_e32 v3, v3, v24
	v_and_b32_e32 v3, 0xfffff, v3
	v_add_co_u32_e32 v10, vcc, v3, v24
	v_add_u32_e32 v14, 6, v15
	v_addc_co_u32_e32 v11, vcc, 0, v25, vcc
	v_cmp_ne_u32_e32 vcc, 0, v14
                                        ; implicit-def: $vgpr3
	s_and_saveexec_b64 s[22:23], vcc
	s_xor_b64 s[22:23], exec, s[22:23]
; %bb.574:                              ;   in Loop: Header=BB4_124 Depth=2
	v_add_u32_e32 v3, 7, v15
	v_cmp_lt_u64_e32 vcc, s[48:49], v[10:11]
	v_cndmask_b32_e32 v3, v14, v3, vcc
	v_cndmask_b32_e64 v14, 0, 1, vcc
	v_lshrrev_b64 v[10:11], v14, v[10:11]
; %bb.575:                              ;   in Loop: Header=BB4_124 Depth=2
	s_andn2_saveexec_b64 s[22:23], s[22:23]
; %bb.576:                              ;   in Loop: Header=BB4_124 Depth=2
	v_bfe_u32 v3, v10, 23, 1
; %bb.577:                              ;   in Loop: Header=BB4_124 Depth=2
	s_or_b64 exec, exec, s[22:23]
	v_lshrrev_b64 v[10:11], 20, v[10:11]
	v_cmp_gt_i32_e32 vcc, 16, v3
	v_cndmask_b32_e32 v11, 0, v11, vcc
	v_cndmask_b32_e32 v10, 7, v10, vcc
	v_cmp_eq_u32_e32 vcc, 0, v3
	v_min_i32_e32 v3, 15, v3
	v_cmp_eq_u64_e64 s[22:23], 0, v[10:11]
	v_lshlrev_b32_e32 v3, 3, v3
	v_and_or_b32 v3, v10, 7, v3
	s_and_b64 s[22:23], vcc, s[22:23]
	v_cndmask_b32_e64 v3, v3, 0, s[22:23]
	v_or_b32_e32 v43, v3, v0
.LBB4_578:                              ;   in Loop: Header=BB4_124 Depth=2
	s_or_b64 exec, exec, s[60:61]
.LBB4_579:                              ;   in Loop: Header=BB4_124 Depth=2
	s_or_b64 exec, exec, s[58:59]
                                        ; implicit-def: $vgpr3
.LBB4_580:                              ;   in Loop: Header=BB4_124 Depth=2
	s_andn2_saveexec_b64 s[22:23], s[56:57]
; %bb.581:                              ;   in Loop: Header=BB4_124 Depth=2
	v_or_b32_sdwa v0, v3, s75 dst_sel:DWORD dst_unused:UNUSED_PAD src0_sel:BYTE_3 src1_sel:DWORD
	v_cmp_eq_u64_e32 vcc, 0, v[38:39]
	v_cndmask_b32_e32 v43, v0, v43, vcc
; %bb.582:                              ;   in Loop: Header=BB4_124 Depth=2
	s_or_b64 exec, exec, s[22:23]
	v_lshrrev_b16_e32 v10, 8, v12
	v_cmp_ne_u16_e32 vcc, 0, v10
	v_mov_b32_e32 v0, 0
	s_and_saveexec_b64 s[22:23], vcc
	s_cbranch_execz .LBB4_588
; %bb.583:                              ;   in Loop: Header=BB4_124 Depth=2
	v_cmp_ne_u16_e32 vcc, s76, v10
	v_bfrev_b32_e32 v0, 1
	s_and_saveexec_b64 s[56:57], vcc
	s_cbranch_execz .LBB4_587
; %bb.584:                              ;   in Loop: Header=BB4_124 Depth=2
	v_and_b32_e32 v3, 0x7f, v10
	v_cmp_ne_u32_e32 vcc, s75, v3
	v_mov_b32_e32 v0, 0x7f800001
	s_and_saveexec_b64 s[58:59], vcc
	s_cbranch_execz .LBB4_586
; %bb.585:                              ;   in Loop: Header=BB4_124 Depth=2
	v_and_b32_e32 v0, 7, v10
	v_ffbh_u32_e32 v11, v0
	v_min_u32_e32 v15, 32, v11
	v_subrev_u32_e32 v11, 28, v15
	v_lshlrev_b64 v[10:11], v11, v[10:11]
	v_lshrrev_b32_e32 v14, 3, v3
	v_sub_u32_e32 v11, 29, v15
	v_and_b32_e32 v10, 7, v10
	v_cmp_gt_u32_e32 vcc, 8, v3
	v_cndmask_b32_e32 v3, v14, v11, vcc
	v_cndmask_b32_e32 v0, v0, v10, vcc
	v_lshlrev_b32_e32 v10, 16, v12
	v_bfrev_b32_e32 v11, 60
	v_lshlrev_b32_e32 v0, 20, v0
	v_and_b32_e32 v10, 0x80000000, v10
	v_lshl_add_u32 v3, v3, 23, v11
	v_or3_b32 v0, v10, v3, v0
.LBB4_586:                              ;   in Loop: Header=BB4_124 Depth=2
	s_or_b64 exec, exec, s[58:59]
.LBB4_587:                              ;   in Loop: Header=BB4_124 Depth=2
	s_or_b64 exec, exec, s[56:57]
.LBB4_588:                              ;   in Loop: Header=BB4_124 Depth=2
	s_or_b64 exec, exec, s[22:23]
	v_mul_f32_e32 v3, v7, v0
	v_and_b32_sdwa v0, v3, s76 dst_sel:DWORD dst_unused:UNUSED_PAD src0_sel:BYTE_3 src1_sel:DWORD
	v_and_b32_e32 v10, 0x7f800000, v3
	v_mov_b32_e32 v11, v39
	v_and_b32_e32 v38, 0x7fffff, v3
	v_or_b32_e32 v20, 0x7e, v0
	v_cmp_ne_u64_e32 vcc, s[42:43], v[10:11]
	s_and_saveexec_b64 s[22:23], vcc
	s_xor_b64 s[56:57], exec, s[22:23]
	s_cbranch_execz .LBB4_598
; %bb.589:                              ;   in Loop: Header=BB4_124 Depth=2
	v_and_b32_e32 v10, 0x7fffffff, v3
	v_mov_b32_e32 v11, v39
	v_cmp_gt_u64_e32 vcc, s[44:45], v[10:11]
	s_and_saveexec_b64 s[58:59], vcc
	s_cbranch_execz .LBB4_597
; %bb.590:                              ;   in Loop: Header=BB4_124 Depth=2
	v_cmp_ne_u32_e32 vcc, 0, v3
	v_mov_b32_e32 v20, 0
	s_and_saveexec_b64 s[60:61], vcc
	s_cbranch_execz .LBB4_596
; %bb.591:                              ;   in Loop: Header=BB4_124 Depth=2
	v_bfe_u32 v3, v3, 23, 8
	v_sub_u32_e32 v11, 0x79, v3
	v_cmp_gt_u32_e32 vcc, s77, v3
	v_add_u32_e32 v10, 0xffffff81, v3
	v_cndmask_b32_e32 v11, 0, v11, vcc
	v_cmp_eq_u32_e32 vcc, 0, v3
	v_mov_b32_e32 v3, 0xffffff82
	v_cndmask_b32_e32 v3, v10, v3, vcc
	v_mov_b32_e32 v10, 0x78
	v_or_b32_e32 v14, 0x800000, v38
	v_cndmask_b32_e32 v15, v11, v10, vcc
	v_cndmask_b32_e32 v38, v14, v38, vcc
	v_add_u32_e32 v10, 20, v15
	v_lshlrev_b64 v[10:11], v10, -1
	v_add_u32_e32 v14, 19, v15
	v_lshrrev_b64 v[24:25], v15, v[38:39]
	v_not_b32_e32 v11, v11
	v_not_b32_e32 v10, v10
	v_lshlrev_b64 v[16:17], v14, 1
	v_lshrrev_b32_e32 v14, 23, v24
	v_and_b32_e32 v11, 0, v11
	v_and_b32_e32 v10, v38, v10
	v_add3_u32 v15, v15, v3, v14
	v_bfe_u32 v3, v24, 20, 1
	v_add_u32_e32 v3, -1, v3
	v_cmp_eq_u64_e32 vcc, v[10:11], v[16:17]
	v_cndmask_b32_e32 v3, 0, v3, vcc
	v_add_u32_e32 v3, v3, v24
	v_and_b32_e32 v3, 0xfffff, v3
	v_add_co_u32_e32 v10, vcc, v3, v24
	v_add_u32_e32 v14, 6, v15
	v_addc_co_u32_e32 v11, vcc, 0, v25, vcc
	v_cmp_ne_u32_e32 vcc, 0, v14
                                        ; implicit-def: $vgpr3
	s_and_saveexec_b64 s[22:23], vcc
	s_xor_b64 s[22:23], exec, s[22:23]
; %bb.592:                              ;   in Loop: Header=BB4_124 Depth=2
	v_add_u32_e32 v3, 7, v15
	v_cmp_lt_u64_e32 vcc, s[48:49], v[10:11]
	v_cndmask_b32_e32 v3, v14, v3, vcc
	v_cndmask_b32_e64 v14, 0, 1, vcc
	v_lshrrev_b64 v[10:11], v14, v[10:11]
; %bb.593:                              ;   in Loop: Header=BB4_124 Depth=2
	s_andn2_saveexec_b64 s[22:23], s[22:23]
; %bb.594:                              ;   in Loop: Header=BB4_124 Depth=2
	v_bfe_u32 v3, v10, 23, 1
; %bb.595:                              ;   in Loop: Header=BB4_124 Depth=2
	s_or_b64 exec, exec, s[22:23]
	v_lshrrev_b64 v[10:11], 20, v[10:11]
	v_cmp_gt_i32_e32 vcc, 16, v3
	v_cndmask_b32_e32 v11, 0, v11, vcc
	v_cndmask_b32_e32 v10, 7, v10, vcc
	v_cmp_eq_u32_e32 vcc, 0, v3
	v_min_i32_e32 v3, 15, v3
	v_cmp_eq_u64_e64 s[22:23], 0, v[10:11]
	v_lshlrev_b32_e32 v3, 3, v3
	v_and_or_b32 v3, v10, 7, v3
	s_and_b64 s[22:23], vcc, s[22:23]
	v_cndmask_b32_e64 v3, v3, 0, s[22:23]
	v_or_b32_e32 v20, v3, v0
.LBB4_596:                              ;   in Loop: Header=BB4_124 Depth=2
	s_or_b64 exec, exec, s[60:61]
.LBB4_597:                              ;   in Loop: Header=BB4_124 Depth=2
	s_or_b64 exec, exec, s[58:59]
                                        ; implicit-def: $vgpr3
.LBB4_598:                              ;   in Loop: Header=BB4_124 Depth=2
	s_andn2_saveexec_b64 s[22:23], s[56:57]
; %bb.599:                              ;   in Loop: Header=BB4_124 Depth=2
	v_or_b32_sdwa v0, v3, s75 dst_sel:DWORD dst_unused:UNUSED_PAD src0_sel:BYTE_3 src1_sel:DWORD
	v_cmp_eq_u64_e32 vcc, 0, v[38:39]
	v_cndmask_b32_e32 v20, v0, v20, vcc
; %bb.600:                              ;   in Loop: Header=BB4_124 Depth=2
	s_or_b64 exec, exec, s[22:23]
	v_lshrrev_b32_e32 v10, 16, v12
	v_cmp_ne_u16_sdwa vcc, v10, v39 src0_sel:BYTE_0 src1_sel:DWORD
	v_mov_b32_e32 v0, 0
	s_and_saveexec_b64 s[22:23], vcc
	s_cbranch_execz .LBB4_606
; %bb.601:                              ;   in Loop: Header=BB4_124 Depth=2
	v_cmp_ne_u16_sdwa vcc, v10, s76 src0_sel:BYTE_0 src1_sel:DWORD
	v_bfrev_b32_e32 v0, 1
	s_and_saveexec_b64 s[56:57], vcc
	s_cbranch_execz .LBB4_605
; %bb.602:                              ;   in Loop: Header=BB4_124 Depth=2
	v_bfe_u32 v3, v12, 16, 7
	v_cmp_ne_u32_e32 vcc, s75, v3
	v_mov_b32_e32 v0, 0x7f800001
	s_and_saveexec_b64 s[58:59], vcc
	s_cbranch_execz .LBB4_604
; %bb.603:                              ;   in Loop: Header=BB4_124 Depth=2
	v_and_b32_e32 v0, 7, v10
	v_ffbh_u32_e32 v14, v0
	v_min_u32_e32 v16, 32, v14
	v_lshrrev_b32_e32 v11, 3, v3
	v_subrev_u32_e32 v14, 28, v16
	v_lshlrev_b64 v[14:15], v14, v[10:11]
	v_sub_u32_e32 v15, 29, v16
	v_and_b32_e32 v14, 7, v14
	v_cmp_gt_u32_e32 vcc, 8, v3
	v_cndmask_b32_e32 v3, v11, v15, vcc
	v_cndmask_b32_e32 v0, v0, v14, vcc
	v_lshlrev_b32_e32 v10, 24, v10
	v_bfrev_b32_e32 v11, 60
	v_lshlrev_b32_e32 v0, 20, v0
	v_and_b32_e32 v10, 0x80000000, v10
	v_lshl_add_u32 v3, v3, 23, v11
	v_or3_b32 v0, v10, v3, v0
.LBB4_604:                              ;   in Loop: Header=BB4_124 Depth=2
	s_or_b64 exec, exec, s[58:59]
.LBB4_605:                              ;   in Loop: Header=BB4_124 Depth=2
	s_or_b64 exec, exec, s[56:57]
.LBB4_606:                              ;   in Loop: Header=BB4_124 Depth=2
	s_or_b64 exec, exec, s[22:23]
	v_mul_f32_e32 v3, v7, v0
	v_and_b32_sdwa v0, v3, s76 dst_sel:DWORD dst_unused:UNUSED_PAD src0_sel:BYTE_3 src1_sel:DWORD
	v_and_b32_e32 v10, 0x7f800000, v3
	v_mov_b32_e32 v11, v39
	v_and_b32_e32 v38, 0x7fffff, v3
	v_or_b32_e32 v58, 0x7e, v0
	v_cmp_ne_u64_e32 vcc, s[42:43], v[10:11]
	s_and_saveexec_b64 s[22:23], vcc
	s_xor_b64 s[56:57], exec, s[22:23]
	s_cbranch_execz .LBB4_616
; %bb.607:                              ;   in Loop: Header=BB4_124 Depth=2
	v_and_b32_e32 v10, 0x7fffffff, v3
	v_mov_b32_e32 v11, v39
	v_cmp_gt_u64_e32 vcc, s[44:45], v[10:11]
	s_and_saveexec_b64 s[58:59], vcc
	s_cbranch_execz .LBB4_615
; %bb.608:                              ;   in Loop: Header=BB4_124 Depth=2
	v_cmp_ne_u32_e32 vcc, 0, v3
	v_mov_b32_e32 v58, 0
	s_and_saveexec_b64 s[60:61], vcc
	s_cbranch_execz .LBB4_614
; %bb.609:                              ;   in Loop: Header=BB4_124 Depth=2
	v_bfe_u32 v3, v3, 23, 8
	v_sub_u32_e32 v11, 0x79, v3
	v_cmp_gt_u32_e32 vcc, s77, v3
	v_add_u32_e32 v10, 0xffffff81, v3
	v_cndmask_b32_e32 v11, 0, v11, vcc
	v_cmp_eq_u32_e32 vcc, 0, v3
	v_mov_b32_e32 v3, 0xffffff82
	v_cndmask_b32_e32 v3, v10, v3, vcc
	v_mov_b32_e32 v10, 0x78
	v_or_b32_e32 v14, 0x800000, v38
	v_cndmask_b32_e32 v15, v11, v10, vcc
	v_cndmask_b32_e32 v38, v14, v38, vcc
	v_add_u32_e32 v10, 20, v15
	v_lshlrev_b64 v[10:11], v10, -1
	v_add_u32_e32 v14, 19, v15
	v_lshrrev_b64 v[24:25], v15, v[38:39]
	v_not_b32_e32 v11, v11
	v_not_b32_e32 v10, v10
	v_lshlrev_b64 v[16:17], v14, 1
	v_lshrrev_b32_e32 v14, 23, v24
	v_and_b32_e32 v11, 0, v11
	v_and_b32_e32 v10, v38, v10
	v_add3_u32 v15, v15, v3, v14
	v_bfe_u32 v3, v24, 20, 1
	v_add_u32_e32 v3, -1, v3
	v_cmp_eq_u64_e32 vcc, v[10:11], v[16:17]
	v_cndmask_b32_e32 v3, 0, v3, vcc
	v_add_u32_e32 v3, v3, v24
	v_and_b32_e32 v3, 0xfffff, v3
	v_add_co_u32_e32 v10, vcc, v3, v24
	v_add_u32_e32 v14, 6, v15
	v_addc_co_u32_e32 v11, vcc, 0, v25, vcc
	v_cmp_ne_u32_e32 vcc, 0, v14
                                        ; implicit-def: $vgpr3
	s_and_saveexec_b64 s[22:23], vcc
	s_xor_b64 s[22:23], exec, s[22:23]
; %bb.610:                              ;   in Loop: Header=BB4_124 Depth=2
	v_add_u32_e32 v3, 7, v15
	v_cmp_lt_u64_e32 vcc, s[48:49], v[10:11]
	v_cndmask_b32_e32 v3, v14, v3, vcc
	v_cndmask_b32_e64 v14, 0, 1, vcc
	v_lshrrev_b64 v[10:11], v14, v[10:11]
; %bb.611:                              ;   in Loop: Header=BB4_124 Depth=2
	s_andn2_saveexec_b64 s[22:23], s[22:23]
; %bb.612:                              ;   in Loop: Header=BB4_124 Depth=2
	v_bfe_u32 v3, v10, 23, 1
; %bb.613:                              ;   in Loop: Header=BB4_124 Depth=2
	s_or_b64 exec, exec, s[22:23]
	v_lshrrev_b64 v[10:11], 20, v[10:11]
	v_cmp_gt_i32_e32 vcc, 16, v3
	v_cndmask_b32_e32 v11, 0, v11, vcc
	v_cndmask_b32_e32 v10, 7, v10, vcc
	v_cmp_eq_u32_e32 vcc, 0, v3
	v_min_i32_e32 v3, 15, v3
	v_cmp_eq_u64_e64 s[22:23], 0, v[10:11]
	v_lshlrev_b32_e32 v3, 3, v3
	v_and_or_b32 v3, v10, 7, v3
	s_and_b64 s[22:23], vcc, s[22:23]
	v_cndmask_b32_e64 v3, v3, 0, s[22:23]
	v_or_b32_e32 v58, v3, v0
.LBB4_614:                              ;   in Loop: Header=BB4_124 Depth=2
	s_or_b64 exec, exec, s[60:61]
.LBB4_615:                              ;   in Loop: Header=BB4_124 Depth=2
	s_or_b64 exec, exec, s[58:59]
                                        ; implicit-def: $vgpr3
.LBB4_616:                              ;   in Loop: Header=BB4_124 Depth=2
	s_andn2_saveexec_b64 s[22:23], s[56:57]
; %bb.617:                              ;   in Loop: Header=BB4_124 Depth=2
	v_or_b32_sdwa v0, v3, s75 dst_sel:DWORD dst_unused:UNUSED_PAD src0_sel:BYTE_3 src1_sel:DWORD
	v_cmp_eq_u64_e32 vcc, 0, v[38:39]
	v_cndmask_b32_e32 v58, v0, v58, vcc
; %bb.618:                              ;   in Loop: Header=BB4_124 Depth=2
	s_or_b64 exec, exec, s[22:23]
	v_cmp_lt_u32_e32 vcc, s47, v12
	v_mov_b32_e32 v0, 0
	s_and_saveexec_b64 s[22:23], vcc
	s_cbranch_execz .LBB4_624
; %bb.619:                              ;   in Loop: Header=BB4_124 Depth=2
	v_lshrrev_b32_e32 v10, 24, v12
	v_cmp_ne_u32_e32 vcc, s76, v10
	v_bfrev_b32_e32 v0, 1
	s_and_saveexec_b64 s[56:57], vcc
	s_cbranch_execz .LBB4_623
; %bb.620:                              ;   in Loop: Header=BB4_124 Depth=2
	v_bfe_u32 v3, v12, 24, 7
	v_cmp_ne_u32_e32 vcc, s75, v3
	v_mov_b32_e32 v0, 0x7f800001
	s_and_saveexec_b64 s[58:59], vcc
	s_cbranch_execz .LBB4_622
; %bb.621:                              ;   in Loop: Header=BB4_124 Depth=2
	v_and_b32_e32 v0, 7, v10
	v_ffbh_u32_e32 v14, v0
	v_min_u32_e32 v16, 32, v14
	v_lshrrev_b32_e32 v11, 3, v3
	v_subrev_u32_e32 v14, 28, v16
	v_lshlrev_b64 v[14:15], v14, v[10:11]
	v_sub_u32_e32 v15, 29, v16
	v_and_b32_e32 v14, 7, v14
	v_cmp_gt_u32_e32 vcc, 8, v3
	v_cndmask_b32_e32 v3, v11, v15, vcc
	v_cndmask_b32_e32 v0, v0, v14, vcc
	v_lshlrev_b32_e32 v10, 24, v10
	v_bfrev_b32_e32 v11, 60
	v_lshlrev_b32_e32 v0, 20, v0
	v_and_b32_e32 v10, 0x80000000, v10
	v_lshl_add_u32 v3, v3, 23, v11
	v_or3_b32 v0, v10, v3, v0
.LBB4_622:                              ;   in Loop: Header=BB4_124 Depth=2
	s_or_b64 exec, exec, s[58:59]
.LBB4_623:                              ;   in Loop: Header=BB4_124 Depth=2
	s_or_b64 exec, exec, s[56:57]
.LBB4_624:                              ;   in Loop: Header=BB4_124 Depth=2
	s_or_b64 exec, exec, s[22:23]
	v_mul_f32_e32 v10, v7, v0
	v_and_b32_sdwa v3, v10, s76 dst_sel:DWORD dst_unused:UNUSED_PAD src0_sel:BYTE_3 src1_sel:DWORD
	v_and_b32_e32 v14, 0x7f800000, v10
	v_mov_b32_e32 v15, v39
	v_and_b32_e32 v38, 0x7fffff, v10
	v_or_b32_e32 v0, 0x7e, v3
	v_cmp_ne_u64_e32 vcc, s[42:43], v[14:15]
	s_and_saveexec_b64 s[22:23], vcc
	s_xor_b64 s[56:57], exec, s[22:23]
	s_cbranch_execz .LBB4_634
; %bb.625:                              ;   in Loop: Header=BB4_124 Depth=2
	v_and_b32_e32 v14, 0x7fffffff, v10
	v_mov_b32_e32 v15, v39
	v_cmp_gt_u64_e32 vcc, s[44:45], v[14:15]
	s_and_saveexec_b64 s[58:59], vcc
	s_cbranch_execz .LBB4_633
; %bb.626:                              ;   in Loop: Header=BB4_124 Depth=2
	v_cmp_ne_u32_e32 vcc, 0, v10
	v_mov_b32_e32 v0, 0
	s_and_saveexec_b64 s[60:61], vcc
	s_cbranch_execz .LBB4_632
; %bb.627:                              ;   in Loop: Header=BB4_124 Depth=2
	v_bfe_u32 v0, v10, 23, 8
	v_sub_u32_e32 v11, 0x79, v0
	v_cmp_gt_u32_e32 vcc, s77, v0
	v_add_u32_e32 v10, 0xffffff81, v0
	v_cndmask_b32_e32 v11, 0, v11, vcc
	v_cmp_eq_u32_e32 vcc, 0, v0
	v_mov_b32_e32 v0, 0xffffff82
	v_cndmask_b32_e32 v0, v10, v0, vcc
	v_mov_b32_e32 v10, 0x78
	v_or_b32_e32 v14, 0x800000, v38
	v_cndmask_b32_e32 v15, v11, v10, vcc
	v_cndmask_b32_e32 v38, v14, v38, vcc
	v_add_u32_e32 v10, 20, v15
	v_lshlrev_b64 v[10:11], v10, -1
	v_add_u32_e32 v14, 19, v15
	v_lshrrev_b64 v[24:25], v15, v[38:39]
	v_not_b32_e32 v11, v11
	v_not_b32_e32 v10, v10
	v_lshlrev_b64 v[16:17], v14, 1
	v_lshrrev_b32_e32 v14, 23, v24
	v_and_b32_e32 v11, 0, v11
	v_and_b32_e32 v10, v38, v10
	v_add3_u32 v15, v15, v0, v14
	v_bfe_u32 v0, v24, 20, 1
	v_add_u32_e32 v0, -1, v0
	v_cmp_eq_u64_e32 vcc, v[10:11], v[16:17]
	v_cndmask_b32_e32 v0, 0, v0, vcc
	v_add_u32_e32 v0, v0, v24
	v_and_b32_e32 v0, 0xfffff, v0
	v_add_co_u32_e32 v10, vcc, v0, v24
	v_add_u32_e32 v14, 6, v15
	v_addc_co_u32_e32 v11, vcc, 0, v25, vcc
	v_cmp_ne_u32_e32 vcc, 0, v14
                                        ; implicit-def: $vgpr0
	s_and_saveexec_b64 s[22:23], vcc
	s_xor_b64 s[22:23], exec, s[22:23]
; %bb.628:                              ;   in Loop: Header=BB4_124 Depth=2
	v_add_u32_e32 v0, 7, v15
	v_cmp_lt_u64_e32 vcc, s[48:49], v[10:11]
	v_cndmask_b32_e32 v0, v14, v0, vcc
	v_cndmask_b32_e64 v14, 0, 1, vcc
	v_lshrrev_b64 v[10:11], v14, v[10:11]
; %bb.629:                              ;   in Loop: Header=BB4_124 Depth=2
	s_andn2_saveexec_b64 s[22:23], s[22:23]
; %bb.630:                              ;   in Loop: Header=BB4_124 Depth=2
	v_bfe_u32 v0, v10, 23, 1
; %bb.631:                              ;   in Loop: Header=BB4_124 Depth=2
	s_or_b64 exec, exec, s[22:23]
	v_lshrrev_b64 v[10:11], 20, v[10:11]
	v_cmp_gt_i32_e32 vcc, 16, v0
	v_cndmask_b32_e32 v11, 0, v11, vcc
	v_cndmask_b32_e32 v10, 7, v10, vcc
	v_cmp_eq_u32_e32 vcc, 0, v0
	v_min_i32_e32 v0, 15, v0
	v_cmp_eq_u64_e64 s[22:23], 0, v[10:11]
	v_lshlrev_b32_e32 v0, 3, v0
	v_and_or_b32 v0, v10, 7, v0
	s_and_b64 s[22:23], vcc, s[22:23]
	v_cndmask_b32_e64 v0, v0, 0, s[22:23]
	v_or_b32_e32 v0, v0, v3
.LBB4_632:                              ;   in Loop: Header=BB4_124 Depth=2
	s_or_b64 exec, exec, s[60:61]
.LBB4_633:                              ;   in Loop: Header=BB4_124 Depth=2
	s_or_b64 exec, exec, s[58:59]
                                        ; implicit-def: $vgpr10
.LBB4_634:                              ;   in Loop: Header=BB4_124 Depth=2
	s_andn2_saveexec_b64 s[22:23], s[56:57]
; %bb.635:                              ;   in Loop: Header=BB4_124 Depth=2
	v_or_b32_sdwa v3, v10, s75 dst_sel:DWORD dst_unused:UNUSED_PAD src0_sel:BYTE_3 src1_sel:DWORD
	v_cmp_eq_u64_e32 vcc, 0, v[38:39]
	v_cndmask_b32_e32 v0, v3, v0, vcc
; %bb.636:                              ;   in Loop: Header=BB4_124 Depth=2
	s_or_b64 exec, exec, s[22:23]
	v_mov_b32_e32 v38, v13
	v_cmp_ne_u16_sdwa vcc, v13, v39 src0_sel:BYTE_0 src1_sel:DWORD
	v_mov_b32_e32 v3, 0
	s_and_saveexec_b64 s[22:23], vcc
	s_cbranch_execz .LBB4_642
; %bb.637:                              ;   in Loop: Header=BB4_124 Depth=2
	v_cmp_ne_u16_sdwa vcc, v13, s76 src0_sel:BYTE_0 src1_sel:DWORD
	v_bfrev_b32_e32 v3, 1
	s_and_saveexec_b64 s[56:57], vcc
	s_cbranch_execz .LBB4_641
; %bb.638:                              ;   in Loop: Header=BB4_124 Depth=2
	v_and_b32_e32 v10, 0x7f, v13
	v_cmp_ne_u32_e32 vcc, s75, v10
	v_mov_b32_e32 v3, 0x7f800001
	s_and_saveexec_b64 s[58:59], vcc
	s_cbranch_execz .LBB4_640
; %bb.639:                              ;   in Loop: Header=BB4_124 Depth=2
	v_and_b32_e32 v3, 7, v13
	v_ffbh_u32_e32 v3, v3
	v_min_u32_e32 v3, 32, v3
	v_subrev_u32_e32 v14, 28, v3
	v_cmp_gt_u32_e32 vcc, 8, v10
	v_lshrrev_b32_e32 v11, 3, v10
	v_sub_u32_e32 v3, 29, v3
	v_cndmask_b32_e32 v10, 0, v14, vcc
	v_cndmask_b32_e32 v3, v11, v3, vcc
	v_lshlrev_b64 v[10:11], v10, v[38:39]
	v_lshlrev_b32_e32 v10, 20, v10
	v_lshlrev_b32_e32 v11, 24, v38
	v_bfrev_b32_e32 v14, 60
	v_and_b32_e32 v10, 0x700000, v10
	v_and_b32_e32 v11, 0x80000000, v11
	v_lshl_add_u32 v3, v3, 23, v14
	v_or3_b32 v3, v11, v3, v10
.LBB4_640:                              ;   in Loop: Header=BB4_124 Depth=2
	s_or_b64 exec, exec, s[58:59]
.LBB4_641:                              ;   in Loop: Header=BB4_124 Depth=2
	s_or_b64 exec, exec, s[56:57]
.LBB4_642:                              ;   in Loop: Header=BB4_124 Depth=2
	s_or_b64 exec, exec, s[22:23]
	v_mul_f32_e32 v14, v7, v3
	v_and_b32_sdwa v3, v14, s76 dst_sel:DWORD dst_unused:UNUSED_PAD src0_sel:BYTE_3 src1_sel:DWORD
	v_and_b32_e32 v16, 0x7f800000, v14
	v_mov_b32_e32 v17, v39
	v_and_b32_e32 v10, 0x7fffff, v14
	v_mov_b32_e32 v11, v39
	v_or_b32_e32 v19, 0x7e, v3
	v_cmp_ne_u64_e32 vcc, s[42:43], v[16:17]
	s_and_saveexec_b64 s[22:23], vcc
	s_xor_b64 s[56:57], exec, s[22:23]
	s_cbranch_execz .LBB4_652
; %bb.643:                              ;   in Loop: Header=BB4_124 Depth=2
	v_and_b32_e32 v16, 0x7fffffff, v14
	v_mov_b32_e32 v17, v39
	v_cmp_gt_u64_e32 vcc, s[44:45], v[16:17]
	s_and_saveexec_b64 s[58:59], vcc
	s_cbranch_execz .LBB4_651
; %bb.644:                              ;   in Loop: Header=BB4_124 Depth=2
	v_cmp_ne_u32_e32 vcc, 0, v14
	v_mov_b32_e32 v19, 0
	s_and_saveexec_b64 s[60:61], vcc
	s_cbranch_execz .LBB4_650
; %bb.645:                              ;   in Loop: Header=BB4_124 Depth=2
	v_bfe_u32 v14, v14, 23, 8
	v_sub_u32_e32 v16, 0x79, v14
	v_cmp_gt_u32_e32 vcc, s77, v14
	v_add_u32_e32 v15, 0xffffff81, v14
	v_cndmask_b32_e32 v16, 0, v16, vcc
	v_cmp_eq_u32_e32 vcc, 0, v14
	v_mov_b32_e32 v14, 0xffffff82
	v_cndmask_b32_e32 v18, v15, v14, vcc
	v_mov_b32_e32 v14, 0x78
	v_cndmask_b32_e32 v16, v16, v14, vcc
	v_add_u32_e32 v14, 20, v16
	v_or_b32_e32 v17, 0x800000, v10
	v_lshlrev_b64 v[14:15], v14, -1
	v_cndmask_b32_e32 v10, v17, v10, vcc
	v_not_b32_e32 v14, v14
	v_and_b32_e32 v24, v10, v14
	v_add_u32_e32 v14, 19, v16
	v_lshrrev_b64 v[10:11], v16, v[10:11]
	v_not_b32_e32 v15, v15
	v_lshlrev_b64 v[54:55], v14, 1
	v_lshrrev_b32_e32 v14, 23, v10
	v_and_b32_e32 v25, 0, v15
	v_add3_u32 v16, v16, v18, v14
	v_bfe_u32 v14, v10, 20, 1
	v_add_u32_e32 v14, -1, v14
	v_cmp_eq_u64_e32 vcc, v[24:25], v[54:55]
	v_cndmask_b32_e32 v14, 0, v14, vcc
	v_add_u32_e32 v14, v14, v10
	v_and_b32_e32 v14, 0xfffff, v14
	v_add_co_u32_e32 v10, vcc, v14, v10
	v_add_u32_e32 v15, 6, v16
	v_addc_co_u32_e32 v11, vcc, 0, v11, vcc
	v_cmp_ne_u32_e32 vcc, 0, v15
                                        ; implicit-def: $vgpr14
	s_and_saveexec_b64 s[22:23], vcc
	s_xor_b64 s[22:23], exec, s[22:23]
; %bb.646:                              ;   in Loop: Header=BB4_124 Depth=2
	v_add_u32_e32 v14, 7, v16
	v_cmp_lt_u64_e32 vcc, s[48:49], v[10:11]
	v_cndmask_b32_e32 v14, v15, v14, vcc
	v_cndmask_b32_e64 v15, 0, 1, vcc
	v_lshrrev_b64 v[10:11], v15, v[10:11]
; %bb.647:                              ;   in Loop: Header=BB4_124 Depth=2
	s_andn2_saveexec_b64 s[22:23], s[22:23]
; %bb.648:                              ;   in Loop: Header=BB4_124 Depth=2
	v_bfe_u32 v14, v10, 23, 1
; %bb.649:                              ;   in Loop: Header=BB4_124 Depth=2
	s_or_b64 exec, exec, s[22:23]
	v_lshrrev_b64 v[10:11], 20, v[10:11]
	v_cmp_gt_i32_e32 vcc, 16, v14
	v_cndmask_b32_e32 v11, 0, v11, vcc
	v_cndmask_b32_e32 v10, 7, v10, vcc
	v_cmp_eq_u64_e64 s[22:23], 0, v[10:11]
	v_min_i32_e32 v11, 15, v14
	v_cmp_eq_u32_e32 vcc, 0, v14
	v_lshlrev_b32_e32 v11, 3, v11
	v_and_or_b32 v10, v10, 7, v11
	s_and_b64 s[22:23], vcc, s[22:23]
	v_cndmask_b32_e64 v10, v10, 0, s[22:23]
	v_or_b32_e32 v19, v10, v3
.LBB4_650:                              ;   in Loop: Header=BB4_124 Depth=2
	s_or_b64 exec, exec, s[60:61]
.LBB4_651:                              ;   in Loop: Header=BB4_124 Depth=2
	s_or_b64 exec, exec, s[58:59]
                                        ; implicit-def: $vgpr14
                                        ; implicit-def: $vgpr10_vgpr11
.LBB4_652:                              ;   in Loop: Header=BB4_124 Depth=2
	s_andn2_saveexec_b64 s[22:23], s[56:57]
; %bb.653:                              ;   in Loop: Header=BB4_124 Depth=2
	v_or_b32_sdwa v3, v14, s75 dst_sel:DWORD dst_unused:UNUSED_PAD src0_sel:BYTE_3 src1_sel:DWORD
	v_cmp_eq_u64_e32 vcc, 0, v[10:11]
	v_cndmask_b32_e32 v19, v3, v19, vcc
; %bb.654:                              ;   in Loop: Header=BB4_124 Depth=2
	s_or_b64 exec, exec, s[22:23]
	v_lshrrev_b16_e32 v10, 8, v38
	v_cmp_ne_u16_e32 vcc, 0, v10
	v_mov_b32_e32 v3, 0
	s_and_saveexec_b64 s[22:23], vcc
	s_cbranch_execz .LBB4_660
; %bb.655:                              ;   in Loop: Header=BB4_124 Depth=2
	v_cmp_ne_u16_e32 vcc, s76, v10
	v_bfrev_b32_e32 v3, 1
	s_and_saveexec_b64 s[56:57], vcc
	s_cbranch_execz .LBB4_659
; %bb.656:                              ;   in Loop: Header=BB4_124 Depth=2
	v_and_b32_e32 v11, 0x7f, v10
	v_cmp_ne_u32_e32 vcc, s75, v11
	v_mov_b32_e32 v3, 0x7f800001
	s_and_saveexec_b64 s[58:59], vcc
	s_cbranch_execz .LBB4_658
; %bb.657:                              ;   in Loop: Header=BB4_124 Depth=2
	v_and_b32_e32 v3, 7, v10
	v_ffbh_u32_e32 v14, v3
	v_min_u32_e32 v17, 32, v14
	v_subrev_u32_e32 v14, 28, v17
	v_lshlrev_b64 v[14:15], v14, v[10:11]
	v_lshrrev_b32_e32 v16, 3, v11
	v_sub_u32_e32 v10, 29, v17
	v_and_b32_e32 v14, 7, v14
	v_cmp_gt_u32_e32 vcc, 8, v11
	v_cndmask_b32_e32 v10, v16, v10, vcc
	v_cndmask_b32_e32 v3, v3, v14, vcc
	v_lshlrev_b32_e32 v11, 16, v38
	v_bfrev_b32_e32 v14, 60
	v_lshlrev_b32_e32 v3, 20, v3
	v_and_b32_e32 v11, 0x80000000, v11
	v_lshl_add_u32 v10, v10, 23, v14
	v_or3_b32 v3, v11, v10, v3
.LBB4_658:                              ;   in Loop: Header=BB4_124 Depth=2
	s_or_b64 exec, exec, s[58:59]
.LBB4_659:                              ;   in Loop: Header=BB4_124 Depth=2
	s_or_b64 exec, exec, s[56:57]
.LBB4_660:                              ;   in Loop: Header=BB4_124 Depth=2
	s_or_b64 exec, exec, s[22:23]
	v_mul_f32_e32 v10, v7, v3
	v_and_b32_sdwa v3, v10, s76 dst_sel:DWORD dst_unused:UNUSED_PAD src0_sel:BYTE_3 src1_sel:DWORD
	v_and_b32_e32 v14, 0x7f800000, v10
	v_mov_b32_e32 v15, v39
	v_and_b32_e32 v38, 0x7fffff, v10
	v_or_b32_e32 v26, 0x7e, v3
	v_cmp_ne_u64_e32 vcc, s[42:43], v[14:15]
	s_and_saveexec_b64 s[22:23], vcc
	s_xor_b64 s[56:57], exec, s[22:23]
	s_cbranch_execz .LBB4_670
; %bb.661:                              ;   in Loop: Header=BB4_124 Depth=2
	v_and_b32_e32 v14, 0x7fffffff, v10
	v_mov_b32_e32 v15, v39
	v_cmp_gt_u64_e32 vcc, s[44:45], v[14:15]
	s_and_saveexec_b64 s[58:59], vcc
	s_cbranch_execz .LBB4_669
; %bb.662:                              ;   in Loop: Header=BB4_124 Depth=2
	v_cmp_ne_u32_e32 vcc, 0, v10
	v_mov_b32_e32 v26, 0
	s_and_saveexec_b64 s[60:61], vcc
	s_cbranch_execz .LBB4_668
; %bb.663:                              ;   in Loop: Header=BB4_124 Depth=2
	v_bfe_u32 v10, v10, 23, 8
	v_sub_u32_e32 v14, 0x79, v10
	v_cmp_gt_u32_e32 vcc, s77, v10
	v_add_u32_e32 v11, 0xffffff81, v10
	v_cndmask_b32_e32 v14, 0, v14, vcc
	v_cmp_eq_u32_e32 vcc, 0, v10
	v_mov_b32_e32 v10, 0xffffff82
	v_cndmask_b32_e32 v16, v11, v10, vcc
	v_mov_b32_e32 v10, 0x78
	v_or_b32_e32 v15, 0x800000, v38
	v_cndmask_b32_e32 v14, v14, v10, vcc
	v_cndmask_b32_e32 v38, v15, v38, vcc
	v_add_u32_e32 v10, 20, v14
	v_lshlrev_b64 v[10:11], v10, -1
	v_add_u32_e32 v15, 19, v14
	v_lshrrev_b64 v[54:55], v14, v[38:39]
	v_not_b32_e32 v11, v11
	v_not_b32_e32 v10, v10
	v_lshlrev_b64 v[24:25], v15, 1
	v_lshrrev_b32_e32 v15, 23, v54
	v_and_b32_e32 v11, 0, v11
	v_and_b32_e32 v10, v38, v10
	v_add3_u32 v16, v14, v16, v15
	v_bfe_u32 v14, v54, 20, 1
	v_add_u32_e32 v14, -1, v14
	v_cmp_eq_u64_e32 vcc, v[10:11], v[24:25]
	v_cndmask_b32_e32 v10, 0, v14, vcc
	v_add_u32_e32 v10, v10, v54
	v_and_b32_e32 v10, 0xfffff, v10
	v_add_co_u32_e32 v10, vcc, v10, v54
	v_add_u32_e32 v15, 6, v16
	v_addc_co_u32_e32 v11, vcc, 0, v55, vcc
	v_cmp_ne_u32_e32 vcc, 0, v15
                                        ; implicit-def: $vgpr14
	s_and_saveexec_b64 s[22:23], vcc
	s_xor_b64 s[22:23], exec, s[22:23]
; %bb.664:                              ;   in Loop: Header=BB4_124 Depth=2
	v_add_u32_e32 v14, 7, v16
	v_cmp_lt_u64_e32 vcc, s[48:49], v[10:11]
	v_cndmask_b32_e32 v14, v15, v14, vcc
	v_cndmask_b32_e64 v15, 0, 1, vcc
	v_lshrrev_b64 v[10:11], v15, v[10:11]
; %bb.665:                              ;   in Loop: Header=BB4_124 Depth=2
	s_andn2_saveexec_b64 s[22:23], s[22:23]
; %bb.666:                              ;   in Loop: Header=BB4_124 Depth=2
	v_bfe_u32 v14, v10, 23, 1
; %bb.667:                              ;   in Loop: Header=BB4_124 Depth=2
	s_or_b64 exec, exec, s[22:23]
	v_lshrrev_b64 v[10:11], 20, v[10:11]
	v_cmp_gt_i32_e32 vcc, 16, v14
	v_cndmask_b32_e32 v11, 0, v11, vcc
	v_cndmask_b32_e32 v10, 7, v10, vcc
	v_cmp_eq_u64_e64 s[22:23], 0, v[10:11]
	v_min_i32_e32 v11, 15, v14
	v_lshlrev_b32_e32 v11, 3, v11
	v_cmp_eq_u32_e32 vcc, 0, v14
	v_and_b32_e32 v11, 0xf8, v11
	v_and_or_b32 v10, v10, 7, v11
	s_and_b64 s[22:23], vcc, s[22:23]
	v_cndmask_b32_e64 v10, v10, 0, s[22:23]
	v_or_b32_e32 v26, v10, v3
.LBB4_668:                              ;   in Loop: Header=BB4_124 Depth=2
	s_or_b64 exec, exec, s[60:61]
.LBB4_669:                              ;   in Loop: Header=BB4_124 Depth=2
	s_or_b64 exec, exec, s[58:59]
                                        ; implicit-def: $vgpr10
.LBB4_670:                              ;   in Loop: Header=BB4_124 Depth=2
	s_andn2_saveexec_b64 s[22:23], s[56:57]
; %bb.671:                              ;   in Loop: Header=BB4_124 Depth=2
	v_or_b32_sdwa v3, v10, s75 dst_sel:DWORD dst_unused:UNUSED_PAD src0_sel:BYTE_3 src1_sel:DWORD
	v_cmp_eq_u64_e32 vcc, 0, v[38:39]
	v_cndmask_b32_e32 v26, v3, v26, vcc
; %bb.672:                              ;   in Loop: Header=BB4_124 Depth=2
	s_or_b64 exec, exec, s[22:23]
	v_lshrrev_b32_e32 v10, 16, v13
	v_cmp_ne_u16_sdwa vcc, v10, v39 src0_sel:BYTE_0 src1_sel:DWORD
	v_mov_b32_e32 v3, 0
	s_and_saveexec_b64 s[22:23], vcc
	s_cbranch_execz .LBB4_678
; %bb.673:                              ;   in Loop: Header=BB4_124 Depth=2
	v_cmp_ne_u16_sdwa vcc, v10, s76 src0_sel:BYTE_0 src1_sel:DWORD
	v_bfrev_b32_e32 v3, 1
	s_and_saveexec_b64 s[56:57], vcc
	s_cbranch_execz .LBB4_677
; %bb.674:                              ;   in Loop: Header=BB4_124 Depth=2
	v_bfe_u32 v11, v13, 16, 7
	v_cmp_ne_u32_e32 vcc, s75, v11
	v_mov_b32_e32 v3, 0x7f800001
	s_and_saveexec_b64 s[58:59], vcc
	s_cbranch_execz .LBB4_676
; %bb.675:                              ;   in Loop: Header=BB4_124 Depth=2
	v_and_b32_e32 v3, 7, v10
	v_ffbh_u32_e32 v14, v3
	v_min_u32_e32 v17, 32, v14
	v_subrev_u32_e32 v14, 28, v17
	v_lshlrev_b64 v[14:15], v14, v[10:11]
	v_lshrrev_b32_e32 v16, 3, v11
	v_sub_u32_e32 v15, 29, v17
	v_and_b32_e32 v14, 7, v14
	v_cmp_gt_u32_e32 vcc, 8, v11
	v_cndmask_b32_e32 v11, v16, v15, vcc
	v_cndmask_b32_e32 v3, v3, v14, vcc
	v_lshlrev_b32_e32 v10, 24, v10
	v_bfrev_b32_e32 v14, 60
	v_lshlrev_b32_e32 v3, 20, v3
	v_and_b32_e32 v10, 0x80000000, v10
	v_lshl_add_u32 v11, v11, 23, v14
	v_or3_b32 v3, v10, v11, v3
.LBB4_676:                              ;   in Loop: Header=BB4_124 Depth=2
	s_or_b64 exec, exec, s[58:59]
.LBB4_677:                              ;   in Loop: Header=BB4_124 Depth=2
	s_or_b64 exec, exec, s[56:57]
.LBB4_678:                              ;   in Loop: Header=BB4_124 Depth=2
	s_or_b64 exec, exec, s[22:23]
	v_mul_f32_e32 v10, v7, v3
	v_and_b32_sdwa v3, v10, s76 dst_sel:DWORD dst_unused:UNUSED_PAD src0_sel:BYTE_3 src1_sel:DWORD
	v_and_b32_e32 v14, 0x7f800000, v10
	v_mov_b32_e32 v15, v39
	v_and_b32_e32 v38, 0x7fffff, v10
	v_or_b32_e32 v18, 0x7e, v3
	v_cmp_ne_u64_e32 vcc, s[42:43], v[14:15]
	s_and_saveexec_b64 s[22:23], vcc
	s_xor_b64 s[56:57], exec, s[22:23]
	s_cbranch_execz .LBB4_688
; %bb.679:                              ;   in Loop: Header=BB4_124 Depth=2
	v_and_b32_e32 v14, 0x7fffffff, v10
	v_mov_b32_e32 v15, v39
	v_cmp_gt_u64_e32 vcc, s[44:45], v[14:15]
	s_and_saveexec_b64 s[58:59], vcc
	s_cbranch_execz .LBB4_687
; %bb.680:                              ;   in Loop: Header=BB4_124 Depth=2
	v_cmp_ne_u32_e32 vcc, 0, v10
	v_mov_b32_e32 v18, 0
	s_and_saveexec_b64 s[60:61], vcc
	s_cbranch_execz .LBB4_686
; %bb.681:                              ;   in Loop: Header=BB4_124 Depth=2
	v_bfe_u32 v10, v10, 23, 8
	v_sub_u32_e32 v14, 0x79, v10
	v_cmp_gt_u32_e32 vcc, s77, v10
	v_add_u32_e32 v11, 0xffffff81, v10
	v_cndmask_b32_e32 v14, 0, v14, vcc
	v_cmp_eq_u32_e32 vcc, 0, v10
	v_mov_b32_e32 v10, 0xffffff82
	v_cndmask_b32_e32 v16, v11, v10, vcc
	v_mov_b32_e32 v10, 0x78
	v_or_b32_e32 v15, 0x800000, v38
	v_cndmask_b32_e32 v14, v14, v10, vcc
	v_cndmask_b32_e32 v38, v15, v38, vcc
	v_add_u32_e32 v10, 20, v14
	v_lshlrev_b64 v[10:11], v10, -1
	v_add_u32_e32 v15, 19, v14
	v_lshrrev_b64 v[54:55], v14, v[38:39]
	v_not_b32_e32 v11, v11
	v_not_b32_e32 v10, v10
	v_lshlrev_b64 v[24:25], v15, 1
	v_lshrrev_b32_e32 v15, 23, v54
	v_and_b32_e32 v11, 0, v11
	v_and_b32_e32 v10, v38, v10
	v_add3_u32 v16, v14, v16, v15
	v_bfe_u32 v14, v54, 20, 1
	v_add_u32_e32 v14, -1, v14
	v_cmp_eq_u64_e32 vcc, v[10:11], v[24:25]
	v_cndmask_b32_e32 v10, 0, v14, vcc
	v_add_u32_e32 v10, v10, v54
	v_and_b32_e32 v10, 0xfffff, v10
	v_add_co_u32_e32 v10, vcc, v10, v54
	v_add_u32_e32 v15, 6, v16
	v_addc_co_u32_e32 v11, vcc, 0, v55, vcc
	v_cmp_ne_u32_e32 vcc, 0, v15
                                        ; implicit-def: $vgpr14
	s_and_saveexec_b64 s[22:23], vcc
	s_xor_b64 s[22:23], exec, s[22:23]
; %bb.682:                              ;   in Loop: Header=BB4_124 Depth=2
	v_add_u32_e32 v14, 7, v16
	v_cmp_lt_u64_e32 vcc, s[48:49], v[10:11]
	v_cndmask_b32_e32 v14, v15, v14, vcc
	v_cndmask_b32_e64 v15, 0, 1, vcc
	v_lshrrev_b64 v[10:11], v15, v[10:11]
; %bb.683:                              ;   in Loop: Header=BB4_124 Depth=2
	s_andn2_saveexec_b64 s[22:23], s[22:23]
; %bb.684:                              ;   in Loop: Header=BB4_124 Depth=2
	v_bfe_u32 v14, v10, 23, 1
; %bb.685:                              ;   in Loop: Header=BB4_124 Depth=2
	s_or_b64 exec, exec, s[22:23]
	v_lshrrev_b64 v[10:11], 20, v[10:11]
	v_cmp_gt_i32_e32 vcc, 16, v14
	v_cndmask_b32_e32 v11, 0, v11, vcc
	v_cndmask_b32_e32 v10, 7, v10, vcc
	v_cmp_eq_u64_e64 s[22:23], 0, v[10:11]
	v_min_i32_e32 v11, 15, v14
	v_lshlrev_b32_e32 v11, 3, v11
	v_cmp_eq_u32_e32 vcc, 0, v14
	v_and_b32_e32 v11, 0xf8, v11
	v_and_or_b32 v10, v10, 7, v11
	s_and_b64 s[22:23], vcc, s[22:23]
	v_cndmask_b32_e64 v10, v10, 0, s[22:23]
	v_or_b32_e32 v18, v10, v3
.LBB4_686:                              ;   in Loop: Header=BB4_124 Depth=2
	s_or_b64 exec, exec, s[60:61]
.LBB4_687:                              ;   in Loop: Header=BB4_124 Depth=2
	s_or_b64 exec, exec, s[58:59]
                                        ; implicit-def: $vgpr10
.LBB4_688:                              ;   in Loop: Header=BB4_124 Depth=2
	s_andn2_saveexec_b64 s[22:23], s[56:57]
; %bb.689:                              ;   in Loop: Header=BB4_124 Depth=2
	v_or_b32_sdwa v3, v10, s75 dst_sel:DWORD dst_unused:UNUSED_PAD src0_sel:BYTE_3 src1_sel:DWORD
	v_cmp_eq_u64_e32 vcc, 0, v[38:39]
	v_cndmask_b32_e32 v18, v3, v18, vcc
; %bb.690:                              ;   in Loop: Header=BB4_124 Depth=2
	s_or_b64 exec, exec, s[22:23]
	v_cmp_lt_u64_e32 vcc, s[46:47], v[12:13]
	v_mov_b32_e32 v3, 0
	s_and_saveexec_b64 s[22:23], vcc
	s_cbranch_execz .LBB4_696
; %bb.691:                              ;   in Loop: Header=BB4_124 Depth=2
	v_lshrrev_b32_e32 v10, 24, v13
	v_cmp_ne_u32_e32 vcc, s76, v10
	v_bfrev_b32_e32 v3, 1
	s_and_saveexec_b64 s[56:57], vcc
	s_cbranch_execz .LBB4_695
; %bb.692:                              ;   in Loop: Header=BB4_124 Depth=2
	v_bfe_u32 v11, v13, 24, 7
	v_cmp_ne_u32_e32 vcc, s75, v11
	v_mov_b32_e32 v3, 0x7f800001
	s_and_saveexec_b64 s[58:59], vcc
	s_cbranch_execz .LBB4_694
; %bb.693:                              ;   in Loop: Header=BB4_124 Depth=2
	v_and_b32_e32 v3, 7, v10
	v_ffbh_u32_e32 v12, v3
	v_min_u32_e32 v15, 32, v12
	v_subrev_u32_e32 v12, 28, v15
	v_lshlrev_b64 v[12:13], v12, v[10:11]
	v_lshrrev_b32_e32 v14, 3, v11
	v_sub_u32_e32 v13, 29, v15
	v_and_b32_e32 v12, 7, v12
	v_cmp_gt_u32_e32 vcc, 8, v11
	v_cndmask_b32_e32 v11, v14, v13, vcc
	v_cndmask_b32_e32 v3, v3, v12, vcc
	v_lshlrev_b32_e32 v10, 24, v10
	v_bfrev_b32_e32 v12, 60
	v_lshlrev_b32_e32 v3, 20, v3
	v_and_b32_e32 v10, 0x80000000, v10
	v_lshl_add_u32 v11, v11, 23, v12
	v_or3_b32 v3, v10, v11, v3
.LBB4_694:                              ;   in Loop: Header=BB4_124 Depth=2
	s_or_b64 exec, exec, s[58:59]
.LBB4_695:                              ;   in Loop: Header=BB4_124 Depth=2
	s_or_b64 exec, exec, s[56:57]
.LBB4_696:                              ;   in Loop: Header=BB4_124 Depth=2
	s_or_b64 exec, exec, s[22:23]
	v_mul_f32_e32 v7, v7, v3
	v_and_b32_sdwa v3, v7, s76 dst_sel:DWORD dst_unused:UNUSED_PAD src0_sel:BYTE_3 src1_sel:DWORD
	v_and_b32_e32 v10, 0x7f800000, v7
	v_mov_b32_e32 v11, v39
	v_and_b32_e32 v38, 0x7fffff, v7
	v_or_b32_e32 v54, 0x7e, v3
	v_cmp_ne_u64_e32 vcc, s[42:43], v[10:11]
	s_and_saveexec_b64 s[22:23], vcc
	s_xor_b64 s[56:57], exec, s[22:23]
	s_cbranch_execz .LBB4_706
; %bb.697:                              ;   in Loop: Header=BB4_124 Depth=2
	v_and_b32_e32 v10, 0x7fffffff, v7
	v_mov_b32_e32 v11, v39
	v_cmp_gt_u64_e32 vcc, s[44:45], v[10:11]
	s_and_saveexec_b64 s[58:59], vcc
	s_cbranch_execz .LBB4_705
; %bb.698:                              ;   in Loop: Header=BB4_124 Depth=2
	v_cmp_ne_u32_e32 vcc, 0, v7
	v_mov_b32_e32 v54, 0
	s_and_saveexec_b64 s[60:61], vcc
	s_cbranch_execz .LBB4_704
; %bb.699:                              ;   in Loop: Header=BB4_124 Depth=2
	v_bfe_u32 v7, v7, 23, 8
	v_sub_u32_e32 v11, 0x79, v7
	v_cmp_gt_u32_e32 vcc, s77, v7
	v_add_u32_e32 v10, 0xffffff81, v7
	v_cndmask_b32_e32 v11, 0, v11, vcc
	v_cmp_eq_u32_e32 vcc, 0, v7
	v_mov_b32_e32 v7, 0xffffff82
	v_cndmask_b32_e32 v7, v10, v7, vcc
	v_mov_b32_e32 v10, 0x78
	v_or_b32_e32 v12, 0x800000, v38
	v_cndmask_b32_e32 v13, v11, v10, vcc
	v_cndmask_b32_e32 v38, v12, v38, vcc
	v_add_u32_e32 v10, 20, v13
	v_lshlrev_b64 v[10:11], v10, -1
	v_add_u32_e32 v12, 19, v13
	v_lshrrev_b64 v[16:17], v13, v[38:39]
	v_not_b32_e32 v11, v11
	v_not_b32_e32 v10, v10
	v_lshlrev_b64 v[14:15], v12, 1
	v_lshrrev_b32_e32 v12, 23, v16
	v_and_b32_e32 v11, 0, v11
	v_and_b32_e32 v10, v38, v10
	v_add3_u32 v13, v13, v7, v12
	v_bfe_u32 v7, v16, 20, 1
	v_add_u32_e32 v7, -1, v7
	v_cmp_eq_u64_e32 vcc, v[10:11], v[14:15]
	v_cndmask_b32_e32 v7, 0, v7, vcc
	v_add_u32_e32 v7, v7, v16
	v_and_b32_e32 v7, 0xfffff, v7
	v_add_co_u32_e32 v10, vcc, v7, v16
	v_add_u32_e32 v12, 6, v13
	v_addc_co_u32_e32 v11, vcc, 0, v17, vcc
	v_cmp_ne_u32_e32 vcc, 0, v12
                                        ; implicit-def: $vgpr7
	s_and_saveexec_b64 s[22:23], vcc
	s_xor_b64 s[22:23], exec, s[22:23]
; %bb.700:                              ;   in Loop: Header=BB4_124 Depth=2
	v_add_u32_e32 v7, 7, v13
	v_cmp_lt_u64_e32 vcc, s[48:49], v[10:11]
	v_cndmask_b32_e32 v7, v12, v7, vcc
	v_cndmask_b32_e64 v12, 0, 1, vcc
	v_lshrrev_b64 v[10:11], v12, v[10:11]
; %bb.701:                              ;   in Loop: Header=BB4_124 Depth=2
	s_andn2_saveexec_b64 s[22:23], s[22:23]
; %bb.702:                              ;   in Loop: Header=BB4_124 Depth=2
	v_bfe_u32 v7, v10, 23, 1
; %bb.703:                              ;   in Loop: Header=BB4_124 Depth=2
	s_or_b64 exec, exec, s[22:23]
	v_lshrrev_b64 v[10:11], 20, v[10:11]
	v_cmp_gt_i32_e32 vcc, 16, v7
	v_cndmask_b32_e32 v11, 0, v11, vcc
	v_cndmask_b32_e32 v10, 7, v10, vcc
	v_cmp_eq_u32_e32 vcc, 0, v7
	v_min_i32_e32 v7, 15, v7
	v_lshlrev_b32_e32 v7, 3, v7
	v_cmp_eq_u64_e64 s[22:23], 0, v[10:11]
	v_and_b32_e32 v7, 0xf8, v7
	v_and_or_b32 v7, v10, 7, v7
	s_and_b64 s[22:23], vcc, s[22:23]
	v_cndmask_b32_e64 v7, v7, 0, s[22:23]
	v_or_b32_e32 v54, v7, v3
.LBB4_704:                              ;   in Loop: Header=BB4_124 Depth=2
	s_or_b64 exec, exec, s[60:61]
.LBB4_705:                              ;   in Loop: Header=BB4_124 Depth=2
	s_or_b64 exec, exec, s[58:59]
                                        ; implicit-def: $vgpr7
.LBB4_706:                              ;   in Loop: Header=BB4_124 Depth=2
	s_andn2_saveexec_b64 s[22:23], s[56:57]
; %bb.707:                              ;   in Loop: Header=BB4_124 Depth=2
	v_or_b32_sdwa v3, v7, s75 dst_sel:DWORD dst_unused:UNUSED_PAD src0_sel:BYTE_3 src1_sel:DWORD
	v_cmp_eq_u64_e32 vcc, 0, v[38:39]
	v_cndmask_b32_e32 v54, v3, v54, vcc
; %bb.708:                              ;   in Loop: Header=BB4_124 Depth=2
	s_or_b64 exec, exec, s[22:23]
	global_load_dwordx4 v[14:17], v[46:47], off glc slc
	global_load_dwordx4 v[10:13], v[46:47], off offset:1024 glc slc
	v_lshlrev_b32_e32 v3, 8, v9
	v_cmp_ne_u16_sdwa vcc, v1, v39 src0_sel:BYTE_0 src1_sel:DWORD
	v_mov_b32_e32 v7, 0
	v_mov_b32_e32 v9, 0
	s_and_saveexec_b64 s[22:23], vcc
	s_cbranch_execz .LBB4_714
; %bb.709:                              ;   in Loop: Header=BB4_124 Depth=2
	v_cmp_ne_u16_sdwa vcc, v1, s76 src0_sel:BYTE_0 src1_sel:DWORD
	v_bfrev_b32_e32 v9, 1
	s_and_saveexec_b64 s[56:57], vcc
	s_cbranch_execz .LBB4_713
; %bb.710:                              ;   in Loop: Header=BB4_124 Depth=2
	v_and_b32_e32 v23, 0x7f, v1
	v_cmp_ne_u32_e32 vcc, s75, v23
	v_mov_b32_e32 v9, 0x7f800001
	s_and_saveexec_b64 s[58:59], vcc
	s_cbranch_execz .LBB4_712
; %bb.711:                              ;   in Loop: Header=BB4_124 Depth=2
	v_and_b32_e32 v9, 7, v1
	v_ffbh_u32_e32 v9, v9
	v_min_u32_e32 v9, 32, v9
	v_subrev_u32_e32 v38, 28, v9
	v_cmp_gt_u32_e32 vcc, 8, v23
	v_lshrrev_b32_e32 v25, 3, v23
	v_perm_b32 v24, v3, v1, s78
	v_sub_u32_e32 v9, 29, v9
	v_cndmask_b32_e32 v23, 0, v38, vcc
	v_cndmask_b32_e32 v9, v25, v9, vcc
	v_lshlrev_b64 v[24:25], v23, v[24:25]
	v_lshlrev_b32_e32 v23, 20, v24
	v_lshlrev_b32_e32 v1, 24, v1
	v_bfrev_b32_e32 v24, 60
	v_and_b32_e32 v23, 0x700000, v23
	v_and_b32_e32 v1, 0x80000000, v1
	v_lshl_add_u32 v9, v9, 23, v24
	v_or3_b32 v9, v1, v9, v23
.LBB4_712:                              ;   in Loop: Header=BB4_124 Depth=2
	s_or_b64 exec, exec, s[58:59]
.LBB4_713:                              ;   in Loop: Header=BB4_124 Depth=2
	s_or_b64 exec, exec, s[56:57]
.LBB4_714:                              ;   in Loop: Header=BB4_124 Depth=2
	s_or_b64 exec, exec, s[22:23]
	s_waitcnt vmcnt(1)
	v_cmp_ne_u16_sdwa vcc, v14, v39 src0_sel:BYTE_0 src1_sel:DWORD
	s_and_saveexec_b64 s[22:23], vcc
	s_cbranch_execz .LBB4_720
; %bb.715:                              ;   in Loop: Header=BB4_124 Depth=2
	v_cmp_ne_u16_sdwa vcc, v14, s76 src0_sel:BYTE_0 src1_sel:DWORD
	v_bfrev_b32_e32 v7, 1
	s_and_saveexec_b64 s[56:57], vcc
	s_cbranch_execz .LBB4_719
; %bb.716:                              ;   in Loop: Header=BB4_124 Depth=2
	v_and_b32_e32 v1, 0x7f, v14
	v_cmp_ne_u32_e32 vcc, s75, v1
	v_mov_b32_e32 v7, 0x7f800001
	s_and_saveexec_b64 s[58:59], vcc
	s_cbranch_execz .LBB4_718
; %bb.717:                              ;   in Loop: Header=BB4_124 Depth=2
	v_and_b32_e32 v7, 7, v14
	v_ffbh_u32_e32 v7, v7
	v_min_u32_e32 v7, 32, v7
	v_lshrrev_b32_e32 v23, 3, v1
	v_subrev_u32_e32 v24, 28, v7
	v_sub_u32_e32 v7, 29, v7
	v_cmp_gt_u32_e32 vcc, 8, v1
	v_cndmask_b32_e32 v1, v23, v7, vcc
	v_cndmask_b32_e32 v7, 0, v24, vcc
	v_lshlrev_b64 v[24:25], v7, v[14:15]
	v_lshlrev_b32_e32 v7, 20, v24
	v_lshlrev_b32_e32 v23, 24, v14
	v_bfrev_b32_e32 v24, 60
	v_and_b32_e32 v7, 0x700000, v7
	v_and_b32_e32 v23, 0x80000000, v23
	v_lshl_add_u32 v1, v1, 23, v24
	v_or3_b32 v7, v23, v1, v7
.LBB4_718:                              ;   in Loop: Header=BB4_124 Depth=2
	s_or_b64 exec, exec, s[58:59]
.LBB4_719:                              ;   in Loop: Header=BB4_124 Depth=2
	s_or_b64 exec, exec, s[56:57]
.LBB4_720:                              ;   in Loop: Header=BB4_124 Depth=2
	s_or_b64 exec, exec, s[22:23]
	v_add_f32_e32 v7, v9, v7
	v_and_b32_sdwa v1, v7, s76 dst_sel:DWORD dst_unused:UNUSED_PAD src0_sel:BYTE_3 src1_sel:DWORD
	v_and_b32_e32 v24, 0x7f800000, v7
	v_mov_b32_e32 v25, v39
	v_and_b32_e32 v38, 0x7fffff, v7
	v_or_b32_e32 v55, 0x7e, v1
	v_cmp_ne_u64_e32 vcc, s[42:43], v[24:25]
	s_and_saveexec_b64 s[22:23], vcc
	s_xor_b64 s[56:57], exec, s[22:23]
	s_cbranch_execz .LBB4_730
; %bb.721:                              ;   in Loop: Header=BB4_124 Depth=2
	v_and_b32_e32 v24, 0x7fffffff, v7
	v_mov_b32_e32 v25, v39
	v_cmp_gt_u64_e32 vcc, s[44:45], v[24:25]
	s_and_saveexec_b64 s[58:59], vcc
	s_cbranch_execz .LBB4_729
; %bb.722:                              ;   in Loop: Header=BB4_124 Depth=2
	v_cmp_ne_u32_e32 vcc, 0, v7
	v_mov_b32_e32 v55, 0
	s_and_saveexec_b64 s[60:61], vcc
	s_cbranch_execz .LBB4_728
; %bb.723:                              ;   in Loop: Header=BB4_124 Depth=2
	v_bfe_u32 v7, v7, 23, 8
	v_sub_u32_e32 v23, 0x79, v7
	v_cmp_gt_u32_e32 vcc, s77, v7
	v_add_u32_e32 v9, 0xffffff81, v7
	v_cndmask_b32_e32 v23, 0, v23, vcc
	v_cmp_eq_u32_e32 vcc, 0, v7
	v_mov_b32_e32 v7, 0xffffff82
	v_cndmask_b32_e32 v7, v9, v7, vcc
	v_mov_b32_e32 v9, 0x78
	v_cndmask_b32_e32 v9, v23, v9, vcc
	v_or_b32_e32 v24, 0x800000, v38
	v_add_u32_e32 v23, 20, v9
	v_cndmask_b32_e32 v38, v24, v38, vcc
	v_lshlrev_b64 v[24:25], v23, -1
	v_not_b32_e32 v23, v25
	v_and_b32_e32 v25, 0, v23
	v_add_u32_e32 v23, 19, v9
	v_lshrrev_b64 v[50:51], v9, v[38:39]
	v_not_b32_e32 v24, v24
	v_lshlrev_b64 v[52:53], v23, 1
	v_lshrrev_b32_e32 v23, 23, v50
	v_and_b32_e32 v24, v38, v24
	v_add3_u32 v23, v9, v7, v23
	v_bfe_u32 v7, v50, 20, 1
	v_add_u32_e32 v7, -1, v7
	v_cmp_eq_u64_e32 vcc, v[24:25], v[52:53]
	v_cndmask_b32_e32 v7, 0, v7, vcc
	v_add_u32_e32 v7, v7, v50
	v_and_b32_e32 v7, 0xfffff, v7
	v_add_co_u32_e32 v24, vcc, v7, v50
	v_add_u32_e32 v9, 6, v23
	v_addc_co_u32_e32 v25, vcc, 0, v51, vcc
	v_cmp_ne_u32_e32 vcc, 0, v9
                                        ; implicit-def: $vgpr7
	s_and_saveexec_b64 s[22:23], vcc
	s_xor_b64 s[22:23], exec, s[22:23]
; %bb.724:                              ;   in Loop: Header=BB4_124 Depth=2
	v_add_u32_e32 v7, 7, v23
	v_cmp_lt_u64_e32 vcc, s[48:49], v[24:25]
	v_cndmask_b32_e32 v7, v9, v7, vcc
	v_cndmask_b32_e64 v9, 0, 1, vcc
	v_lshrrev_b64 v[24:25], v9, v[24:25]
; %bb.725:                              ;   in Loop: Header=BB4_124 Depth=2
	s_andn2_saveexec_b64 s[22:23], s[22:23]
; %bb.726:                              ;   in Loop: Header=BB4_124 Depth=2
	v_bfe_u32 v7, v24, 23, 1
; %bb.727:                              ;   in Loop: Header=BB4_124 Depth=2
	s_or_b64 exec, exec, s[22:23]
	v_lshrrev_b64 v[24:25], 20, v[24:25]
	v_cmp_gt_i32_e32 vcc, 16, v7
	v_cndmask_b32_e32 v25, 0, v25, vcc
	v_cndmask_b32_e32 v24, 7, v24, vcc
	v_cmp_eq_u32_e32 vcc, 0, v7
	v_min_i32_e32 v7, 15, v7
	v_cmp_eq_u64_e64 s[22:23], 0, v[24:25]
	v_lshlrev_b32_e32 v7, 3, v7
	v_and_or_b32 v7, v24, 7, v7
	s_and_b64 s[22:23], vcc, s[22:23]
	v_cndmask_b32_e64 v7, v7, 0, s[22:23]
	v_or_b32_e32 v55, v7, v1
	v_accvgpr_read_b32 v52, a48
.LBB4_728:                              ;   in Loop: Header=BB4_124 Depth=2
	s_or_b64 exec, exec, s[60:61]
.LBB4_729:                              ;   in Loop: Header=BB4_124 Depth=2
	s_or_b64 exec, exec, s[58:59]
                                        ; implicit-def: $vgpr7
.LBB4_730:                              ;   in Loop: Header=BB4_124 Depth=2
	s_andn2_saveexec_b64 s[22:23], s[56:57]
; %bb.731:                              ;   in Loop: Header=BB4_124 Depth=2
	v_or_b32_sdwa v1, v7, s75 dst_sel:DWORD dst_unused:UNUSED_PAD src0_sel:BYTE_3 src1_sel:DWORD
	v_cmp_eq_u64_e32 vcc, 0, v[38:39]
	v_cndmask_b32_e32 v55, v1, v55, vcc
; %bb.732:                              ;   in Loop: Header=BB4_124 Depth=2
	s_or_b64 exec, exec, s[22:23]
	v_lshrrev_b16_e32 v24, 8, v3
	v_cmp_ne_u16_e32 vcc, 0, v24
	v_mov_b32_e32 v1, 0
	v_mov_b32_e32 v7, 0
	s_and_saveexec_b64 s[22:23], vcc
	s_cbranch_execz .LBB4_738
; %bb.733:                              ;   in Loop: Header=BB4_124 Depth=2
	v_cmp_ne_u16_e32 vcc, s76, v24
	v_bfrev_b32_e32 v7, 1
	s_and_saveexec_b64 s[56:57], vcc
	s_cbranch_execz .LBB4_737
; %bb.734:                              ;   in Loop: Header=BB4_124 Depth=2
	v_and_b32_e32 v9, 0x7f, v24
	v_cmp_ne_u32_e32 vcc, s75, v9
	v_mov_b32_e32 v7, 0x7f800001
	s_and_saveexec_b64 s[58:59], vcc
	s_cbranch_execz .LBB4_736
; %bb.735:                              ;   in Loop: Header=BB4_124 Depth=2
	v_and_b32_e32 v7, 7, v24
	v_ffbh_u32_e32 v25, v7
	v_min_u32_e32 v38, 32, v25
	v_subrev_u32_e32 v25, 28, v38
	v_lshlrev_b64 v[24:25], v25, v[24:25]
	v_lshrrev_b32_e32 v23, 3, v9
	v_sub_u32_e32 v25, 29, v38
	v_and_b32_e32 v24, 7, v24
	v_cmp_gt_u32_e32 vcc, 8, v9
	v_cndmask_b32_e32 v9, v23, v25, vcc
	v_cndmask_b32_e32 v7, v7, v24, vcc
	v_lshlrev_b32_e32 v3, 16, v3
	v_bfrev_b32_e32 v23, 60
	v_lshlrev_b32_e32 v7, 20, v7
	v_and_b32_e32 v3, 0x80000000, v3
	v_lshl_add_u32 v9, v9, 23, v23
	v_or3_b32 v7, v3, v9, v7
.LBB4_736:                              ;   in Loop: Header=BB4_124 Depth=2
	s_or_b64 exec, exec, s[58:59]
.LBB4_737:                              ;   in Loop: Header=BB4_124 Depth=2
	s_or_b64 exec, exec, s[56:57]
.LBB4_738:                              ;   in Loop: Header=BB4_124 Depth=2
	s_or_b64 exec, exec, s[22:23]
	v_lshrrev_b16_e32 v24, 8, v14
	v_cmp_ne_u16_e32 vcc, 0, v24
	s_and_saveexec_b64 s[22:23], vcc
	s_cbranch_execz .LBB4_744
; %bb.739:                              ;   in Loop: Header=BB4_124 Depth=2
	v_cmp_ne_u16_e32 vcc, s76, v24
	v_bfrev_b32_e32 v1, 1
	s_and_saveexec_b64 s[56:57], vcc
	s_cbranch_execz .LBB4_743
; %bb.740:                              ;   in Loop: Header=BB4_124 Depth=2
	v_and_b32_e32 v3, 0x7f, v24
	v_cmp_ne_u32_e32 vcc, s75, v3
	v_mov_b32_e32 v1, 0x7f800001
	s_and_saveexec_b64 s[58:59], vcc
	s_cbranch_execz .LBB4_742
; %bb.741:                              ;   in Loop: Header=BB4_124 Depth=2
	v_and_b32_e32 v1, 7, v24
	v_ffbh_u32_e32 v23, v1
	v_min_u32_e32 v23, 32, v23
	v_subrev_u32_e32 v25, 28, v23
	v_lshlrev_b64 v[24:25], v25, v[24:25]
	v_lshrrev_b32_e32 v9, 3, v3
	v_sub_u32_e32 v23, 29, v23
	v_and_b32_e32 v24, 7, v24
	v_cmp_gt_u32_e32 vcc, 8, v3
	v_cndmask_b32_e32 v3, v9, v23, vcc
	v_cndmask_b32_e32 v1, v1, v24, vcc
	v_lshlrev_b32_e32 v9, 16, v14
	v_bfrev_b32_e32 v23, 60
	v_lshlrev_b32_e32 v1, 20, v1
	v_and_b32_e32 v9, 0x80000000, v9
	v_lshl_add_u32 v3, v3, 23, v23
	v_or3_b32 v1, v9, v3, v1
.LBB4_742:                              ;   in Loop: Header=BB4_124 Depth=2
	s_or_b64 exec, exec, s[58:59]
.LBB4_743:                              ;   in Loop: Header=BB4_124 Depth=2
	s_or_b64 exec, exec, s[56:57]
.LBB4_744:                              ;   in Loop: Header=BB4_124 Depth=2
	s_or_b64 exec, exec, s[22:23]
	v_add_f32_e32 v7, v7, v1
	v_and_b32_sdwa v3, v7, s76 dst_sel:DWORD dst_unused:UNUSED_PAD src0_sel:BYTE_3 src1_sel:DWORD
	v_and_b32_e32 v24, 0x7f800000, v7
	v_mov_b32_e32 v25, v39
	v_and_b32_e32 v38, 0x7fffff, v7
	v_or_b32_e32 v1, 0x7e, v3
	v_cmp_ne_u64_e32 vcc, s[42:43], v[24:25]
	s_and_saveexec_b64 s[22:23], vcc
	s_xor_b64 s[56:57], exec, s[22:23]
	s_cbranch_execz .LBB4_754
; %bb.745:                              ;   in Loop: Header=BB4_124 Depth=2
	v_and_b32_e32 v24, 0x7fffffff, v7
	v_mov_b32_e32 v25, v39
	v_cmp_gt_u64_e32 vcc, s[44:45], v[24:25]
	s_and_saveexec_b64 s[58:59], vcc
	s_cbranch_execz .LBB4_753
; %bb.746:                              ;   in Loop: Header=BB4_124 Depth=2
	v_cmp_ne_u32_e32 vcc, 0, v7
	v_mov_b32_e32 v1, 0
	s_and_saveexec_b64 s[60:61], vcc
	s_cbranch_execz .LBB4_752
; %bb.747:                              ;   in Loop: Header=BB4_124 Depth=2
	v_bfe_u32 v1, v7, 23, 8
	v_sub_u32_e32 v9, 0x79, v1
	v_cmp_gt_u32_e32 vcc, s77, v1
	v_add_u32_e32 v7, 0xffffff81, v1
	v_cndmask_b32_e32 v9, 0, v9, vcc
	v_cmp_eq_u32_e32 vcc, 0, v1
	v_mov_b32_e32 v1, 0xffffff82
	v_cndmask_b32_e32 v1, v7, v1, vcc
	v_mov_b32_e32 v7, 0x78
	v_cndmask_b32_e32 v7, v9, v7, vcc
	v_add_u32_e32 v9, 20, v7
	v_or_b32_e32 v23, 0x800000, v38
	v_lshlrev_b64 v[24:25], v9, -1
	v_cndmask_b32_e32 v38, v23, v38, vcc
	v_not_b32_e32 v9, v25
	v_and_b32_e32 v25, 0, v9
	v_add_u32_e32 v9, 19, v7
	v_lshrrev_b64 v[52:53], v7, v[38:39]
	v_not_b32_e32 v23, v24
	v_lshlrev_b64 v[50:51], v9, 1
	v_lshrrev_b32_e32 v9, 23, v52
	v_and_b32_e32 v24, v38, v23
	v_add3_u32 v9, v7, v1, v9
	v_bfe_u32 v1, v52, 20, 1
	v_add_u32_e32 v1, -1, v1
	v_cmp_eq_u64_e32 vcc, v[24:25], v[50:51]
	v_cndmask_b32_e32 v1, 0, v1, vcc
	v_add_u32_e32 v1, v1, v52
	v_and_b32_e32 v1, 0xfffff, v1
	v_add_co_u32_e32 v24, vcc, v1, v52
	v_add_u32_e32 v7, 6, v9
	v_addc_co_u32_e32 v25, vcc, 0, v53, vcc
	v_cmp_ne_u32_e32 vcc, 0, v7
                                        ; implicit-def: $vgpr1
	s_and_saveexec_b64 s[22:23], vcc
	s_xor_b64 s[22:23], exec, s[22:23]
; %bb.748:                              ;   in Loop: Header=BB4_124 Depth=2
	v_add_u32_e32 v1, 7, v9
	v_cmp_lt_u64_e32 vcc, s[48:49], v[24:25]
	v_cndmask_b32_e32 v1, v7, v1, vcc
	v_cndmask_b32_e64 v7, 0, 1, vcc
	v_lshrrev_b64 v[24:25], v7, v[24:25]
; %bb.749:                              ;   in Loop: Header=BB4_124 Depth=2
	s_andn2_saveexec_b64 s[22:23], s[22:23]
; %bb.750:                              ;   in Loop: Header=BB4_124 Depth=2
	v_bfe_u32 v1, v24, 23, 1
; %bb.751:                              ;   in Loop: Header=BB4_124 Depth=2
	s_or_b64 exec, exec, s[22:23]
	v_lshrrev_b64 v[24:25], 20, v[24:25]
	v_cmp_gt_i32_e32 vcc, 16, v1
	v_cndmask_b32_e32 v25, 0, v25, vcc
	v_cndmask_b32_e32 v24, 7, v24, vcc
	v_cmp_eq_u32_e32 vcc, 0, v1
	v_min_i32_e32 v1, 15, v1
	v_cmp_eq_u64_e64 s[22:23], 0, v[24:25]
	v_lshlrev_b32_e32 v1, 3, v1
	v_and_or_b32 v1, v24, 7, v1
	s_and_b64 s[22:23], vcc, s[22:23]
	v_cndmask_b32_e64 v1, v1, 0, s[22:23]
	v_or_b32_e32 v1, v1, v3
	v_accvgpr_read_b32 v52, a48
.LBB4_752:                              ;   in Loop: Header=BB4_124 Depth=2
	s_or_b64 exec, exec, s[60:61]
.LBB4_753:                              ;   in Loop: Header=BB4_124 Depth=2
	s_or_b64 exec, exec, s[58:59]
                                        ; implicit-def: $vgpr7
.LBB4_754:                              ;   in Loop: Header=BB4_124 Depth=2
	s_andn2_saveexec_b64 s[22:23], s[56:57]
; %bb.755:                              ;   in Loop: Header=BB4_124 Depth=2
	v_or_b32_sdwa v3, v7, s75 dst_sel:DWORD dst_unused:UNUSED_PAD src0_sel:BYTE_3 src1_sel:DWORD
	v_cmp_eq_u64_e32 vcc, 0, v[38:39]
	v_cndmask_b32_e32 v1, v3, v1, vcc
; %bb.756:                              ;   in Loop: Header=BB4_124 Depth=2
	s_or_b64 exec, exec, s[22:23]
	v_cmp_ne_u16_sdwa vcc, v2, v39 src0_sel:BYTE_0 src1_sel:DWORD
	v_mov_b32_e32 v3, 0
	v_mov_b32_e32 v7, 0
	s_and_saveexec_b64 s[22:23], vcc
	s_cbranch_execz .LBB4_762
; %bb.757:                              ;   in Loop: Header=BB4_124 Depth=2
	v_cmp_ne_u16_sdwa vcc, v2, s76 src0_sel:BYTE_0 src1_sel:DWORD
	v_bfrev_b32_e32 v7, 1
	s_and_saveexec_b64 s[56:57], vcc
	s_cbranch_execz .LBB4_761
; %bb.758:                              ;   in Loop: Header=BB4_124 Depth=2
	v_and_b32_e32 v9, 0x7f, v2
	v_cmp_ne_u32_e32 vcc, s75, v9
	v_mov_b32_e32 v7, 0x7f800001
	s_and_saveexec_b64 s[58:59], vcc
	s_cbranch_execz .LBB4_760
; %bb.759:                              ;   in Loop: Header=BB4_124 Depth=2
	v_and_b32_e32 v7, 7, v2
	v_ffbh_u32_e32 v24, v7
	v_min_u32_e32 v38, 32, v24
	v_subrev_u32_e32 v24, 28, v38
	v_lshlrev_b64 v[24:25], v24, v[2:3]
	v_lshrrev_b32_e32 v23, 3, v9
	v_sub_u32_e32 v25, 29, v38
	v_and_b32_e32 v24, 7, v24
	v_cmp_gt_u32_e32 vcc, 8, v9
	v_cndmask_b32_e32 v9, v23, v25, vcc
	v_cndmask_b32_e32 v7, v7, v24, vcc
	v_lshlrev_b32_e32 v2, 24, v2
	v_bfrev_b32_e32 v23, 60
	v_lshlrev_b32_e32 v7, 20, v7
	v_and_b32_e32 v2, 0x80000000, v2
	v_lshl_add_u32 v9, v9, 23, v23
	v_or3_b32 v7, v2, v9, v7
.LBB4_760:                              ;   in Loop: Header=BB4_124 Depth=2
	s_or_b64 exec, exec, s[58:59]
.LBB4_761:                              ;   in Loop: Header=BB4_124 Depth=2
	s_or_b64 exec, exec, s[56:57]
.LBB4_762:                              ;   in Loop: Header=BB4_124 Depth=2
	s_or_b64 exec, exec, s[22:23]
	v_lshrrev_b32_e32 v2, 16, v14
	v_cmp_ne_u16_sdwa vcc, v2, v39 src0_sel:BYTE_0 src1_sel:DWORD
	s_and_saveexec_b64 s[22:23], vcc
	s_cbranch_execz .LBB4_768
; %bb.763:                              ;   in Loop: Header=BB4_124 Depth=2
	v_cmp_ne_u16_sdwa vcc, v2, s76 src0_sel:BYTE_0 src1_sel:DWORD
	v_bfrev_b32_e32 v3, 1
	s_and_saveexec_b64 s[56:57], vcc
	s_cbranch_execz .LBB4_767
; %bb.764:                              ;   in Loop: Header=BB4_124 Depth=2
	v_bfe_u32 v9, v14, 16, 7
	v_cmp_ne_u32_e32 vcc, s75, v9
	v_mov_b32_e32 v3, 0x7f800001
	s_and_saveexec_b64 s[58:59], vcc
	s_cbranch_execz .LBB4_766
; %bb.765:                              ;   in Loop: Header=BB4_124 Depth=2
	v_and_b32_e32 v23, 7, v2
	v_ffbh_u32_e32 v3, v23
	v_min_u32_e32 v25, 32, v3
	v_subrev_u32_e32 v3, 28, v25
	v_lshlrev_b64 v[2:3], v3, v[2:3]
	v_lshrrev_b32_e32 v24, 3, v9
	v_sub_u32_e32 v3, 29, v25
	v_and_b32_e32 v2, 7, v2
	v_cmp_gt_u32_e32 vcc, 8, v9
	v_cndmask_b32_e32 v3, v24, v3, vcc
	v_cndmask_b32_e32 v2, v23, v2, vcc
	v_lshlrev_b32_e32 v9, 8, v14
	v_bfrev_b32_e32 v23, 60
	v_lshlrev_b32_e32 v2, 20, v2
	v_and_b32_e32 v9, 0x80000000, v9
	v_lshl_add_u32 v3, v3, 23, v23
	v_or3_b32 v3, v9, v3, v2
.LBB4_766:                              ;   in Loop: Header=BB4_124 Depth=2
	s_or_b64 exec, exec, s[58:59]
.LBB4_767:                              ;   in Loop: Header=BB4_124 Depth=2
	s_or_b64 exec, exec, s[56:57]
.LBB4_768:                              ;   in Loop: Header=BB4_124 Depth=2
	s_or_b64 exec, exec, s[22:23]
	v_add_f32_e32 v2, v7, v3
	v_and_b32_sdwa v7, v2, s76 dst_sel:DWORD dst_unused:UNUSED_PAD src0_sel:BYTE_3 src1_sel:DWORD
	v_and_b32_e32 v50, 0x7f800000, v2
	v_mov_b32_e32 v51, v39
	v_and_b32_e32 v38, 0x7fffff, v2
	v_or_b32_e32 v25, 0x7e, v7
	v_cmp_ne_u64_e32 vcc, s[42:43], v[50:51]
	s_and_saveexec_b64 s[22:23], vcc
	s_xor_b64 s[56:57], exec, s[22:23]
	s_cbranch_execz .LBB4_778
; %bb.769:                              ;   in Loop: Header=BB4_124 Depth=2
	v_and_b32_e32 v50, 0x7fffffff, v2
	v_mov_b32_e32 v51, v39
	v_cmp_gt_u64_e32 vcc, s[44:45], v[50:51]
	s_and_saveexec_b64 s[58:59], vcc
	s_cbranch_execz .LBB4_777
; %bb.770:                              ;   in Loop: Header=BB4_124 Depth=2
	v_cmp_ne_u32_e32 vcc, 0, v2
	v_mov_b32_e32 v25, 0
	s_and_saveexec_b64 s[60:61], vcc
	s_cbranch_execz .LBB4_776
; %bb.771:                              ;   in Loop: Header=BB4_124 Depth=2
	v_bfe_u32 v2, v2, 23, 8
	v_sub_u32_e32 v9, 0x79, v2
	v_cmp_gt_u32_e32 vcc, s77, v2
	v_add_u32_e32 v3, 0xffffff81, v2
	v_cndmask_b32_e32 v9, 0, v9, vcc
	v_cmp_eq_u32_e32 vcc, 0, v2
	v_mov_b32_e32 v2, 0xffffff82
	v_cndmask_b32_e32 v24, v3, v2, vcc
	v_mov_b32_e32 v2, 0x78
	v_or_b32_e32 v23, 0x800000, v38
	v_cndmask_b32_e32 v9, v9, v2, vcc
	v_cndmask_b32_e32 v38, v23, v38, vcc
	v_add_u32_e32 v2, 20, v9
	v_lshlrev_b64 v[2:3], v2, -1
	v_add_u32_e32 v23, 19, v9
	v_lshrrev_b64 v[52:53], v9, v[38:39]
	v_not_b32_e32 v3, v3
	v_not_b32_e32 v2, v2
	v_lshlrev_b64 v[50:51], v23, 1
	v_lshrrev_b32_e32 v23, 23, v52
	v_and_b32_e32 v3, 0, v3
	v_and_b32_e32 v2, v38, v2
	v_add3_u32 v24, v9, v24, v23
	v_bfe_u32 v9, v52, 20, 1
	v_add_u32_e32 v9, -1, v9
	v_cmp_eq_u64_e32 vcc, v[2:3], v[50:51]
	v_cndmask_b32_e32 v2, 0, v9, vcc
	v_add_u32_e32 v2, v2, v52
	v_and_b32_e32 v2, 0xfffff, v2
	v_add_co_u32_e32 v2, vcc, v2, v52
	v_add_u32_e32 v23, 6, v24
	v_addc_co_u32_e32 v3, vcc, 0, v53, vcc
	v_cmp_ne_u32_e32 vcc, 0, v23
                                        ; implicit-def: $vgpr9
	s_and_saveexec_b64 s[22:23], vcc
	s_xor_b64 s[22:23], exec, s[22:23]
; %bb.772:                              ;   in Loop: Header=BB4_124 Depth=2
	v_add_u32_e32 v9, 7, v24
	v_cmp_lt_u64_e32 vcc, s[48:49], v[2:3]
	v_cndmask_b32_e32 v9, v23, v9, vcc
	v_cndmask_b32_e64 v23, 0, 1, vcc
	v_lshrrev_b64 v[2:3], v23, v[2:3]
; %bb.773:                              ;   in Loop: Header=BB4_124 Depth=2
	s_andn2_saveexec_b64 s[22:23], s[22:23]
; %bb.774:                              ;   in Loop: Header=BB4_124 Depth=2
	v_bfe_u32 v9, v2, 23, 1
; %bb.775:                              ;   in Loop: Header=BB4_124 Depth=2
	s_or_b64 exec, exec, s[22:23]
	v_lshrrev_b64 v[2:3], 20, v[2:3]
	v_cmp_gt_i32_e32 vcc, 16, v9
	v_cndmask_b32_e32 v3, 0, v3, vcc
	v_cndmask_b32_e32 v2, 7, v2, vcc
	v_cmp_eq_u64_e64 s[22:23], 0, v[2:3]
	v_min_i32_e32 v3, 15, v9
	v_cmp_eq_u32_e32 vcc, 0, v9
	v_lshlrev_b32_e32 v3, 3, v3
	v_and_or_b32 v2, v2, 7, v3
	s_and_b64 s[22:23], vcc, s[22:23]
	v_cndmask_b32_e64 v2, v2, 0, s[22:23]
	v_or_b32_e32 v25, v2, v7
	v_accvgpr_read_b32 v52, a48
.LBB4_776:                              ;   in Loop: Header=BB4_124 Depth=2
	s_or_b64 exec, exec, s[60:61]
.LBB4_777:                              ;   in Loop: Header=BB4_124 Depth=2
	s_or_b64 exec, exec, s[58:59]
                                        ; implicit-def: $vgpr2
.LBB4_778:                              ;   in Loop: Header=BB4_124 Depth=2
	s_andn2_saveexec_b64 s[22:23], s[56:57]
; %bb.779:                              ;   in Loop: Header=BB4_124 Depth=2
	v_or_b32_sdwa v2, v2, s75 dst_sel:DWORD dst_unused:UNUSED_PAD src0_sel:BYTE_3 src1_sel:DWORD
	v_cmp_eq_u64_e32 vcc, 0, v[38:39]
	v_cndmask_b32_e32 v25, v2, v25, vcc
; %bb.780:                              ;   in Loop: Header=BB4_124 Depth=2
	s_or_b64 exec, exec, s[22:23]
	v_lshlrev_b32_e32 v2, 8, v30
	v_and_b32_e32 v2, 0xff00, v2
	v_cmp_ne_u32_e32 vcc, 0, v2
	v_mov_b32_e32 v3, 0
	v_mov_b32_e32 v7, 0
	s_and_saveexec_b64 s[22:23], vcc
	s_cbranch_execz .LBB4_786
; %bb.781:                              ;   in Loop: Header=BB4_124 Depth=2
	v_cmp_ne_u32_e32 vcc, s79, v2
	v_bfrev_b32_e32 v7, 1
	s_and_saveexec_b64 s[56:57], vcc
	s_cbranch_execz .LBB4_785
; %bb.782:                              ;   in Loop: Header=BB4_124 Depth=2
	v_bfe_u32 v9, v2, 8, 7
	v_cmp_ne_u32_e32 vcc, s75, v9
	v_mov_b32_e32 v7, 0x7f800001
	s_and_saveexec_b64 s[58:59], vcc
	s_cbranch_execz .LBB4_784
; %bb.783:                              ;   in Loop: Header=BB4_124 Depth=2
	v_lshrrev_b32_e32 v24, 8, v2
	v_and_b32_e32 v7, 7, v24
	v_ffbh_u32_e32 v30, v7
	v_min_u32_e32 v30, 32, v30
	v_subrev_u32_e32 v38, 28, v30
	v_lshlrev_b64 v[50:51], v38, v[24:25]
	v_lshrrev_b32_e32 v23, 3, v9
	v_sub_u32_e32 v24, 29, v30
	v_and_b32_e32 v30, 7, v50
	v_cmp_gt_u32_e32 vcc, 8, v9
	v_cndmask_b32_e32 v9, v23, v24, vcc
	v_cndmask_b32_e32 v7, v7, v30, vcc
	v_lshlrev_b32_e32 v2, 16, v2
	v_bfrev_b32_e32 v23, 60
	v_lshlrev_b32_e32 v7, 20, v7
	v_and_b32_e32 v2, 0x80000000, v2
	v_lshl_add_u32 v9, v9, 23, v23
	v_or3_b32 v7, v2, v9, v7
.LBB4_784:                              ;   in Loop: Header=BB4_124 Depth=2
	s_or_b64 exec, exec, s[58:59]
.LBB4_785:                              ;   in Loop: Header=BB4_124 Depth=2
	s_or_b64 exec, exec, s[56:57]
.LBB4_786:                              ;   in Loop: Header=BB4_124 Depth=2
	s_or_b64 exec, exec, s[22:23]
	v_cmp_lt_u32_e32 vcc, s47, v14
	s_and_saveexec_b64 s[22:23], vcc
	s_cbranch_execz .LBB4_792
; %bb.787:                              ;   in Loop: Header=BB4_124 Depth=2
	v_lshrrev_b32_e32 v2, 24, v14
	v_cmp_ne_u32_e32 vcc, s76, v2
	v_bfrev_b32_e32 v3, 1
	s_and_saveexec_b64 s[56:57], vcc
	s_cbranch_execz .LBB4_791
; %bb.788:                              ;   in Loop: Header=BB4_124 Depth=2
	v_bfe_u32 v9, v14, 24, 7
	v_cmp_ne_u32_e32 vcc, s75, v9
	v_mov_b32_e32 v3, 0x7f800001
	s_and_saveexec_b64 s[58:59], vcc
	s_cbranch_execz .LBB4_790
; %bb.789:                              ;   in Loop: Header=BB4_124 Depth=2
	v_and_b32_e32 v3, 7, v2
	v_ffbh_u32_e32 v24, v3
	v_min_u32_e32 v24, 32, v24
	v_subrev_u32_e32 v30, 28, v24
	v_lshlrev_b64 v[50:51], v30, v[2:3]
	v_lshrrev_b32_e32 v23, 3, v9
	v_sub_u32_e32 v24, 29, v24
	v_and_b32_e32 v30, 7, v50
	v_cmp_gt_u32_e32 vcc, 8, v9
	v_cndmask_b32_e32 v9, v23, v24, vcc
	v_cndmask_b32_e32 v3, v3, v30, vcc
	v_lshlrev_b32_e32 v2, 24, v2
	v_bfrev_b32_e32 v23, 60
	v_lshlrev_b32_e32 v3, 20, v3
	v_and_b32_e32 v2, 0x80000000, v2
	v_lshl_add_u32 v9, v9, 23, v23
	v_or3_b32 v3, v2, v9, v3
.LBB4_790:                              ;   in Loop: Header=BB4_124 Depth=2
	s_or_b64 exec, exec, s[58:59]
.LBB4_791:                              ;   in Loop: Header=BB4_124 Depth=2
	s_or_b64 exec, exec, s[56:57]
.LBB4_792:                              ;   in Loop: Header=BB4_124 Depth=2
	s_or_b64 exec, exec, s[22:23]
	v_add_f32_e32 v2, v7, v3
	v_and_b32_sdwa v7, v2, s76 dst_sel:DWORD dst_unused:UNUSED_PAD src0_sel:BYTE_3 src1_sel:DWORD
	v_and_b32_e32 v50, 0x7f800000, v2
	v_mov_b32_e32 v51, v39
	v_and_b32_e32 v38, 0x7fffff, v2
	v_or_b32_e32 v30, 0x7e, v7
	v_cmp_ne_u64_e32 vcc, s[42:43], v[50:51]
	s_and_saveexec_b64 s[22:23], vcc
	s_xor_b64 s[56:57], exec, s[22:23]
	s_cbranch_execz .LBB4_802
; %bb.793:                              ;   in Loop: Header=BB4_124 Depth=2
	v_and_b32_e32 v50, 0x7fffffff, v2
	v_mov_b32_e32 v51, v39
	v_cmp_gt_u64_e32 vcc, s[44:45], v[50:51]
	s_and_saveexec_b64 s[58:59], vcc
	s_cbranch_execz .LBB4_801
; %bb.794:                              ;   in Loop: Header=BB4_124 Depth=2
	v_cmp_ne_u32_e32 vcc, 0, v2
	v_mov_b32_e32 v30, 0
	s_and_saveexec_b64 s[60:61], vcc
	s_cbranch_execz .LBB4_800
; %bb.795:                              ;   in Loop: Header=BB4_124 Depth=2
	v_bfe_u32 v2, v2, 23, 8
	v_sub_u32_e32 v9, 0x79, v2
	v_cmp_gt_u32_e32 vcc, s77, v2
	v_add_u32_e32 v3, 0xffffff81, v2
	v_cndmask_b32_e32 v9, 0, v9, vcc
	v_cmp_eq_u32_e32 vcc, 0, v2
	v_mov_b32_e32 v2, 0xffffff82
	v_cndmask_b32_e32 v24, v3, v2, vcc
	v_mov_b32_e32 v2, 0x78
	v_or_b32_e32 v23, 0x800000, v38
	v_cndmask_b32_e32 v9, v9, v2, vcc
	v_cndmask_b32_e32 v38, v23, v38, vcc
	v_add_u32_e32 v2, 20, v9
	v_lshlrev_b64 v[2:3], v2, -1
	v_add_u32_e32 v23, 19, v9
	v_lshrrev_b64 v[52:53], v9, v[38:39]
	v_not_b32_e32 v3, v3
	v_not_b32_e32 v2, v2
	v_lshlrev_b64 v[50:51], v23, 1
	v_lshrrev_b32_e32 v23, 23, v52
	v_and_b32_e32 v3, 0, v3
	v_and_b32_e32 v2, v38, v2
	v_add3_u32 v24, v9, v24, v23
	v_bfe_u32 v9, v52, 20, 1
	v_add_u32_e32 v9, -1, v9
	v_cmp_eq_u64_e32 vcc, v[2:3], v[50:51]
	v_cndmask_b32_e32 v2, 0, v9, vcc
	v_add_u32_e32 v2, v2, v52
	v_and_b32_e32 v2, 0xfffff, v2
	v_add_co_u32_e32 v2, vcc, v2, v52
	v_add_u32_e32 v23, 6, v24
	v_addc_co_u32_e32 v3, vcc, 0, v53, vcc
	v_cmp_ne_u32_e32 vcc, 0, v23
                                        ; implicit-def: $vgpr9
	s_and_saveexec_b64 s[22:23], vcc
	s_xor_b64 s[22:23], exec, s[22:23]
; %bb.796:                              ;   in Loop: Header=BB4_124 Depth=2
	v_add_u32_e32 v9, 7, v24
	v_cmp_lt_u64_e32 vcc, s[48:49], v[2:3]
	v_cndmask_b32_e32 v9, v23, v9, vcc
	v_cndmask_b32_e64 v23, 0, 1, vcc
	v_lshrrev_b64 v[2:3], v23, v[2:3]
; %bb.797:                              ;   in Loop: Header=BB4_124 Depth=2
	s_andn2_saveexec_b64 s[22:23], s[22:23]
; %bb.798:                              ;   in Loop: Header=BB4_124 Depth=2
	v_bfe_u32 v9, v2, 23, 1
; %bb.799:                              ;   in Loop: Header=BB4_124 Depth=2
	s_or_b64 exec, exec, s[22:23]
	v_lshrrev_b64 v[2:3], 20, v[2:3]
	v_cmp_gt_i32_e32 vcc, 16, v9
	v_cndmask_b32_e32 v3, 0, v3, vcc
	v_cndmask_b32_e32 v2, 7, v2, vcc
	v_cmp_eq_u64_e64 s[22:23], 0, v[2:3]
	v_min_i32_e32 v3, 15, v9
	v_cmp_eq_u32_e32 vcc, 0, v9
	v_lshlrev_b32_e32 v3, 3, v3
	v_and_or_b32 v2, v2, 7, v3
	s_and_b64 s[22:23], vcc, s[22:23]
	v_cndmask_b32_e64 v2, v2, 0, s[22:23]
	v_or_b32_e32 v30, v2, v7
	v_accvgpr_read_b32 v52, a48
.LBB4_800:                              ;   in Loop: Header=BB4_124 Depth=2
	s_or_b64 exec, exec, s[60:61]
.LBB4_801:                              ;   in Loop: Header=BB4_124 Depth=2
	s_or_b64 exec, exec, s[58:59]
                                        ; implicit-def: $vgpr2
.LBB4_802:                              ;   in Loop: Header=BB4_124 Depth=2
	s_andn2_saveexec_b64 s[22:23], s[56:57]
; %bb.803:                              ;   in Loop: Header=BB4_124 Depth=2
	v_or_b32_sdwa v2, v2, s75 dst_sel:DWORD dst_unused:UNUSED_PAD src0_sel:BYTE_3 src1_sel:DWORD
	v_cmp_eq_u64_e32 vcc, 0, v[38:39]
	v_cndmask_b32_e32 v30, v2, v30, vcc
; %bb.804:                              ;   in Loop: Header=BB4_124 Depth=2
	s_or_b64 exec, exec, s[22:23]
	v_lshlrev_b32_e32 v6, 8, v6
	v_lshlrev_b32_e32 v2, 24, v22
	v_perm_b32 v3, v8, v62, s80
	v_or3_b32 v38, v3, v2, v6
	v_cmp_ne_u16_sdwa vcc, v62, v39 src0_sel:BYTE_0 src1_sel:DWORD
	v_mov_b32_e32 v3, 0
	v_mov_b32_e32 v2, 0
	s_and_saveexec_b64 s[22:23], vcc
	s_cbranch_execz .LBB4_810
; %bb.805:                              ;   in Loop: Header=BB4_124 Depth=2
	v_cmp_ne_u16_sdwa vcc, v62, s76 src0_sel:BYTE_0 src1_sel:DWORD
	v_bfrev_b32_e32 v2, 1
	s_and_saveexec_b64 s[56:57], vcc
	s_cbranch_execz .LBB4_809
; %bb.806:                              ;   in Loop: Header=BB4_124 Depth=2
	v_and_b32_e32 v7, 0x7f, v62
	v_cmp_ne_u32_e32 vcc, s75, v7
	v_mov_b32_e32 v2, 0x7f800001
	s_and_saveexec_b64 s[58:59], vcc
	s_cbranch_execz .LBB4_808
; %bb.807:                              ;   in Loop: Header=BB4_124 Depth=2
	v_and_b32_e32 v2, 7, v62
	v_ffbh_u32_e32 v2, v2
	v_min_u32_e32 v2, 32, v2
	v_subrev_u32_e32 v9, 28, v2
	v_cmp_gt_u32_e32 vcc, 8, v7
	v_lshrrev_b32_e32 v8, 3, v7
	v_sub_u32_e32 v2, 29, v2
	v_cndmask_b32_e32 v7, 0, v9, vcc
	v_cndmask_b32_e32 v2, v8, v2, vcc
	v_lshlrev_b64 v[8:9], v7, v[38:39]
	v_lshlrev_b32_e32 v7, 20, v8
	v_lshlrev_b32_e32 v8, 24, v38
	v_bfrev_b32_e32 v9, 60
	v_and_b32_e32 v7, 0x700000, v7
	v_and_b32_e32 v8, 0x80000000, v8
	v_lshl_add_u32 v2, v2, 23, v9
	v_or3_b32 v2, v8, v2, v7
.LBB4_808:                              ;   in Loop: Header=BB4_124 Depth=2
	s_or_b64 exec, exec, s[58:59]
.LBB4_809:                              ;   in Loop: Header=BB4_124 Depth=2
	s_or_b64 exec, exec, s[56:57]
.LBB4_810:                              ;   in Loop: Header=BB4_124 Depth=2
	s_or_b64 exec, exec, s[22:23]
	v_cmp_ne_u16_sdwa vcc, v15, v39 src0_sel:BYTE_0 src1_sel:DWORD
	s_and_saveexec_b64 s[22:23], vcc
	s_cbranch_execz .LBB4_816
; %bb.811:                              ;   in Loop: Header=BB4_124 Depth=2
	v_cmp_ne_u16_sdwa vcc, v15, s76 src0_sel:BYTE_0 src1_sel:DWORD
	v_bfrev_b32_e32 v3, 1
	s_and_saveexec_b64 s[56:57], vcc
	s_cbranch_execz .LBB4_815
; %bb.812:                              ;   in Loop: Header=BB4_124 Depth=2
	v_and_b32_e32 v7, 0x7f, v15
	v_cmp_ne_u32_e32 vcc, s75, v7
	v_mov_b32_e32 v3, 0x7f800001
	s_and_saveexec_b64 s[58:59], vcc
	s_cbranch_execz .LBB4_814
; %bb.813:                              ;   in Loop: Header=BB4_124 Depth=2
	v_and_b32_e32 v3, 7, v15
	v_ffbh_u32_e32 v3, v3
	v_min_u32_e32 v3, 32, v3
	v_subrev_u32_e32 v23, 28, v3
	v_cmp_gt_u32_e32 vcc, 8, v7
	v_mov_b32_e32 v8, v15
	v_mov_b32_e32 v9, v39
	v_lshrrev_b32_e32 v22, 3, v7
	v_sub_u32_e32 v3, 29, v3
	v_cndmask_b32_e32 v7, 0, v23, vcc
	v_cndmask_b32_e32 v3, v22, v3, vcc
	v_lshlrev_b64 v[22:23], v7, v[8:9]
	v_lshlrev_b32_e32 v7, 20, v22
	v_lshlrev_b32_e32 v8, 24, v8
	v_bfrev_b32_e32 v9, 60
	v_and_b32_e32 v7, 0x700000, v7
	v_and_b32_e32 v8, 0x80000000, v8
	v_lshl_add_u32 v3, v3, 23, v9
	v_or3_b32 v3, v8, v3, v7
.LBB4_814:                              ;   in Loop: Header=BB4_124 Depth=2
	s_or_b64 exec, exec, s[58:59]
.LBB4_815:                              ;   in Loop: Header=BB4_124 Depth=2
	s_or_b64 exec, exec, s[56:57]
.LBB4_816:                              ;   in Loop: Header=BB4_124 Depth=2
	s_or_b64 exec, exec, s[22:23]
	v_add_f32_e32 v8, v2, v3
	v_and_b32_sdwa v7, v8, s76 dst_sel:DWORD dst_unused:UNUSED_PAD src0_sel:BYTE_3 src1_sel:DWORD
	v_and_b32_e32 v22, 0x7f800000, v8
	v_mov_b32_e32 v23, v39
	v_and_b32_e32 v2, 0x7fffff, v8
	v_mov_b32_e32 v3, v39
	v_or_b32_e32 v62, 0x7e, v7
	v_cmp_ne_u64_e32 vcc, s[42:43], v[22:23]
	s_and_saveexec_b64 s[22:23], vcc
	s_xor_b64 s[56:57], exec, s[22:23]
	s_cbranch_execz .LBB4_826
; %bb.817:                              ;   in Loop: Header=BB4_124 Depth=2
	v_and_b32_e32 v22, 0x7fffffff, v8
	v_mov_b32_e32 v23, v39
	v_cmp_gt_u64_e32 vcc, s[44:45], v[22:23]
	s_and_saveexec_b64 s[58:59], vcc
	s_cbranch_execz .LBB4_825
; %bb.818:                              ;   in Loop: Header=BB4_124 Depth=2
	v_cmp_ne_u32_e32 vcc, 0, v8
	v_mov_b32_e32 v62, 0
	s_and_saveexec_b64 s[60:61], vcc
	s_cbranch_execz .LBB4_824
; %bb.819:                              ;   in Loop: Header=BB4_124 Depth=2
	v_bfe_u32 v8, v8, 23, 8
	v_sub_u32_e32 v22, 0x79, v8
	v_cmp_gt_u32_e32 vcc, s77, v8
	v_add_u32_e32 v9, 0xffffff81, v8
	v_cndmask_b32_e32 v22, 0, v22, vcc
	v_cmp_eq_u32_e32 vcc, 0, v8
	v_mov_b32_e32 v8, 0xffffff82
	v_cndmask_b32_e32 v24, v9, v8, vcc
	v_mov_b32_e32 v8, 0x78
	v_cndmask_b32_e32 v22, v22, v8, vcc
	v_add_u32_e32 v8, 20, v22
	v_or_b32_e32 v23, 0x800000, v2
	v_lshlrev_b64 v[8:9], v8, -1
	v_cndmask_b32_e32 v2, v23, v2, vcc
	v_not_b32_e32 v8, v8
	v_and_b32_e32 v50, v2, v8
	v_add_u32_e32 v8, 19, v22
	v_lshrrev_b64 v[2:3], v22, v[2:3]
	v_not_b32_e32 v9, v9
	v_lshlrev_b64 v[52:53], v8, 1
	v_lshrrev_b32_e32 v8, 23, v2
	v_and_b32_e32 v51, 0, v9
	v_add3_u32 v22, v22, v24, v8
	v_bfe_u32 v8, v2, 20, 1
	v_add_u32_e32 v8, -1, v8
	v_cmp_eq_u64_e32 vcc, v[50:51], v[52:53]
	v_cndmask_b32_e32 v8, 0, v8, vcc
	v_add_u32_e32 v8, v8, v2
	v_and_b32_e32 v8, 0xfffff, v8
	v_add_co_u32_e32 v2, vcc, v8, v2
	v_add_u32_e32 v9, 6, v22
	v_addc_co_u32_e32 v3, vcc, 0, v3, vcc
	v_cmp_ne_u32_e32 vcc, 0, v9
                                        ; implicit-def: $vgpr8
	s_and_saveexec_b64 s[22:23], vcc
	s_xor_b64 s[22:23], exec, s[22:23]
; %bb.820:                              ;   in Loop: Header=BB4_124 Depth=2
	v_add_u32_e32 v8, 7, v22
	v_cmp_lt_u64_e32 vcc, s[48:49], v[2:3]
	v_cndmask_b32_e32 v8, v9, v8, vcc
	v_cndmask_b32_e64 v9, 0, 1, vcc
	v_lshrrev_b64 v[2:3], v9, v[2:3]
; %bb.821:                              ;   in Loop: Header=BB4_124 Depth=2
	s_andn2_saveexec_b64 s[22:23], s[22:23]
; %bb.822:                              ;   in Loop: Header=BB4_124 Depth=2
	v_bfe_u32 v8, v2, 23, 1
; %bb.823:                              ;   in Loop: Header=BB4_124 Depth=2
	s_or_b64 exec, exec, s[22:23]
	v_lshrrev_b64 v[2:3], 20, v[2:3]
	v_cmp_gt_i32_e32 vcc, 16, v8
	v_cndmask_b32_e32 v3, 0, v3, vcc
	v_cndmask_b32_e32 v2, 7, v2, vcc
	v_cmp_eq_u64_e64 s[22:23], 0, v[2:3]
	v_min_i32_e32 v3, 15, v8
	v_cmp_eq_u32_e32 vcc, 0, v8
	v_lshlrev_b32_e32 v3, 3, v3
	v_and_or_b32 v2, v2, 7, v3
	s_and_b64 s[22:23], vcc, s[22:23]
	v_cndmask_b32_e64 v2, v2, 0, s[22:23]
	v_or_b32_e32 v62, v2, v7
	v_accvgpr_read_b32 v52, a48
.LBB4_824:                              ;   in Loop: Header=BB4_124 Depth=2
	s_or_b64 exec, exec, s[60:61]
.LBB4_825:                              ;   in Loop: Header=BB4_124 Depth=2
	s_or_b64 exec, exec, s[58:59]
                                        ; implicit-def: $vgpr8
                                        ; implicit-def: $vgpr2_vgpr3
.LBB4_826:                              ;   in Loop: Header=BB4_124 Depth=2
	s_andn2_saveexec_b64 s[22:23], s[56:57]
; %bb.827:                              ;   in Loop: Header=BB4_124 Depth=2
	v_or_b32_sdwa v7, v8, s75 dst_sel:DWORD dst_unused:UNUSED_PAD src0_sel:BYTE_3 src1_sel:DWORD
	v_cmp_eq_u64_e32 vcc, 0, v[2:3]
	v_cndmask_b32_e32 v62, v7, v62, vcc
; %bb.828:                              ;   in Loop: Header=BB4_124 Depth=2
	s_or_b64 exec, exec, s[22:23]
	v_lshrrev_b16_e32 v2, 8, v6
	v_cmp_ne_u16_e32 vcc, 0, v2
	v_mov_b32_e32 v3, 0
	v_mov_b32_e32 v7, 0
	s_and_saveexec_b64 s[22:23], vcc
	s_cbranch_execz .LBB4_834
; %bb.829:                              ;   in Loop: Header=BB4_124 Depth=2
	v_cmp_ne_u16_e32 vcc, s76, v2
	v_bfrev_b32_e32 v7, 1
	s_and_saveexec_b64 s[56:57], vcc
	s_cbranch_execz .LBB4_833
; %bb.830:                              ;   in Loop: Header=BB4_124 Depth=2
	v_and_b32_e32 v8, 0x7f, v2
	v_cmp_ne_u32_e32 vcc, s75, v8
	v_mov_b32_e32 v7, 0x7f800001
	s_and_saveexec_b64 s[58:59], vcc
	s_cbranch_execz .LBB4_832
; %bb.831:                              ;   in Loop: Header=BB4_124 Depth=2
	v_and_b32_e32 v7, 7, v2
	v_ffbh_u32_e32 v22, v7
	v_min_u32_e32 v24, 32, v22
	v_subrev_u32_e32 v22, 28, v24
	v_lshlrev_b64 v[22:23], v22, v[2:3]
	v_lshrrev_b32_e32 v9, 3, v8
	v_sub_u32_e32 v2, 29, v24
	v_and_b32_e32 v22, 7, v22
	v_cmp_gt_u32_e32 vcc, 8, v8
	v_cndmask_b32_e32 v2, v9, v2, vcc
	v_cndmask_b32_e32 v7, v7, v22, vcc
	v_lshlrev_b32_e32 v6, 16, v6
	v_bfrev_b32_e32 v8, 60
	v_lshlrev_b32_e32 v7, 20, v7
	v_and_b32_e32 v6, 0x80000000, v6
	v_lshl_add_u32 v2, v2, 23, v8
	v_or3_b32 v7, v6, v2, v7
.LBB4_832:                              ;   in Loop: Header=BB4_124 Depth=2
	s_or_b64 exec, exec, s[58:59]
.LBB4_833:                              ;   in Loop: Header=BB4_124 Depth=2
	s_or_b64 exec, exec, s[56:57]
.LBB4_834:                              ;   in Loop: Header=BB4_124 Depth=2
	s_or_b64 exec, exec, s[22:23]
	v_mov_b32_e32 v2, v15
	v_lshrrev_b16_e32 v24, 8, v2
	v_cmp_ne_u16_e32 vcc, 0, v24
	s_and_saveexec_b64 s[22:23], vcc
	s_cbranch_execz .LBB4_840
; %bb.835:                              ;   in Loop: Header=BB4_124 Depth=2
	v_cmp_ne_u16_e32 vcc, s76, v24
	v_bfrev_b32_e32 v3, 1
	s_and_saveexec_b64 s[56:57], vcc
	s_cbranch_execz .LBB4_839
; %bb.836:                              ;   in Loop: Header=BB4_124 Depth=2
	v_and_b32_e32 v6, 0x7f, v24
	v_cmp_ne_u32_e32 vcc, s75, v6
	v_mov_b32_e32 v3, 0x7f800001
	s_and_saveexec_b64 s[58:59], vcc
	s_cbranch_execz .LBB4_838
; %bb.837:                              ;   in Loop: Header=BB4_124 Depth=2
	v_and_b32_e32 v3, 7, v24
	v_ffbh_u32_e32 v8, v3
	v_min_u32_e32 v23, 32, v8
	v_subrev_u32_e32 v8, 28, v23
	v_lshlrev_b64 v[8:9], v8, v[24:25]
	v_lshrrev_b32_e32 v22, 3, v6
	v_sub_u32_e32 v9, 29, v23
	v_and_b32_e32 v8, 7, v8
	v_cmp_gt_u32_e32 vcc, 8, v6
	v_cndmask_b32_e32 v6, v22, v9, vcc
	v_cndmask_b32_e32 v3, v3, v8, vcc
	v_lshlrev_b32_e32 v2, 16, v2
	v_bfrev_b32_e32 v8, 60
	v_lshlrev_b32_e32 v3, 20, v3
	v_and_b32_e32 v2, 0x80000000, v2
	v_lshl_add_u32 v6, v6, 23, v8
	v_or3_b32 v3, v2, v6, v3
.LBB4_838:                              ;   in Loop: Header=BB4_124 Depth=2
	s_or_b64 exec, exec, s[58:59]
.LBB4_839:                              ;   in Loop: Header=BB4_124 Depth=2
	s_or_b64 exec, exec, s[56:57]
.LBB4_840:                              ;   in Loop: Header=BB4_124 Depth=2
	s_or_b64 exec, exec, s[22:23]
	v_add_f32_e32 v7, v7, v3
	v_and_b32_sdwa v6, v7, s76 dst_sel:DWORD dst_unused:UNUSED_PAD src0_sel:BYTE_3 src1_sel:DWORD
	v_and_b32_e32 v8, 0x7f800000, v7
	v_mov_b32_e32 v9, v39
	v_and_b32_e32 v2, 0x7fffff, v7
	v_mov_b32_e32 v3, v39
	v_or_b32_e32 v24, 0x7e, v6
	v_cmp_ne_u64_e32 vcc, s[42:43], v[8:9]
	s_and_saveexec_b64 s[22:23], vcc
	s_xor_b64 s[56:57], exec, s[22:23]
	s_cbranch_execz .LBB4_850
; %bb.841:                              ;   in Loop: Header=BB4_124 Depth=2
	v_and_b32_e32 v8, 0x7fffffff, v7
	v_mov_b32_e32 v9, v39
	v_cmp_gt_u64_e32 vcc, s[44:45], v[8:9]
	s_and_saveexec_b64 s[58:59], vcc
	s_cbranch_execz .LBB4_849
; %bb.842:                              ;   in Loop: Header=BB4_124 Depth=2
	v_cmp_ne_u32_e32 vcc, 0, v7
	v_mov_b32_e32 v24, 0
	s_and_saveexec_b64 s[60:61], vcc
	s_cbranch_execz .LBB4_848
; %bb.843:                              ;   in Loop: Header=BB4_124 Depth=2
	v_bfe_u32 v7, v7, 23, 8
	v_sub_u32_e32 v9, 0x79, v7
	v_cmp_gt_u32_e32 vcc, s77, v7
	v_add_u32_e32 v8, 0xffffff81, v7
	v_cndmask_b32_e32 v9, 0, v9, vcc
	v_cmp_eq_u32_e32 vcc, 0, v7
	v_mov_b32_e32 v7, 0xffffff82
	v_cndmask_b32_e32 v7, v8, v7, vcc
	v_mov_b32_e32 v8, 0x78
	v_cndmask_b32_e32 v24, v9, v8, vcc
	v_add_u32_e32 v8, 20, v24
	v_or_b32_e32 v22, 0x800000, v2
	v_lshlrev_b64 v[8:9], v8, -1
	v_cndmask_b32_e32 v2, v22, v2, vcc
	v_not_b32_e32 v8, v8
	v_and_b32_e32 v22, v2, v8
	v_add_u32_e32 v8, 19, v24
	v_lshrrev_b64 v[2:3], v24, v[2:3]
	v_not_b32_e32 v9, v9
	v_lshlrev_b64 v[50:51], v8, 1
	v_lshrrev_b32_e32 v8, 23, v2
	v_and_b32_e32 v23, 0, v9
	v_add3_u32 v9, v24, v7, v8
	v_bfe_u32 v7, v2, 20, 1
	v_add_u32_e32 v7, -1, v7
	v_cmp_eq_u64_e32 vcc, v[22:23], v[50:51]
	v_cndmask_b32_e32 v7, 0, v7, vcc
	v_add_u32_e32 v7, v7, v2
	v_and_b32_e32 v7, 0xfffff, v7
	v_add_co_u32_e32 v2, vcc, v7, v2
	v_add_u32_e32 v8, 6, v9
	v_addc_co_u32_e32 v3, vcc, 0, v3, vcc
	v_cmp_ne_u32_e32 vcc, 0, v8
                                        ; implicit-def: $vgpr7
	s_and_saveexec_b64 s[22:23], vcc
	s_xor_b64 s[22:23], exec, s[22:23]
; %bb.844:                              ;   in Loop: Header=BB4_124 Depth=2
	v_add_u32_e32 v7, 7, v9
	v_cmp_lt_u64_e32 vcc, s[48:49], v[2:3]
	v_cndmask_b32_e32 v7, v8, v7, vcc
	v_cndmask_b32_e64 v8, 0, 1, vcc
	v_lshrrev_b64 v[2:3], v8, v[2:3]
; %bb.845:                              ;   in Loop: Header=BB4_124 Depth=2
	s_andn2_saveexec_b64 s[22:23], s[22:23]
; %bb.846:                              ;   in Loop: Header=BB4_124 Depth=2
	v_bfe_u32 v7, v2, 23, 1
; %bb.847:                              ;   in Loop: Header=BB4_124 Depth=2
	s_or_b64 exec, exec, s[22:23]
	v_lshrrev_b64 v[2:3], 20, v[2:3]
	v_cmp_gt_i32_e32 vcc, 16, v7
	v_cndmask_b32_e32 v3, 0, v3, vcc
	v_cndmask_b32_e32 v2, 7, v2, vcc
	v_cmp_eq_u64_e64 s[22:23], 0, v[2:3]
	v_min_i32_e32 v3, 15, v7
	v_cmp_eq_u32_e32 vcc, 0, v7
	v_lshlrev_b32_e32 v3, 3, v3
	v_and_or_b32 v2, v2, 7, v3
	s_and_b64 s[22:23], vcc, s[22:23]
	v_cndmask_b32_e64 v2, v2, 0, s[22:23]
	v_or_b32_e32 v24, v2, v6
.LBB4_848:                              ;   in Loop: Header=BB4_124 Depth=2
	s_or_b64 exec, exec, s[60:61]
.LBB4_849:                              ;   in Loop: Header=BB4_124 Depth=2
	s_or_b64 exec, exec, s[58:59]
                                        ; implicit-def: $vgpr7
                                        ; implicit-def: $vgpr2_vgpr3
.LBB4_850:                              ;   in Loop: Header=BB4_124 Depth=2
	s_andn2_saveexec_b64 s[22:23], s[56:57]
; %bb.851:                              ;   in Loop: Header=BB4_124 Depth=2
	v_or_b32_sdwa v6, v7, s75 dst_sel:DWORD dst_unused:UNUSED_PAD src0_sel:BYTE_3 src1_sel:DWORD
	v_cmp_eq_u64_e32 vcc, 0, v[2:3]
	v_cndmask_b32_e32 v24, v6, v24, vcc
; %bb.852:                              ;   in Loop: Header=BB4_124 Depth=2
	s_or_b64 exec, exec, s[22:23]
	v_lshrrev_b32_e32 v2, 16, v38
	v_cmp_ne_u16_sdwa vcc, v2, v39 src0_sel:BYTE_0 src1_sel:DWORD
	v_mov_b32_e32 v3, 0
	v_mov_b32_e32 v6, 0
	s_and_saveexec_b64 s[22:23], vcc
	s_cbranch_execz .LBB4_858
; %bb.853:                              ;   in Loop: Header=BB4_124 Depth=2
	v_cmp_ne_u16_sdwa vcc, v2, s76 src0_sel:BYTE_0 src1_sel:DWORD
	v_bfrev_b32_e32 v6, 1
	s_and_saveexec_b64 s[56:57], vcc
	s_cbranch_execz .LBB4_857
; %bb.854:                              ;   in Loop: Header=BB4_124 Depth=2
	v_bfe_u32 v7, v38, 16, 7
	v_cmp_ne_u32_e32 vcc, s75, v7
	v_mov_b32_e32 v6, 0x7f800001
	s_and_saveexec_b64 s[58:59], vcc
	s_cbranch_execz .LBB4_856
; %bb.855:                              ;   in Loop: Header=BB4_124 Depth=2
	v_and_b32_e32 v6, 7, v2
	v_ffbh_u32_e32 v8, v6
	v_min_u32_e32 v23, 32, v8
	v_subrev_u32_e32 v8, 28, v23
	v_lshlrev_b64 v[8:9], v8, v[2:3]
	v_lshrrev_b32_e32 v22, 3, v7
	v_sub_u32_e32 v9, 29, v23
	v_and_b32_e32 v8, 7, v8
	v_cmp_gt_u32_e32 vcc, 8, v7
	v_cndmask_b32_e32 v7, v22, v9, vcc
	v_cndmask_b32_e32 v6, v6, v8, vcc
	v_lshlrev_b32_e32 v2, 24, v2
	v_bfrev_b32_e32 v8, 60
	v_lshlrev_b32_e32 v6, 20, v6
	v_and_b32_e32 v2, 0x80000000, v2
	v_lshl_add_u32 v7, v7, 23, v8
	v_or3_b32 v6, v2, v7, v6
.LBB4_856:                              ;   in Loop: Header=BB4_124 Depth=2
	s_or_b64 exec, exec, s[58:59]
.LBB4_857:                              ;   in Loop: Header=BB4_124 Depth=2
	s_or_b64 exec, exec, s[56:57]
.LBB4_858:                              ;   in Loop: Header=BB4_124 Depth=2
	s_or_b64 exec, exec, s[22:23]
	v_lshrrev_b32_e32 v2, 16, v15
	v_cmp_ne_u16_sdwa vcc, v2, v39 src0_sel:BYTE_0 src1_sel:DWORD
	s_and_saveexec_b64 s[22:23], vcc
	s_cbranch_execz .LBB4_864
; %bb.859:                              ;   in Loop: Header=BB4_124 Depth=2
	v_cmp_ne_u16_sdwa vcc, v2, s76 src0_sel:BYTE_0 src1_sel:DWORD
	v_bfrev_b32_e32 v3, 1
	s_and_saveexec_b64 s[56:57], vcc
	s_cbranch_execz .LBB4_863
; %bb.860:                              ;   in Loop: Header=BB4_124 Depth=2
	v_bfe_u32 v7, v15, 16, 7
	v_cmp_ne_u32_e32 vcc, s75, v7
	v_mov_b32_e32 v3, 0x7f800001
	s_and_saveexec_b64 s[58:59], vcc
	s_cbranch_execz .LBB4_862
; %bb.861:                              ;   in Loop: Header=BB4_124 Depth=2
	v_and_b32_e32 v8, 7, v2
	v_ffbh_u32_e32 v3, v8
	v_min_u32_e32 v22, 32, v3
	v_subrev_u32_e32 v3, 28, v22
	v_lshlrev_b64 v[2:3], v3, v[2:3]
	v_lshrrev_b32_e32 v9, 3, v7
	v_sub_u32_e32 v3, 29, v22
	v_and_b32_e32 v2, 7, v2
	v_cmp_gt_u32_e32 vcc, 8, v7
	v_cndmask_b32_e32 v3, v9, v3, vcc
	v_cndmask_b32_e32 v2, v8, v2, vcc
	v_lshlrev_b32_e32 v7, 8, v15
	v_bfrev_b32_e32 v8, 60
	v_lshlrev_b32_e32 v2, 20, v2
	v_and_b32_e32 v7, 0x80000000, v7
	v_lshl_add_u32 v3, v3, 23, v8
	v_or3_b32 v3, v7, v3, v2
.LBB4_862:                              ;   in Loop: Header=BB4_124 Depth=2
	s_or_b64 exec, exec, s[58:59]
.LBB4_863:                              ;   in Loop: Header=BB4_124 Depth=2
	s_or_b64 exec, exec, s[56:57]
.LBB4_864:                              ;   in Loop: Header=BB4_124 Depth=2
	s_or_b64 exec, exec, s[22:23]
	v_add_f32_e32 v7, v6, v3
	v_and_b32_sdwa v6, v7, s76 dst_sel:DWORD dst_unused:UNUSED_PAD src0_sel:BYTE_3 src1_sel:DWORD
	v_and_b32_e32 v8, 0x7f800000, v7
	v_mov_b32_e32 v9, v39
	v_and_b32_e32 v2, 0x7fffff, v7
	v_mov_b32_e32 v3, v39
	v_or_b32_e32 v42, 0x7e, v6
	v_cmp_ne_u64_e32 vcc, s[42:43], v[8:9]
	s_and_saveexec_b64 s[22:23], vcc
	s_xor_b64 s[56:57], exec, s[22:23]
	s_cbranch_execz .LBB4_874
; %bb.865:                              ;   in Loop: Header=BB4_124 Depth=2
	v_and_b32_e32 v8, 0x7fffffff, v7
	v_mov_b32_e32 v9, v39
	v_cmp_gt_u64_e32 vcc, s[44:45], v[8:9]
	s_and_saveexec_b64 s[58:59], vcc
	s_cbranch_execz .LBB4_873
; %bb.866:                              ;   in Loop: Header=BB4_124 Depth=2
	v_cmp_ne_u32_e32 vcc, 0, v7
	v_mov_b32_e32 v42, 0
	s_and_saveexec_b64 s[60:61], vcc
	s_cbranch_execz .LBB4_872
; %bb.867:                              ;   in Loop: Header=BB4_124 Depth=2
	v_bfe_u32 v7, v7, 23, 8
	v_sub_u32_e32 v9, 0x79, v7
	v_cmp_gt_u32_e32 vcc, s77, v7
	v_add_u32_e32 v8, 0xffffff81, v7
	v_cndmask_b32_e32 v9, 0, v9, vcc
	v_cmp_eq_u32_e32 vcc, 0, v7
	v_mov_b32_e32 v7, 0xffffff82
	v_cndmask_b32_e32 v7, v8, v7, vcc
	v_mov_b32_e32 v8, 0x78
	v_cndmask_b32_e32 v52, v9, v8, vcc
	v_add_u32_e32 v8, 20, v52
	v_or_b32_e32 v22, 0x800000, v2
	v_lshlrev_b64 v[8:9], v8, -1
	v_cndmask_b32_e32 v2, v22, v2, vcc
	v_not_b32_e32 v8, v8
	v_and_b32_e32 v22, v2, v8
	v_add_u32_e32 v8, 19, v52
	v_lshrrev_b64 v[2:3], v52, v[2:3]
	v_not_b32_e32 v9, v9
	v_lshlrev_b64 v[50:51], v8, 1
	v_lshrrev_b32_e32 v8, 23, v2
	v_and_b32_e32 v23, 0, v9
	v_add3_u32 v9, v52, v7, v8
	v_bfe_u32 v7, v2, 20, 1
	v_add_u32_e32 v7, -1, v7
	v_cmp_eq_u64_e32 vcc, v[22:23], v[50:51]
	v_cndmask_b32_e32 v7, 0, v7, vcc
	v_add_u32_e32 v7, v7, v2
	v_and_b32_e32 v7, 0xfffff, v7
	v_add_co_u32_e32 v2, vcc, v7, v2
	v_add_u32_e32 v8, 6, v9
	v_addc_co_u32_e32 v3, vcc, 0, v3, vcc
	v_cmp_ne_u32_e32 vcc, 0, v8
                                        ; implicit-def: $vgpr7
	s_and_saveexec_b64 s[22:23], vcc
	s_xor_b64 s[22:23], exec, s[22:23]
; %bb.868:                              ;   in Loop: Header=BB4_124 Depth=2
	v_add_u32_e32 v7, 7, v9
	v_cmp_lt_u64_e32 vcc, s[48:49], v[2:3]
	v_cndmask_b32_e32 v7, v8, v7, vcc
	v_cndmask_b32_e64 v8, 0, 1, vcc
	v_lshrrev_b64 v[2:3], v8, v[2:3]
; %bb.869:                              ;   in Loop: Header=BB4_124 Depth=2
	s_andn2_saveexec_b64 s[22:23], s[22:23]
; %bb.870:                              ;   in Loop: Header=BB4_124 Depth=2
	v_bfe_u32 v7, v2, 23, 1
; %bb.871:                              ;   in Loop: Header=BB4_124 Depth=2
	s_or_b64 exec, exec, s[22:23]
	v_lshrrev_b64 v[2:3], 20, v[2:3]
	v_cmp_gt_i32_e32 vcc, 16, v7
	v_cndmask_b32_e32 v3, 0, v3, vcc
	v_cndmask_b32_e32 v2, 7, v2, vcc
	v_cmp_eq_u64_e64 s[22:23], 0, v[2:3]
	v_min_i32_e32 v3, 15, v7
	v_lshlrev_b32_e32 v3, 3, v3
	v_cmp_eq_u32_e32 vcc, 0, v7
	v_and_b32_e32 v3, 0xf8, v3
	v_and_or_b32 v2, v2, 7, v3
	s_and_b64 s[22:23], vcc, s[22:23]
	v_cndmask_b32_e64 v2, v2, 0, s[22:23]
	v_or_b32_e32 v42, v2, v6
	v_accvgpr_read_b32 v52, a48
.LBB4_872:                              ;   in Loop: Header=BB4_124 Depth=2
	s_or_b64 exec, exec, s[60:61]
.LBB4_873:                              ;   in Loop: Header=BB4_124 Depth=2
	s_or_b64 exec, exec, s[58:59]
                                        ; implicit-def: $vgpr7
                                        ; implicit-def: $vgpr2_vgpr3
.LBB4_874:                              ;   in Loop: Header=BB4_124 Depth=2
	s_andn2_saveexec_b64 s[22:23], s[56:57]
; %bb.875:                              ;   in Loop: Header=BB4_124 Depth=2
	v_or_b32_sdwa v6, v7, s75 dst_sel:DWORD dst_unused:UNUSED_PAD src0_sel:BYTE_3 src1_sel:DWORD
	v_cmp_eq_u64_e32 vcc, 0, v[2:3]
	v_cndmask_b32_e32 v42, v6, v42, vcc
; %bb.876:                              ;   in Loop: Header=BB4_124 Depth=2
	s_or_b64 exec, exec, s[22:23]
	v_cmp_lt_u32_e32 vcc, s47, v38
	v_mov_b32_e32 v3, 0
	v_mov_b32_e32 v6, 0
	s_and_saveexec_b64 s[22:23], vcc
	s_cbranch_execz .LBB4_882
; %bb.877:                              ;   in Loop: Header=BB4_124 Depth=2
	v_lshrrev_b32_e32 v2, 24, v38
	v_cmp_ne_u32_sdwa vcc, v38, s76 src0_sel:BYTE_3 src1_sel:DWORD
	v_bfrev_b32_e32 v6, 1
	s_and_saveexec_b64 s[56:57], vcc
	s_cbranch_execz .LBB4_881
; %bb.878:                              ;   in Loop: Header=BB4_124 Depth=2
	v_bfe_u32 v7, v38, 24, 7
	v_cmp_ne_u32_e32 vcc, s75, v7
	v_mov_b32_e32 v6, 0x7f800001
	s_and_saveexec_b64 s[58:59], vcc
	s_cbranch_execz .LBB4_880
; %bb.879:                              ;   in Loop: Header=BB4_124 Depth=2
	v_and_b32_e32 v6, 7, v2
	v_ffbh_u32_e32 v8, v6
	v_min_u32_e32 v23, 32, v8
	v_subrev_u32_e32 v8, 28, v23
	v_lshlrev_b64 v[8:9], v8, v[2:3]
	v_lshrrev_b32_e32 v22, 3, v7
	v_sub_u32_e32 v2, 29, v23
	v_and_b32_e32 v8, 7, v8
	v_cmp_gt_u32_e32 vcc, 8, v7
	v_mov_b32_e32 v7, 24
	v_cndmask_b32_e32 v2, v22, v2, vcc
	v_cndmask_b32_e32 v6, v6, v8, vcc
	v_lshlrev_b32_sdwa v7, v7, v38 dst_sel:DWORD dst_unused:UNUSED_PAD src0_sel:DWORD src1_sel:BYTE_3
	v_bfrev_b32_e32 v8, 60
	v_lshlrev_b32_e32 v6, 20, v6
	v_and_b32_e32 v7, 0x80000000, v7
	v_lshl_add_u32 v2, v2, 23, v8
	v_or3_b32 v6, v7, v2, v6
.LBB4_880:                              ;   in Loop: Header=BB4_124 Depth=2
	s_or_b64 exec, exec, s[58:59]
.LBB4_881:                              ;   in Loop: Header=BB4_124 Depth=2
	s_or_b64 exec, exec, s[56:57]
.LBB4_882:                              ;   in Loop: Header=BB4_124 Depth=2
	s_or_b64 exec, exec, s[22:23]
	v_cmp_lt_u64_e32 vcc, s[46:47], v[14:15]
	s_and_saveexec_b64 s[22:23], vcc
	s_cbranch_execz .LBB4_888
; %bb.883:                              ;   in Loop: Header=BB4_124 Depth=2
	v_lshrrev_b32_e32 v2, 24, v15
	v_cmp_ne_u32_e32 vcc, s76, v2
	v_bfrev_b32_e32 v3, 1
	s_and_saveexec_b64 s[56:57], vcc
	s_cbranch_execz .LBB4_887
; %bb.884:                              ;   in Loop: Header=BB4_124 Depth=2
	v_bfe_u32 v7, v15, 24, 7
	v_cmp_ne_u32_e32 vcc, s75, v7
	v_mov_b32_e32 v3, 0x7f800001
	s_and_saveexec_b64 s[58:59], vcc
	s_cbranch_execz .LBB4_886
; %bb.885:                              ;   in Loop: Header=BB4_124 Depth=2
	v_and_b32_e32 v3, 7, v2
	v_ffbh_u32_e32 v8, v3
	v_min_u32_e32 v15, 32, v8
	v_subrev_u32_e32 v8, 28, v15
	v_lshlrev_b64 v[8:9], v8, v[2:3]
	v_lshrrev_b32_e32 v14, 3, v7
	v_sub_u32_e32 v9, 29, v15
	v_and_b32_e32 v8, 7, v8
	v_cmp_gt_u32_e32 vcc, 8, v7
	v_cndmask_b32_e32 v7, v14, v9, vcc
	v_cndmask_b32_e32 v3, v3, v8, vcc
	v_lshlrev_b32_e32 v2, 24, v2
	v_bfrev_b32_e32 v8, 60
	v_lshlrev_b32_e32 v3, 20, v3
	v_and_b32_e32 v2, 0x80000000, v2
	v_lshl_add_u32 v7, v7, 23, v8
	v_or3_b32 v3, v2, v7, v3
.LBB4_886:                              ;   in Loop: Header=BB4_124 Depth=2
	s_or_b64 exec, exec, s[58:59]
.LBB4_887:                              ;   in Loop: Header=BB4_124 Depth=2
	s_or_b64 exec, exec, s[56:57]
.LBB4_888:                              ;   in Loop: Header=BB4_124 Depth=2
	s_or_b64 exec, exec, s[22:23]
	v_add_f32_e32 v2, v6, v3
	v_and_b32_sdwa v7, v2, s76 dst_sel:DWORD dst_unused:UNUSED_PAD src0_sel:BYTE_3 src1_sel:DWORD
	v_and_b32_e32 v8, 0x7f800000, v2
	v_mov_b32_e32 v9, v39
	v_and_b32_e32 v38, 0x7fffff, v2
	v_or_b32_e32 v6, 0x7e, v7
	v_cmp_ne_u64_e32 vcc, s[42:43], v[8:9]
	s_and_saveexec_b64 s[22:23], vcc
	s_xor_b64 s[56:57], exec, s[22:23]
	s_cbranch_execz .LBB4_898
; %bb.889:                              ;   in Loop: Header=BB4_124 Depth=2
	v_and_b32_e32 v8, 0x7fffffff, v2
	v_mov_b32_e32 v9, v39
	v_cmp_gt_u64_e32 vcc, s[44:45], v[8:9]
	s_and_saveexec_b64 s[58:59], vcc
	s_cbranch_execz .LBB4_897
; %bb.890:                              ;   in Loop: Header=BB4_124 Depth=2
	v_cmp_ne_u32_e32 vcc, 0, v2
	v_mov_b32_e32 v6, 0
	s_and_saveexec_b64 s[60:61], vcc
	s_cbranch_execz .LBB4_896
; %bb.891:                              ;   in Loop: Header=BB4_124 Depth=2
	v_bfe_u32 v2, v2, 23, 8
	v_sub_u32_e32 v6, 0x79, v2
	v_cmp_gt_u32_e32 vcc, s77, v2
	v_add_u32_e32 v3, 0xffffff81, v2
	v_cndmask_b32_e32 v6, 0, v6, vcc
	v_cmp_eq_u32_e32 vcc, 0, v2
	v_mov_b32_e32 v2, 0xffffff82
	v_cndmask_b32_e32 v9, v3, v2, vcc
	v_mov_b32_e32 v2, 0x78
	v_or_b32_e32 v8, 0x800000, v38
	v_cndmask_b32_e32 v6, v6, v2, vcc
	v_cndmask_b32_e32 v38, v8, v38, vcc
	v_add_u32_e32 v2, 20, v6
	v_lshlrev_b64 v[2:3], v2, -1
	v_add_u32_e32 v8, 19, v6
	v_lshrrev_b64 v[22:23], v6, v[38:39]
	v_not_b32_e32 v3, v3
	v_not_b32_e32 v2, v2
	v_lshlrev_b64 v[14:15], v8, 1
	v_lshrrev_b32_e32 v8, 23, v22
	v_and_b32_e32 v3, 0, v3
	v_and_b32_e32 v2, v38, v2
	v_add3_u32 v9, v6, v9, v8
	v_bfe_u32 v6, v22, 20, 1
	v_add_u32_e32 v6, -1, v6
	v_cmp_eq_u64_e32 vcc, v[2:3], v[14:15]
	v_cndmask_b32_e32 v2, 0, v6, vcc
	v_add_u32_e32 v2, v2, v22
	v_and_b32_e32 v2, 0xfffff, v2
	v_add_co_u32_e32 v2, vcc, v2, v22
	v_add_u32_e32 v8, 6, v9
	v_addc_co_u32_e32 v3, vcc, 0, v23, vcc
	v_cmp_ne_u32_e32 vcc, 0, v8
                                        ; implicit-def: $vgpr6
	s_and_saveexec_b64 s[22:23], vcc
	s_xor_b64 s[22:23], exec, s[22:23]
; %bb.892:                              ;   in Loop: Header=BB4_124 Depth=2
	v_add_u32_e32 v6, 7, v9
	v_cmp_lt_u64_e32 vcc, s[48:49], v[2:3]
	v_cndmask_b32_e32 v6, v8, v6, vcc
	v_cndmask_b32_e64 v8, 0, 1, vcc
	v_lshrrev_b64 v[2:3], v8, v[2:3]
; %bb.893:                              ;   in Loop: Header=BB4_124 Depth=2
	s_andn2_saveexec_b64 s[22:23], s[22:23]
; %bb.894:                              ;   in Loop: Header=BB4_124 Depth=2
	v_bfe_u32 v6, v2, 23, 1
; %bb.895:                              ;   in Loop: Header=BB4_124 Depth=2
	s_or_b64 exec, exec, s[22:23]
	v_lshrrev_b64 v[2:3], 20, v[2:3]
	v_cmp_gt_i32_e32 vcc, 16, v6
	v_cndmask_b32_e32 v3, 0, v3, vcc
	v_cndmask_b32_e32 v2, 7, v2, vcc
	v_cmp_eq_u64_e64 s[22:23], 0, v[2:3]
	v_min_i32_e32 v3, 15, v6
	v_lshlrev_b32_e32 v3, 3, v3
	v_cmp_eq_u32_e32 vcc, 0, v6
	v_and_b32_e32 v3, 0xf8, v3
	v_and_or_b32 v2, v2, 7, v3
	s_and_b64 s[22:23], vcc, s[22:23]
	v_cndmask_b32_e64 v2, v2, 0, s[22:23]
	v_or_b32_e32 v6, v2, v7
.LBB4_896:                              ;   in Loop: Header=BB4_124 Depth=2
	s_or_b64 exec, exec, s[60:61]
.LBB4_897:                              ;   in Loop: Header=BB4_124 Depth=2
	s_or_b64 exec, exec, s[58:59]
                                        ; implicit-def: $vgpr2
.LBB4_898:                              ;   in Loop: Header=BB4_124 Depth=2
	s_andn2_saveexec_b64 s[22:23], s[56:57]
; %bb.899:                              ;   in Loop: Header=BB4_124 Depth=2
	v_or_b32_sdwa v2, v2, s75 dst_sel:DWORD dst_unused:UNUSED_PAD src0_sel:BYTE_3 src1_sel:DWORD
	v_cmp_eq_u64_e32 vcc, 0, v[38:39]
	v_cndmask_b32_e32 v6, v2, v6, vcc
; %bb.900:                              ;   in Loop: Header=BB4_124 Depth=2
	s_or_b64 exec, exec, s[22:23]
	v_lshlrev_b32_e32 v7, 8, v37
	v_cmp_ne_u16_sdwa vcc, v5, v39 src0_sel:BYTE_0 src1_sel:DWORD
	v_mov_b32_e32 v2, 0
	v_mov_b32_e32 v3, 0
	s_and_saveexec_b64 s[22:23], vcc
	s_cbranch_execz .LBB4_906
; %bb.901:                              ;   in Loop: Header=BB4_124 Depth=2
	v_cmp_ne_u16_sdwa vcc, v5, s76 src0_sel:BYTE_0 src1_sel:DWORD
	v_bfrev_b32_e32 v3, 1
	s_and_saveexec_b64 s[56:57], vcc
	s_cbranch_execz .LBB4_905
; %bb.902:                              ;   in Loop: Header=BB4_124 Depth=2
	v_and_b32_e32 v8, 0x7f, v5
	v_cmp_ne_u32_e32 vcc, s75, v8
	v_mov_b32_e32 v3, 0x7f800001
	s_and_saveexec_b64 s[58:59], vcc
	s_cbranch_execz .LBB4_904
; %bb.903:                              ;   in Loop: Header=BB4_124 Depth=2
	v_and_b32_e32 v3, 7, v5
	v_ffbh_u32_e32 v3, v3
	v_min_u32_e32 v3, 32, v3
	v_subrev_u32_e32 v15, 28, v3
	v_cmp_gt_u32_e32 vcc, 8, v8
	v_lshrrev_b32_e32 v9, 3, v8
	v_perm_b32 v14, v7, v5, s78
	v_sub_u32_e32 v3, 29, v3
	v_cndmask_b32_e32 v8, 0, v15, vcc
	v_cndmask_b32_e32 v3, v9, v3, vcc
	v_lshlrev_b64 v[8:9], v8, v[14:15]
	v_lshlrev_b32_e32 v8, 20, v8
	v_lshlrev_b32_e32 v5, 24, v5
	v_bfrev_b32_e32 v9, 60
	v_and_b32_e32 v8, 0x700000, v8
	v_and_b32_e32 v5, 0x80000000, v5
	v_lshl_add_u32 v3, v3, 23, v9
	v_or3_b32 v3, v5, v3, v8
.LBB4_904:                              ;   in Loop: Header=BB4_124 Depth=2
	s_or_b64 exec, exec, s[58:59]
.LBB4_905:                              ;   in Loop: Header=BB4_124 Depth=2
	s_or_b64 exec, exec, s[56:57]
.LBB4_906:                              ;   in Loop: Header=BB4_124 Depth=2
	s_or_b64 exec, exec, s[22:23]
	v_cmp_ne_u16_sdwa vcc, v16, v39 src0_sel:BYTE_0 src1_sel:DWORD
	s_and_saveexec_b64 s[22:23], vcc
	s_cbranch_execz .LBB4_912
; %bb.907:                              ;   in Loop: Header=BB4_124 Depth=2
	v_cmp_ne_u16_sdwa vcc, v16, s76 src0_sel:BYTE_0 src1_sel:DWORD
	v_bfrev_b32_e32 v2, 1
	s_and_saveexec_b64 s[56:57], vcc
	s_cbranch_execz .LBB4_911
; %bb.908:                              ;   in Loop: Header=BB4_124 Depth=2
	v_and_b32_e32 v5, 0x7f, v16
	v_cmp_ne_u32_e32 vcc, s75, v5
	v_mov_b32_e32 v2, 0x7f800001
	s_and_saveexec_b64 s[58:59], vcc
	s_cbranch_execz .LBB4_910
; %bb.909:                              ;   in Loop: Header=BB4_124 Depth=2
	v_and_b32_e32 v2, 7, v16
	v_ffbh_u32_e32 v2, v2
	v_min_u32_e32 v2, 32, v2
	v_subrev_u32_e32 v9, 28, v2
	v_cmp_gt_u32_e32 vcc, 8, v5
	v_lshrrev_b32_e32 v8, 3, v5
	v_sub_u32_e32 v2, 29, v2
	v_cndmask_b32_e32 v5, 0, v9, vcc
	v_cndmask_b32_e32 v2, v8, v2, vcc
	v_lshlrev_b64 v[8:9], v5, v[16:17]
	v_lshlrev_b32_e32 v5, 20, v8
	v_lshlrev_b32_e32 v8, 24, v16
	v_bfrev_b32_e32 v9, 60
	v_and_b32_e32 v5, 0x700000, v5
	v_and_b32_e32 v8, 0x80000000, v8
	v_lshl_add_u32 v2, v2, 23, v9
	v_or3_b32 v2, v8, v2, v5
.LBB4_910:                              ;   in Loop: Header=BB4_124 Depth=2
	s_or_b64 exec, exec, s[58:59]
.LBB4_911:                              ;   in Loop: Header=BB4_124 Depth=2
	s_or_b64 exec, exec, s[56:57]
.LBB4_912:                              ;   in Loop: Header=BB4_124 Depth=2
	s_or_b64 exec, exec, s[22:23]
	v_add_f32_e32 v2, v3, v2
	v_and_b32_sdwa v8, v2, s76 dst_sel:DWORD dst_unused:UNUSED_PAD src0_sel:BYTE_3 src1_sel:DWORD
	v_and_b32_e32 v14, 0x7f800000, v2
	v_mov_b32_e32 v15, v39
	v_and_b32_e32 v38, 0x7fffff, v2
	v_or_b32_e32 v5, 0x7e, v8
	v_cmp_ne_u64_e32 vcc, s[42:43], v[14:15]
	s_and_saveexec_b64 s[22:23], vcc
	s_xor_b64 s[56:57], exec, s[22:23]
	s_cbranch_execz .LBB4_922
; %bb.913:                              ;   in Loop: Header=BB4_124 Depth=2
	v_and_b32_e32 v14, 0x7fffffff, v2
	v_mov_b32_e32 v15, v39
	v_cmp_gt_u64_e32 vcc, s[44:45], v[14:15]
	s_and_saveexec_b64 s[58:59], vcc
	s_cbranch_execz .LBB4_921
; %bb.914:                              ;   in Loop: Header=BB4_124 Depth=2
	v_cmp_ne_u32_e32 vcc, 0, v2
	v_mov_b32_e32 v5, 0
	s_and_saveexec_b64 s[60:61], vcc
	s_cbranch_execz .LBB4_920
; %bb.915:                              ;   in Loop: Header=BB4_124 Depth=2
	v_bfe_u32 v2, v2, 23, 8
	v_sub_u32_e32 v5, 0x79, v2
	v_cmp_gt_u32_e32 vcc, s77, v2
	v_add_u32_e32 v3, 0xffffff81, v2
	v_cndmask_b32_e32 v5, 0, v5, vcc
	v_cmp_eq_u32_e32 vcc, 0, v2
	v_mov_b32_e32 v2, 0xffffff82
	v_cndmask_b32_e32 v14, v3, v2, vcc
	v_mov_b32_e32 v2, 0x78
	v_or_b32_e32 v9, 0x800000, v38
	v_cndmask_b32_e32 v5, v5, v2, vcc
	v_cndmask_b32_e32 v38, v9, v38, vcc
	v_add_u32_e32 v2, 20, v5
	v_lshlrev_b64 v[2:3], v2, -1
	v_add_u32_e32 v9, 19, v5
	v_lshrrev_b64 v[50:51], v5, v[38:39]
	v_not_b32_e32 v3, v3
	v_not_b32_e32 v2, v2
	v_lshlrev_b64 v[22:23], v9, 1
	v_lshrrev_b32_e32 v9, 23, v50
	v_and_b32_e32 v3, 0, v3
	v_and_b32_e32 v2, v38, v2
	v_add3_u32 v14, v5, v14, v9
	v_bfe_u32 v5, v50, 20, 1
	v_add_u32_e32 v5, -1, v5
	v_cmp_eq_u64_e32 vcc, v[2:3], v[22:23]
	v_cndmask_b32_e32 v2, 0, v5, vcc
	v_add_u32_e32 v2, v2, v50
	v_and_b32_e32 v2, 0xfffff, v2
	v_add_co_u32_e32 v2, vcc, v2, v50
	v_add_u32_e32 v9, 6, v14
	v_addc_co_u32_e32 v3, vcc, 0, v51, vcc
	v_cmp_ne_u32_e32 vcc, 0, v9
                                        ; implicit-def: $vgpr5
	s_and_saveexec_b64 s[22:23], vcc
	s_xor_b64 s[22:23], exec, s[22:23]
; %bb.916:                              ;   in Loop: Header=BB4_124 Depth=2
	v_add_u32_e32 v5, 7, v14
	v_cmp_lt_u64_e32 vcc, s[48:49], v[2:3]
	v_cndmask_b32_e32 v5, v9, v5, vcc
	v_cndmask_b32_e64 v9, 0, 1, vcc
	v_lshrrev_b64 v[2:3], v9, v[2:3]
; %bb.917:                              ;   in Loop: Header=BB4_124 Depth=2
	s_andn2_saveexec_b64 s[22:23], s[22:23]
; %bb.918:                              ;   in Loop: Header=BB4_124 Depth=2
	v_bfe_u32 v5, v2, 23, 1
; %bb.919:                              ;   in Loop: Header=BB4_124 Depth=2
	s_or_b64 exec, exec, s[22:23]
	v_lshrrev_b64 v[2:3], 20, v[2:3]
	v_cmp_gt_i32_e32 vcc, 16, v5
	v_cndmask_b32_e32 v3, 0, v3, vcc
	v_cndmask_b32_e32 v2, 7, v2, vcc
	v_cmp_eq_u64_e64 s[22:23], 0, v[2:3]
	v_min_i32_e32 v3, 15, v5
	v_cmp_eq_u32_e32 vcc, 0, v5
	v_lshlrev_b32_e32 v3, 3, v3
	v_and_or_b32 v2, v2, 7, v3
	s_and_b64 s[22:23], vcc, s[22:23]
	v_cndmask_b32_e64 v2, v2, 0, s[22:23]
	v_or_b32_e32 v5, v2, v8
.LBB4_920:                              ;   in Loop: Header=BB4_124 Depth=2
	s_or_b64 exec, exec, s[60:61]
.LBB4_921:                              ;   in Loop: Header=BB4_124 Depth=2
	s_or_b64 exec, exec, s[58:59]
                                        ; implicit-def: $vgpr2
.LBB4_922:                              ;   in Loop: Header=BB4_124 Depth=2
	s_andn2_saveexec_b64 s[22:23], s[56:57]
; %bb.923:                              ;   in Loop: Header=BB4_124 Depth=2
	v_or_b32_sdwa v2, v2, s75 dst_sel:DWORD dst_unused:UNUSED_PAD src0_sel:BYTE_3 src1_sel:DWORD
	v_cmp_eq_u64_e32 vcc, 0, v[38:39]
	v_cndmask_b32_e32 v5, v2, v5, vcc
; %bb.924:                              ;   in Loop: Header=BB4_124 Depth=2
	s_or_b64 exec, exec, s[22:23]
	v_lshrrev_b16_e32 v2, 8, v7
	v_cmp_ne_u16_e32 vcc, 0, v2
	v_mov_b32_e32 v3, 0
	v_mov_b32_e32 v8, 0
	s_and_saveexec_b64 s[22:23], vcc
	s_cbranch_execz .LBB4_930
; %bb.925:                              ;   in Loop: Header=BB4_124 Depth=2
	v_cmp_ne_u16_e32 vcc, s76, v2
	v_bfrev_b32_e32 v8, 1
	s_and_saveexec_b64 s[56:57], vcc
	s_cbranch_execz .LBB4_929
; %bb.926:                              ;   in Loop: Header=BB4_124 Depth=2
	v_and_b32_e32 v9, 0x7f, v2
	v_cmp_ne_u32_e32 vcc, s75, v9
	v_mov_b32_e32 v8, 0x7f800001
	s_and_saveexec_b64 s[58:59], vcc
	s_cbranch_execz .LBB4_928
; %bb.927:                              ;   in Loop: Header=BB4_124 Depth=2
	v_and_b32_e32 v8, 7, v2
	v_ffbh_u32_e32 v14, v8
	v_min_u32_e32 v23, 32, v14
	v_subrev_u32_e32 v14, 28, v23
	v_lshlrev_b64 v[14:15], v14, v[2:3]
	v_lshrrev_b32_e32 v22, 3, v9
	v_sub_u32_e32 v2, 29, v23
	v_and_b32_e32 v14, 7, v14
	v_cmp_gt_u32_e32 vcc, 8, v9
	v_cndmask_b32_e32 v2, v22, v2, vcc
	v_cndmask_b32_e32 v8, v8, v14, vcc
	v_lshlrev_b32_e32 v7, 16, v7
	v_bfrev_b32_e32 v9, 60
	v_lshlrev_b32_e32 v8, 20, v8
	v_and_b32_e32 v7, 0x80000000, v7
	v_lshl_add_u32 v2, v2, 23, v9
	v_or3_b32 v8, v7, v2, v8
.LBB4_928:                              ;   in Loop: Header=BB4_124 Depth=2
	s_or_b64 exec, exec, s[58:59]
.LBB4_929:                              ;   in Loop: Header=BB4_124 Depth=2
	s_or_b64 exec, exec, s[56:57]
.LBB4_930:                              ;   in Loop: Header=BB4_124 Depth=2
	s_or_b64 exec, exec, s[22:23]
	v_lshrrev_b16_e32 v2, 8, v16
	v_cmp_ne_u16_e32 vcc, 0, v2
	s_and_saveexec_b64 s[22:23], vcc
	s_cbranch_execz .LBB4_936
; %bb.931:                              ;   in Loop: Header=BB4_124 Depth=2
	v_cmp_ne_u16_e32 vcc, s76, v2
	v_bfrev_b32_e32 v3, 1
	s_and_saveexec_b64 s[56:57], vcc
	s_cbranch_execz .LBB4_935
; %bb.932:                              ;   in Loop: Header=BB4_124 Depth=2
	v_and_b32_e32 v7, 0x7f, v2
	v_cmp_ne_u32_e32 vcc, s75, v7
	v_mov_b32_e32 v3, 0x7f800001
	s_and_saveexec_b64 s[58:59], vcc
	s_cbranch_execz .LBB4_934
; %bb.933:                              ;   in Loop: Header=BB4_124 Depth=2
	v_and_b32_e32 v9, 7, v2
	v_ffbh_u32_e32 v3, v9
	v_min_u32_e32 v15, 32, v3
	v_subrev_u32_e32 v3, 28, v15
	v_lshlrev_b64 v[2:3], v3, v[2:3]
	v_lshrrev_b32_e32 v14, 3, v7
	v_sub_u32_e32 v3, 29, v15
	v_and_b32_e32 v2, 7, v2
	v_cmp_gt_u32_e32 vcc, 8, v7
	v_cndmask_b32_e32 v3, v14, v3, vcc
	v_cndmask_b32_e32 v2, v9, v2, vcc
	v_lshlrev_b32_e32 v7, 16, v16
	v_bfrev_b32_e32 v9, 60
	v_lshlrev_b32_e32 v2, 20, v2
	v_and_b32_e32 v7, 0x80000000, v7
	v_lshl_add_u32 v3, v3, 23, v9
	v_or3_b32 v3, v7, v3, v2
.LBB4_934:                              ;   in Loop: Header=BB4_124 Depth=2
	s_or_b64 exec, exec, s[58:59]
.LBB4_935:                              ;   in Loop: Header=BB4_124 Depth=2
	s_or_b64 exec, exec, s[56:57]
.LBB4_936:                              ;   in Loop: Header=BB4_124 Depth=2
	s_or_b64 exec, exec, s[22:23]
	v_add_f32_e32 v2, v8, v3
	v_and_b32_sdwa v8, v2, s76 dst_sel:DWORD dst_unused:UNUSED_PAD src0_sel:BYTE_3 src1_sel:DWORD
	v_and_b32_e32 v14, 0x7f800000, v2
	v_mov_b32_e32 v15, v39
	v_and_b32_e32 v38, 0x7fffff, v2
	v_or_b32_e32 v7, 0x7e, v8
	v_cmp_ne_u64_e32 vcc, s[42:43], v[14:15]
	s_and_saveexec_b64 s[22:23], vcc
	s_xor_b64 s[56:57], exec, s[22:23]
	s_cbranch_execz .LBB4_946
; %bb.937:                              ;   in Loop: Header=BB4_124 Depth=2
	v_and_b32_e32 v14, 0x7fffffff, v2
	v_mov_b32_e32 v15, v39
	v_cmp_gt_u64_e32 vcc, s[44:45], v[14:15]
	s_and_saveexec_b64 s[58:59], vcc
	s_cbranch_execz .LBB4_945
; %bb.938:                              ;   in Loop: Header=BB4_124 Depth=2
	v_cmp_ne_u32_e32 vcc, 0, v2
	v_mov_b32_e32 v7, 0
	s_and_saveexec_b64 s[60:61], vcc
	s_cbranch_execz .LBB4_944
; %bb.939:                              ;   in Loop: Header=BB4_124 Depth=2
	v_bfe_u32 v2, v2, 23, 8
	v_sub_u32_e32 v7, 0x79, v2
	v_cmp_gt_u32_e32 vcc, s77, v2
	v_add_u32_e32 v3, 0xffffff81, v2
	v_cndmask_b32_e32 v7, 0, v7, vcc
	v_cmp_eq_u32_e32 vcc, 0, v2
	v_mov_b32_e32 v2, 0xffffff82
	v_cndmask_b32_e32 v14, v3, v2, vcc
	v_mov_b32_e32 v2, 0x78
	v_or_b32_e32 v9, 0x800000, v38
	v_cndmask_b32_e32 v7, v7, v2, vcc
	v_cndmask_b32_e32 v38, v9, v38, vcc
	v_add_u32_e32 v2, 20, v7
	v_lshlrev_b64 v[2:3], v2, -1
	v_add_u32_e32 v9, 19, v7
	v_lshrrev_b64 v[50:51], v7, v[38:39]
	v_not_b32_e32 v3, v3
	v_not_b32_e32 v2, v2
	v_lshlrev_b64 v[22:23], v9, 1
	v_lshrrev_b32_e32 v9, 23, v50
	v_and_b32_e32 v3, 0, v3
	v_and_b32_e32 v2, v38, v2
	v_add3_u32 v14, v7, v14, v9
	v_bfe_u32 v7, v50, 20, 1
	v_add_u32_e32 v7, -1, v7
	v_cmp_eq_u64_e32 vcc, v[2:3], v[22:23]
	v_cndmask_b32_e32 v2, 0, v7, vcc
	v_add_u32_e32 v2, v2, v50
	v_and_b32_e32 v2, 0xfffff, v2
	v_add_co_u32_e32 v2, vcc, v2, v50
	v_add_u32_e32 v9, 6, v14
	v_addc_co_u32_e32 v3, vcc, 0, v51, vcc
	v_cmp_ne_u32_e32 vcc, 0, v9
                                        ; implicit-def: $vgpr7
	s_and_saveexec_b64 s[22:23], vcc
	s_xor_b64 s[22:23], exec, s[22:23]
; %bb.940:                              ;   in Loop: Header=BB4_124 Depth=2
	v_add_u32_e32 v7, 7, v14
	v_cmp_lt_u64_e32 vcc, s[48:49], v[2:3]
	v_cndmask_b32_e32 v7, v9, v7, vcc
	v_cndmask_b32_e64 v9, 0, 1, vcc
	v_lshrrev_b64 v[2:3], v9, v[2:3]
; %bb.941:                              ;   in Loop: Header=BB4_124 Depth=2
	s_andn2_saveexec_b64 s[22:23], s[22:23]
; %bb.942:                              ;   in Loop: Header=BB4_124 Depth=2
	v_bfe_u32 v7, v2, 23, 1
; %bb.943:                              ;   in Loop: Header=BB4_124 Depth=2
	s_or_b64 exec, exec, s[22:23]
	v_lshrrev_b64 v[2:3], 20, v[2:3]
	v_cmp_gt_i32_e32 vcc, 16, v7
	v_cndmask_b32_e32 v3, 0, v3, vcc
	v_cndmask_b32_e32 v2, 7, v2, vcc
	v_cmp_eq_u64_e64 s[22:23], 0, v[2:3]
	v_min_i32_e32 v3, 15, v7
	v_cmp_eq_u32_e32 vcc, 0, v7
	v_lshlrev_b32_e32 v3, 3, v3
	v_and_or_b32 v2, v2, 7, v3
	s_and_b64 s[22:23], vcc, s[22:23]
	v_cndmask_b32_e64 v2, v2, 0, s[22:23]
	v_or_b32_e32 v7, v2, v8
.LBB4_944:                              ;   in Loop: Header=BB4_124 Depth=2
	s_or_b64 exec, exec, s[60:61]
.LBB4_945:                              ;   in Loop: Header=BB4_124 Depth=2
	s_or_b64 exec, exec, s[58:59]
                                        ; implicit-def: $vgpr2
.LBB4_946:                              ;   in Loop: Header=BB4_124 Depth=2
	s_andn2_saveexec_b64 s[22:23], s[56:57]
; %bb.947:                              ;   in Loop: Header=BB4_124 Depth=2
	v_or_b32_sdwa v2, v2, s75 dst_sel:DWORD dst_unused:UNUSED_PAD src0_sel:BYTE_3 src1_sel:DWORD
	v_cmp_eq_u64_e32 vcc, 0, v[38:39]
	v_cndmask_b32_e32 v7, v2, v7, vcc
; %bb.948:                              ;   in Loop: Header=BB4_124 Depth=2
	s_or_b64 exec, exec, s[22:23]
	v_cmp_ne_u16_sdwa vcc, v48, v39 src0_sel:BYTE_0 src1_sel:DWORD
	v_mov_b32_e32 v3, 0
	v_mov_b32_e32 v8, 0
	s_and_saveexec_b64 s[22:23], vcc
	s_cbranch_execz .LBB4_954
; %bb.949:                              ;   in Loop: Header=BB4_124 Depth=2
	v_cmp_ne_u16_sdwa vcc, v48, s76 src0_sel:BYTE_0 src1_sel:DWORD
	v_bfrev_b32_e32 v8, 1
	s_and_saveexec_b64 s[56:57], vcc
	s_cbranch_execz .LBB4_953
; %bb.950:                              ;   in Loop: Header=BB4_124 Depth=2
	v_and_b32_e32 v2, 0x7f, v48
	v_cmp_ne_u32_e32 vcc, s75, v2
	v_mov_b32_e32 v8, 0x7f800001
	s_and_saveexec_b64 s[58:59], vcc
	s_cbranch_execz .LBB4_952
; %bb.951:                              ;   in Loop: Header=BB4_124 Depth=2
	v_and_b32_e32 v14, 7, v48
	v_ffbh_u32_e32 v8, v14
	v_min_u32_e32 v22, 32, v8
	v_subrev_u32_e32 v8, 28, v22
	v_lshlrev_b64 v[8:9], v8, v[48:49]
	v_lshrrev_b32_e32 v15, 3, v2
	v_sub_u32_e32 v9, 29, v22
	v_and_b32_e32 v8, 7, v8
	v_cmp_gt_u32_e32 vcc, 8, v2
	v_cndmask_b32_e32 v2, v15, v9, vcc
	v_cndmask_b32_e32 v8, v14, v8, vcc
	v_lshlrev_b32_e32 v9, 24, v48
	v_bfrev_b32_e32 v14, 60
	v_lshlrev_b32_e32 v8, 20, v8
	v_and_b32_e32 v9, 0x80000000, v9
	v_lshl_add_u32 v2, v2, 23, v14
	v_or3_b32 v8, v9, v2, v8
.LBB4_952:                              ;   in Loop: Header=BB4_124 Depth=2
	s_or_b64 exec, exec, s[58:59]
.LBB4_953:                              ;   in Loop: Header=BB4_124 Depth=2
	s_or_b64 exec, exec, s[56:57]
.LBB4_954:                              ;   in Loop: Header=BB4_124 Depth=2
	s_or_b64 exec, exec, s[22:23]
	v_lshrrev_b32_e32 v2, 16, v16
	v_cmp_ne_u16_sdwa vcc, v2, v39 src0_sel:BYTE_0 src1_sel:DWORD
	s_and_saveexec_b64 s[22:23], vcc
	s_cbranch_execz .LBB4_960
; %bb.955:                              ;   in Loop: Header=BB4_124 Depth=2
	v_cmp_ne_u16_sdwa vcc, v2, s76 src0_sel:BYTE_0 src1_sel:DWORD
	v_bfrev_b32_e32 v3, 1
	s_and_saveexec_b64 s[56:57], vcc
	s_cbranch_execz .LBB4_959
; %bb.956:                              ;   in Loop: Header=BB4_124 Depth=2
	v_bfe_u32 v9, v16, 16, 7
	v_cmp_ne_u32_e32 vcc, s75, v9
	v_mov_b32_e32 v3, 0x7f800001
	s_and_saveexec_b64 s[58:59], vcc
	s_cbranch_execz .LBB4_958
; %bb.957:                              ;   in Loop: Header=BB4_124 Depth=2
	v_and_b32_e32 v14, 7, v2
	v_ffbh_u32_e32 v3, v14
	v_min_u32_e32 v22, 32, v3
	v_subrev_u32_e32 v3, 28, v22
	v_lshlrev_b64 v[2:3], v3, v[2:3]
	v_lshrrev_b32_e32 v15, 3, v9
	v_sub_u32_e32 v3, 29, v22
	v_and_b32_e32 v2, 7, v2
	v_cmp_gt_u32_e32 vcc, 8, v9
	v_cndmask_b32_e32 v3, v15, v3, vcc
	v_cndmask_b32_e32 v2, v14, v2, vcc
	v_lshlrev_b32_e32 v9, 8, v16
	v_bfrev_b32_e32 v14, 60
	v_lshlrev_b32_e32 v2, 20, v2
	v_and_b32_e32 v9, 0x80000000, v9
	v_lshl_add_u32 v3, v3, 23, v14
	v_or3_b32 v3, v9, v3, v2
.LBB4_958:                              ;   in Loop: Header=BB4_124 Depth=2
	s_or_b64 exec, exec, s[58:59]
.LBB4_959:                              ;   in Loop: Header=BB4_124 Depth=2
	s_or_b64 exec, exec, s[56:57]
.LBB4_960:                              ;   in Loop: Header=BB4_124 Depth=2
	s_or_b64 exec, exec, s[22:23]
	v_add_f32_e32 v2, v8, v3
	v_and_b32_sdwa v9, v2, s76 dst_sel:DWORD dst_unused:UNUSED_PAD src0_sel:BYTE_3 src1_sel:DWORD
	v_and_b32_e32 v14, 0x7f800000, v2
	v_mov_b32_e32 v15, v39
	v_and_b32_e32 v38, 0x7fffff, v2
	v_or_b32_e32 v8, 0x7e, v9
	v_cmp_ne_u64_e32 vcc, s[42:43], v[14:15]
	s_and_saveexec_b64 s[22:23], vcc
	s_xor_b64 s[56:57], exec, s[22:23]
	s_cbranch_execz .LBB4_970
; %bb.961:                              ;   in Loop: Header=BB4_124 Depth=2
	v_and_b32_e32 v14, 0x7fffffff, v2
	v_mov_b32_e32 v15, v39
	v_cmp_gt_u64_e32 vcc, s[44:45], v[14:15]
	s_and_saveexec_b64 s[58:59], vcc
	s_cbranch_execz .LBB4_969
; %bb.962:                              ;   in Loop: Header=BB4_124 Depth=2
	v_cmp_ne_u32_e32 vcc, 0, v2
	v_mov_b32_e32 v8, 0
	s_and_saveexec_b64 s[60:61], vcc
	s_cbranch_execz .LBB4_968
; %bb.963:                              ;   in Loop: Header=BB4_124 Depth=2
	v_bfe_u32 v2, v2, 23, 8
	v_sub_u32_e32 v8, 0x79, v2
	v_cmp_gt_u32_e32 vcc, s77, v2
	v_add_u32_e32 v3, 0xffffff81, v2
	v_cndmask_b32_e32 v8, 0, v8, vcc
	v_cmp_eq_u32_e32 vcc, 0, v2
	v_mov_b32_e32 v2, 0xffffff82
	v_cndmask_b32_e32 v15, v3, v2, vcc
	v_mov_b32_e32 v2, 0x78
	v_or_b32_e32 v14, 0x800000, v38
	v_cndmask_b32_e32 v8, v8, v2, vcc
	v_cndmask_b32_e32 v38, v14, v38, vcc
	v_add_u32_e32 v2, 20, v8
	v_lshlrev_b64 v[2:3], v2, -1
	v_add_u32_e32 v14, 19, v8
	v_lshrrev_b64 v[50:51], v8, v[38:39]
	v_not_b32_e32 v3, v3
	v_not_b32_e32 v2, v2
	v_lshlrev_b64 v[22:23], v14, 1
	v_lshrrev_b32_e32 v14, 23, v50
	v_and_b32_e32 v3, 0, v3
	v_and_b32_e32 v2, v38, v2
	v_add3_u32 v15, v8, v15, v14
	v_bfe_u32 v8, v50, 20, 1
	v_add_u32_e32 v8, -1, v8
	v_cmp_eq_u64_e32 vcc, v[2:3], v[22:23]
	v_cndmask_b32_e32 v2, 0, v8, vcc
	v_add_u32_e32 v2, v2, v50
	v_and_b32_e32 v2, 0xfffff, v2
	v_add_co_u32_e32 v2, vcc, v2, v50
	v_add_u32_e32 v14, 6, v15
	v_addc_co_u32_e32 v3, vcc, 0, v51, vcc
	v_cmp_ne_u32_e32 vcc, 0, v14
                                        ; implicit-def: $vgpr8
	s_and_saveexec_b64 s[22:23], vcc
	s_xor_b64 s[22:23], exec, s[22:23]
; %bb.964:                              ;   in Loop: Header=BB4_124 Depth=2
	v_add_u32_e32 v8, 7, v15
	v_cmp_lt_u64_e32 vcc, s[48:49], v[2:3]
	v_cndmask_b32_e32 v8, v14, v8, vcc
	v_cndmask_b32_e64 v14, 0, 1, vcc
	v_lshrrev_b64 v[2:3], v14, v[2:3]
; %bb.965:                              ;   in Loop: Header=BB4_124 Depth=2
	s_andn2_saveexec_b64 s[22:23], s[22:23]
; %bb.966:                              ;   in Loop: Header=BB4_124 Depth=2
	v_bfe_u32 v8, v2, 23, 1
; %bb.967:                              ;   in Loop: Header=BB4_124 Depth=2
	s_or_b64 exec, exec, s[22:23]
	v_lshrrev_b64 v[2:3], 20, v[2:3]
	v_cmp_gt_i32_e32 vcc, 16, v8
	v_cndmask_b32_e32 v3, 0, v3, vcc
	v_cndmask_b32_e32 v2, 7, v2, vcc
	v_cmp_eq_u64_e64 s[22:23], 0, v[2:3]
	v_min_i32_e32 v3, 15, v8
	v_cmp_eq_u32_e32 vcc, 0, v8
	v_lshlrev_b32_e32 v3, 3, v3
	v_and_or_b32 v2, v2, 7, v3
	s_and_b64 s[22:23], vcc, s[22:23]
	v_cndmask_b32_e64 v2, v2, 0, s[22:23]
	v_or_b32_e32 v8, v2, v9
.LBB4_968:                              ;   in Loop: Header=BB4_124 Depth=2
	s_or_b64 exec, exec, s[60:61]
.LBB4_969:                              ;   in Loop: Header=BB4_124 Depth=2
	s_or_b64 exec, exec, s[58:59]
                                        ; implicit-def: $vgpr2
.LBB4_970:                              ;   in Loop: Header=BB4_124 Depth=2
	s_andn2_saveexec_b64 s[22:23], s[56:57]
; %bb.971:                              ;   in Loop: Header=BB4_124 Depth=2
	v_or_b32_sdwa v2, v2, s75 dst_sel:DWORD dst_unused:UNUSED_PAD src0_sel:BYTE_3 src1_sel:DWORD
	v_cmp_eq_u64_e32 vcc, 0, v[38:39]
	v_cndmask_b32_e32 v8, v2, v8, vcc
; %bb.972:                              ;   in Loop: Header=BB4_124 Depth=2
	s_or_b64 exec, exec, s[22:23]
	v_lshlrev_b32_e32 v2, 8, v4
	v_and_b32_e32 v2, 0xff00, v2
	v_cmp_ne_u32_e32 vcc, 0, v2
	v_mov_b32_e32 v3, 0
	v_mov_b32_e32 v4, 0
	s_and_saveexec_b64 s[22:23], vcc
	s_cbranch_execz .LBB4_978
; %bb.973:                              ;   in Loop: Header=BB4_124 Depth=2
	v_cmp_ne_u32_e32 vcc, s79, v2
	v_bfrev_b32_e32 v4, 1
	s_and_saveexec_b64 s[56:57], vcc
	s_cbranch_execz .LBB4_977
; %bb.974:                              ;   in Loop: Header=BB4_124 Depth=2
	v_bfe_u32 v9, v2, 8, 7
	v_cmp_ne_u32_e32 vcc, s75, v9
	v_mov_b32_e32 v4, 0x7f800001
	s_and_saveexec_b64 s[58:59], vcc
	s_cbranch_execz .LBB4_976
; %bb.975:                              ;   in Loop: Header=BB4_124 Depth=2
	v_lshrrev_b32_e32 v4, 8, v2
	v_and_b32_e32 v22, 7, v4
	v_ffbh_u32_e32 v14, v22
	v_min_u32_e32 v37, 32, v14
	v_subrev_u32_e32 v14, 28, v37
	v_lshlrev_b64 v[14:15], v14, v[4:5]
	v_lshrrev_b32_e32 v23, 3, v9
	v_sub_u32_e32 v4, 29, v37
	v_and_b32_e32 v14, 7, v14
	v_cmp_gt_u32_e32 vcc, 8, v9
	v_cndmask_b32_e32 v4, v23, v4, vcc
	v_cndmask_b32_e32 v9, v22, v14, vcc
	v_lshlrev_b32_e32 v2, 16, v2
	v_bfrev_b32_e32 v14, 60
	v_lshlrev_b32_e32 v9, 20, v9
	v_and_b32_e32 v2, 0x80000000, v2
	v_lshl_add_u32 v4, v4, 23, v14
	v_or3_b32 v4, v2, v4, v9
.LBB4_976:                              ;   in Loop: Header=BB4_124 Depth=2
	s_or_b64 exec, exec, s[58:59]
.LBB4_977:                              ;   in Loop: Header=BB4_124 Depth=2
	s_or_b64 exec, exec, s[56:57]
.LBB4_978:                              ;   in Loop: Header=BB4_124 Depth=2
	s_or_b64 exec, exec, s[22:23]
	v_cmp_lt_u32_e32 vcc, s47, v16
	s_and_saveexec_b64 s[22:23], vcc
	s_cbranch_execz .LBB4_984
; %bb.979:                              ;   in Loop: Header=BB4_124 Depth=2
	v_lshrrev_b32_e32 v2, 24, v16
	v_cmp_ne_u32_e32 vcc, s76, v2
	v_bfrev_b32_e32 v3, 1
	s_and_saveexec_b64 s[56:57], vcc
	s_cbranch_execz .LBB4_983
; %bb.980:                              ;   in Loop: Header=BB4_124 Depth=2
	v_bfe_u32 v9, v16, 24, 7
	v_cmp_ne_u32_e32 vcc, s75, v9
	v_mov_b32_e32 v3, 0x7f800001
	s_and_saveexec_b64 s[58:59], vcc
	s_cbranch_execz .LBB4_982
; %bb.981:                              ;   in Loop: Header=BB4_124 Depth=2
	v_and_b32_e32 v3, 7, v2
	v_ffbh_u32_e32 v14, v3
	v_min_u32_e32 v23, 32, v14
	v_subrev_u32_e32 v14, 28, v23
	v_lshlrev_b64 v[14:15], v14, v[2:3]
	v_lshrrev_b32_e32 v22, 3, v9
	v_sub_u32_e32 v15, 29, v23
	v_and_b32_e32 v14, 7, v14
	v_cmp_gt_u32_e32 vcc, 8, v9
	v_cndmask_b32_e32 v9, v22, v15, vcc
	v_cndmask_b32_e32 v3, v3, v14, vcc
	v_lshlrev_b32_e32 v2, 24, v2
	v_bfrev_b32_e32 v14, 60
	v_lshlrev_b32_e32 v3, 20, v3
	v_and_b32_e32 v2, 0x80000000, v2
	v_lshl_add_u32 v9, v9, 23, v14
	v_or3_b32 v3, v2, v9, v3
.LBB4_982:                              ;   in Loop: Header=BB4_124 Depth=2
	s_or_b64 exec, exec, s[58:59]
.LBB4_983:                              ;   in Loop: Header=BB4_124 Depth=2
	s_or_b64 exec, exec, s[56:57]
.LBB4_984:                              ;   in Loop: Header=BB4_124 Depth=2
	s_or_b64 exec, exec, s[22:23]
	v_add_f32_e32 v2, v4, v3
	v_and_b32_sdwa v9, v2, s76 dst_sel:DWORD dst_unused:UNUSED_PAD src0_sel:BYTE_3 src1_sel:DWORD
	v_and_b32_e32 v14, 0x7f800000, v2
	v_mov_b32_e32 v15, v39
	v_and_b32_e32 v38, 0x7fffff, v2
	v_or_b32_e32 v4, 0x7e, v9
	v_cmp_ne_u64_e32 vcc, s[42:43], v[14:15]
	s_and_saveexec_b64 s[22:23], vcc
	s_xor_b64 s[56:57], exec, s[22:23]
	s_cbranch_execz .LBB4_994
; %bb.985:                              ;   in Loop: Header=BB4_124 Depth=2
	v_and_b32_e32 v14, 0x7fffffff, v2
	v_mov_b32_e32 v15, v39
	v_cmp_gt_u64_e32 vcc, s[44:45], v[14:15]
	s_and_saveexec_b64 s[58:59], vcc
	s_cbranch_execz .LBB4_993
; %bb.986:                              ;   in Loop: Header=BB4_124 Depth=2
	v_cmp_ne_u32_e32 vcc, 0, v2
	v_mov_b32_e32 v4, 0
	s_and_saveexec_b64 s[60:61], vcc
	s_cbranch_execz .LBB4_992
; %bb.987:                              ;   in Loop: Header=BB4_124 Depth=2
	v_bfe_u32 v2, v2, 23, 8
	v_sub_u32_e32 v4, 0x79, v2
	v_cmp_gt_u32_e32 vcc, s77, v2
	v_add_u32_e32 v3, 0xffffff81, v2
	v_cndmask_b32_e32 v4, 0, v4, vcc
	v_cmp_eq_u32_e32 vcc, 0, v2
	v_mov_b32_e32 v2, 0xffffff82
	v_cndmask_b32_e32 v15, v3, v2, vcc
	v_mov_b32_e32 v2, 0x78
	v_or_b32_e32 v14, 0x800000, v38
	v_cndmask_b32_e32 v4, v4, v2, vcc
	v_cndmask_b32_e32 v38, v14, v38, vcc
	v_add_u32_e32 v2, 20, v4
	v_lshlrev_b64 v[2:3], v2, -1
	v_add_u32_e32 v14, 19, v4
	v_lshrrev_b64 v[50:51], v4, v[38:39]
	v_not_b32_e32 v3, v3
	v_not_b32_e32 v2, v2
	v_lshlrev_b64 v[22:23], v14, 1
	v_lshrrev_b32_e32 v14, 23, v50
	v_and_b32_e32 v3, 0, v3
	v_and_b32_e32 v2, v38, v2
	v_add3_u32 v15, v4, v15, v14
	v_bfe_u32 v4, v50, 20, 1
	v_add_u32_e32 v4, -1, v4
	v_cmp_eq_u64_e32 vcc, v[2:3], v[22:23]
	v_cndmask_b32_e32 v2, 0, v4, vcc
	v_add_u32_e32 v2, v2, v50
	v_and_b32_e32 v2, 0xfffff, v2
	v_add_co_u32_e32 v2, vcc, v2, v50
	v_add_u32_e32 v14, 6, v15
	v_addc_co_u32_e32 v3, vcc, 0, v51, vcc
	v_cmp_ne_u32_e32 vcc, 0, v14
                                        ; implicit-def: $vgpr4
	s_and_saveexec_b64 s[22:23], vcc
	s_xor_b64 s[22:23], exec, s[22:23]
; %bb.988:                              ;   in Loop: Header=BB4_124 Depth=2
	v_add_u32_e32 v4, 7, v15
	v_cmp_lt_u64_e32 vcc, s[48:49], v[2:3]
	v_cndmask_b32_e32 v4, v14, v4, vcc
	v_cndmask_b32_e64 v14, 0, 1, vcc
	v_lshrrev_b64 v[2:3], v14, v[2:3]
; %bb.989:                              ;   in Loop: Header=BB4_124 Depth=2
	s_andn2_saveexec_b64 s[22:23], s[22:23]
; %bb.990:                              ;   in Loop: Header=BB4_124 Depth=2
	v_bfe_u32 v4, v2, 23, 1
; %bb.991:                              ;   in Loop: Header=BB4_124 Depth=2
	s_or_b64 exec, exec, s[22:23]
	v_lshrrev_b64 v[2:3], 20, v[2:3]
	v_cmp_gt_i32_e32 vcc, 16, v4
	v_cndmask_b32_e32 v3, 0, v3, vcc
	v_cndmask_b32_e32 v2, 7, v2, vcc
	v_cmp_eq_u64_e64 s[22:23], 0, v[2:3]
	v_min_i32_e32 v3, 15, v4
	v_cmp_eq_u32_e32 vcc, 0, v4
	v_lshlrev_b32_e32 v3, 3, v3
	v_and_or_b32 v2, v2, 7, v3
	s_and_b64 s[22:23], vcc, s[22:23]
	v_cndmask_b32_e64 v2, v2, 0, s[22:23]
	v_or_b32_e32 v4, v2, v9
.LBB4_992:                              ;   in Loop: Header=BB4_124 Depth=2
	s_or_b64 exec, exec, s[60:61]
.LBB4_993:                              ;   in Loop: Header=BB4_124 Depth=2
	s_or_b64 exec, exec, s[58:59]
                                        ; implicit-def: $vgpr2
.LBB4_994:                              ;   in Loop: Header=BB4_124 Depth=2
	s_andn2_saveexec_b64 s[22:23], s[56:57]
; %bb.995:                              ;   in Loop: Header=BB4_124 Depth=2
	v_or_b32_sdwa v2, v2, s75 dst_sel:DWORD dst_unused:UNUSED_PAD src0_sel:BYTE_3 src1_sel:DWORD
	v_cmp_eq_u64_e32 vcc, 0, v[38:39]
	v_cndmask_b32_e32 v4, v2, v4, vcc
; %bb.996:                              ;   in Loop: Header=BB4_124 Depth=2
	s_or_b64 exec, exec, s[22:23]
	v_lshlrev_b32_e32 v14, 8, v33
	v_lshlrev_b32_e32 v2, 24, v21
	v_perm_b32 v3, v36, v61, s80
	v_or3_b32 v38, v3, v2, v14
	v_cmp_ne_u16_sdwa vcc, v61, v39 src0_sel:BYTE_0 src1_sel:DWORD
	v_mov_b32_e32 v3, 0
	v_mov_b32_e32 v2, 0
	s_and_saveexec_b64 s[22:23], vcc
	s_cbranch_execz .LBB4_1002
; %bb.997:                              ;   in Loop: Header=BB4_124 Depth=2
	v_cmp_ne_u16_sdwa vcc, v61, s76 src0_sel:BYTE_0 src1_sel:DWORD
	v_bfrev_b32_e32 v2, 1
	s_and_saveexec_b64 s[56:57], vcc
	s_cbranch_execz .LBB4_1001
; %bb.998:                              ;   in Loop: Header=BB4_124 Depth=2
	v_and_b32_e32 v9, 0x7f, v61
	v_cmp_ne_u32_e32 vcc, s75, v9
	v_mov_b32_e32 v2, 0x7f800001
	s_and_saveexec_b64 s[58:59], vcc
	s_cbranch_execz .LBB4_1000
; %bb.999:                              ;   in Loop: Header=BB4_124 Depth=2
	v_and_b32_e32 v2, 7, v61
	v_ffbh_u32_e32 v2, v2
	v_min_u32_e32 v2, 32, v2
	v_subrev_u32_e32 v21, 28, v2
	v_cmp_gt_u32_e32 vcc, 8, v9
	v_lshrrev_b32_e32 v15, 3, v9
	v_cndmask_b32_e32 v9, 0, v21, vcc
	v_sub_u32_e32 v2, 29, v2
	v_lshlrev_b64 v[22:23], v9, v[38:39]
	v_cndmask_b32_e32 v2, v15, v2, vcc
	v_lshlrev_b32_e32 v9, 20, v22
	v_lshlrev_b32_e32 v15, 24, v38
	v_bfrev_b32_e32 v21, 60
	v_and_b32_e32 v9, 0x700000, v9
	v_and_b32_e32 v15, 0x80000000, v15
	v_lshl_add_u32 v2, v2, 23, v21
	v_or3_b32 v2, v15, v2, v9
.LBB4_1000:                             ;   in Loop: Header=BB4_124 Depth=2
	s_or_b64 exec, exec, s[58:59]
.LBB4_1001:                             ;   in Loop: Header=BB4_124 Depth=2
	s_or_b64 exec, exec, s[56:57]
.LBB4_1002:                             ;   in Loop: Header=BB4_124 Depth=2
	s_or_b64 exec, exec, s[22:23]
	v_cmp_ne_u16_sdwa vcc, v17, v39 src0_sel:BYTE_0 src1_sel:DWORD
	s_and_saveexec_b64 s[22:23], vcc
	s_cbranch_execz .LBB4_1008
; %bb.1003:                             ;   in Loop: Header=BB4_124 Depth=2
	v_cmp_ne_u16_sdwa vcc, v17, s76 src0_sel:BYTE_0 src1_sel:DWORD
	v_bfrev_b32_e32 v3, 1
	s_and_saveexec_b64 s[56:57], vcc
	s_cbranch_execz .LBB4_1007
; %bb.1004:                             ;   in Loop: Header=BB4_124 Depth=2
	v_and_b32_e32 v9, 0x7f, v17
	v_cmp_ne_u32_e32 vcc, s75, v9
	v_mov_b32_e32 v3, 0x7f800001
	s_and_saveexec_b64 s[58:59], vcc
	s_cbranch_execz .LBB4_1006
; %bb.1005:                             ;   in Loop: Header=BB4_124 Depth=2
	v_and_b32_e32 v3, 7, v17
	v_ffbh_u32_e32 v3, v3
	v_min_u32_e32 v3, 32, v3
	v_subrev_u32_e32 v21, 28, v3
	v_cmp_gt_u32_e32 vcc, 8, v9
	v_mov_b32_e32 v22, v17
	v_mov_b32_e32 v23, v39
	v_lshrrev_b32_e32 v15, 3, v9
	v_cndmask_b32_e32 v9, 0, v21, vcc
	v_sub_u32_e32 v3, 29, v3
	v_lshlrev_b64 v[36:37], v9, v[22:23]
	v_cndmask_b32_e32 v3, v15, v3, vcc
	v_lshlrev_b32_e32 v9, 20, v36
	v_lshlrev_b32_e32 v15, 24, v22
	v_bfrev_b32_e32 v21, 60
	v_and_b32_e32 v9, 0x700000, v9
	v_and_b32_e32 v15, 0x80000000, v15
	v_lshl_add_u32 v3, v3, 23, v21
	v_or3_b32 v3, v15, v3, v9
.LBB4_1006:                             ;   in Loop: Header=BB4_124 Depth=2
	s_or_b64 exec, exec, s[58:59]
.LBB4_1007:                             ;   in Loop: Header=BB4_124 Depth=2
	s_or_b64 exec, exec, s[56:57]
.LBB4_1008:                             ;   in Loop: Header=BB4_124 Depth=2
	s_or_b64 exec, exec, s[22:23]
	v_add_f32_e32 v21, v2, v3
	v_and_b32_sdwa v15, v21, s76 dst_sel:DWORD dst_unused:UNUSED_PAD src0_sel:BYTE_3 src1_sel:DWORD
	v_and_b32_e32 v22, 0x7f800000, v21
	v_mov_b32_e32 v23, v39
	v_and_b32_e32 v2, 0x7fffff, v21
	v_mov_b32_e32 v3, v39
	v_or_b32_e32 v9, 0x7e, v15
	v_cmp_ne_u64_e32 vcc, s[42:43], v[22:23]
	s_and_saveexec_b64 s[22:23], vcc
	s_xor_b64 s[56:57], exec, s[22:23]
	s_cbranch_execz .LBB4_1018
; %bb.1009:                             ;   in Loop: Header=BB4_124 Depth=2
	v_and_b32_e32 v22, 0x7fffffff, v21
	v_mov_b32_e32 v23, v39
	v_cmp_gt_u64_e32 vcc, s[44:45], v[22:23]
	s_and_saveexec_b64 s[58:59], vcc
	s_cbranch_execz .LBB4_1017
; %bb.1010:                             ;   in Loop: Header=BB4_124 Depth=2
	v_cmp_ne_u32_e32 vcc, 0, v21
	v_mov_b32_e32 v9, 0
	s_and_saveexec_b64 s[60:61], vcc
	s_cbranch_execz .LBB4_1016
; %bb.1011:                             ;   in Loop: Header=BB4_124 Depth=2
	v_bfe_u32 v9, v21, 23, 8
	v_sub_u32_e32 v22, 0x79, v9
	v_cmp_gt_u32_e32 vcc, s77, v9
	v_add_u32_e32 v21, 0xffffff81, v9
	v_cndmask_b32_e32 v22, 0, v22, vcc
	v_cmp_eq_u32_e32 vcc, 0, v9
	v_mov_b32_e32 v9, 0xffffff82
	v_cndmask_b32_e32 v9, v21, v9, vcc
	v_mov_b32_e32 v21, 0x78
	v_cndmask_b32_e32 v21, v22, v21, vcc
	v_or_b32_e32 v23, 0x800000, v2
	v_add_u32_e32 v22, 20, v21
	v_cndmask_b32_e32 v2, v23, v2, vcc
	v_lshlrev_b64 v[22:23], v22, -1
	v_not_b32_e32 v22, v22
	v_and_b32_e32 v36, v2, v22
	v_add_u32_e32 v22, 19, v21
	v_lshrrev_b64 v[2:3], v21, v[2:3]
	v_not_b32_e32 v23, v23
	v_lshlrev_b64 v[50:51], v22, 1
	v_lshrrev_b32_e32 v22, 23, v2
	v_and_b32_e32 v37, 0, v23
	v_add3_u32 v22, v21, v9, v22
	v_bfe_u32 v9, v2, 20, 1
	v_add_u32_e32 v9, -1, v9
	v_cmp_eq_u64_e32 vcc, v[36:37], v[50:51]
	v_cndmask_b32_e32 v9, 0, v9, vcc
	v_add_u32_e32 v9, v9, v2
	v_and_b32_e32 v9, 0xfffff, v9
	v_add_co_u32_e32 v2, vcc, v9, v2
	v_add_u32_e32 v21, 6, v22
	v_addc_co_u32_e32 v3, vcc, 0, v3, vcc
	v_cmp_ne_u32_e32 vcc, 0, v21
                                        ; implicit-def: $vgpr9
	s_and_saveexec_b64 s[22:23], vcc
	s_xor_b64 s[22:23], exec, s[22:23]
; %bb.1012:                             ;   in Loop: Header=BB4_124 Depth=2
	v_add_u32_e32 v9, 7, v22
	v_cmp_lt_u64_e32 vcc, s[48:49], v[2:3]
	v_cndmask_b32_e32 v9, v21, v9, vcc
	v_cndmask_b32_e64 v21, 0, 1, vcc
	v_lshrrev_b64 v[2:3], v21, v[2:3]
; %bb.1013:                             ;   in Loop: Header=BB4_124 Depth=2
	s_andn2_saveexec_b64 s[22:23], s[22:23]
; %bb.1014:                             ;   in Loop: Header=BB4_124 Depth=2
	v_bfe_u32 v9, v2, 23, 1
; %bb.1015:                             ;   in Loop: Header=BB4_124 Depth=2
	s_or_b64 exec, exec, s[22:23]
	v_lshrrev_b64 v[2:3], 20, v[2:3]
	v_cmp_gt_i32_e32 vcc, 16, v9
	v_cndmask_b32_e32 v3, 0, v3, vcc
	v_cndmask_b32_e32 v2, 7, v2, vcc
	v_cmp_eq_u64_e64 s[22:23], 0, v[2:3]
	v_min_i32_e32 v3, 15, v9
	v_cmp_eq_u32_e32 vcc, 0, v9
	v_lshlrev_b32_e32 v3, 3, v3
	v_and_or_b32 v2, v2, 7, v3
	s_and_b64 s[22:23], vcc, s[22:23]
	v_cndmask_b32_e64 v2, v2, 0, s[22:23]
	v_or_b32_e32 v9, v2, v15
.LBB4_1016:                             ;   in Loop: Header=BB4_124 Depth=2
	s_or_b64 exec, exec, s[60:61]
.LBB4_1017:                             ;   in Loop: Header=BB4_124 Depth=2
	s_or_b64 exec, exec, s[58:59]
                                        ; implicit-def: $vgpr21
                                        ; implicit-def: $vgpr2_vgpr3
.LBB4_1018:                             ;   in Loop: Header=BB4_124 Depth=2
	s_andn2_saveexec_b64 s[22:23], s[56:57]
; %bb.1019:                             ;   in Loop: Header=BB4_124 Depth=2
	v_or_b32_sdwa v15, v21, s75 dst_sel:DWORD dst_unused:UNUSED_PAD src0_sel:BYTE_3 src1_sel:DWORD
	v_cmp_eq_u64_e32 vcc, 0, v[2:3]
	v_cndmask_b32_e32 v9, v15, v9, vcc
; %bb.1020:                             ;   in Loop: Header=BB4_124 Depth=2
	s_or_b64 exec, exec, s[22:23]
	v_lshrrev_b16_e32 v2, 8, v14
	v_cmp_ne_u16_e32 vcc, 0, v2
	v_mov_b32_e32 v3, 0
	v_mov_b32_e32 v15, 0
	s_and_saveexec_b64 s[22:23], vcc
	s_cbranch_execz .LBB4_1026
; %bb.1021:                             ;   in Loop: Header=BB4_124 Depth=2
	v_cmp_ne_u16_e32 vcc, s76, v2
	v_bfrev_b32_e32 v15, 1
	s_and_saveexec_b64 s[56:57], vcc
	s_cbranch_execz .LBB4_1025
; %bb.1022:                             ;   in Loop: Header=BB4_124 Depth=2
	v_and_b32_e32 v21, 0x7f, v2
	v_cmp_ne_u32_e32 vcc, s75, v21
	v_mov_b32_e32 v15, 0x7f800001
	s_and_saveexec_b64 s[58:59], vcc
	s_cbranch_execz .LBB4_1024
; %bb.1023:                             ;   in Loop: Header=BB4_124 Depth=2
	v_and_b32_e32 v15, 7, v2
	v_ffbh_u32_e32 v22, v15
	v_min_u32_e32 v36, 32, v22
	v_subrev_u32_e32 v22, 28, v36
	v_lshlrev_b64 v[22:23], v22, v[2:3]
	v_lshrrev_b32_e32 v33, 3, v21
	v_sub_u32_e32 v2, 29, v36
	v_and_b32_e32 v22, 7, v22
	v_cmp_gt_u32_e32 vcc, 8, v21
	v_cndmask_b32_e32 v2, v33, v2, vcc
	v_cndmask_b32_e32 v15, v15, v22, vcc
	v_lshlrev_b32_e32 v14, 16, v14
	v_bfrev_b32_e32 v21, 60
	v_lshlrev_b32_e32 v15, 20, v15
	v_and_b32_e32 v14, 0x80000000, v14
	v_lshl_add_u32 v2, v2, 23, v21
	v_or3_b32 v15, v14, v2, v15
.LBB4_1024:                             ;   in Loop: Header=BB4_124 Depth=2
	s_or_b64 exec, exec, s[58:59]
.LBB4_1025:                             ;   in Loop: Header=BB4_124 Depth=2
	s_or_b64 exec, exec, s[56:57]
.LBB4_1026:                             ;   in Loop: Header=BB4_124 Depth=2
	s_or_b64 exec, exec, s[22:23]
	v_mov_b32_e32 v2, v17
	v_lshrrev_b16_e32 v14, 8, v2
	v_cmp_ne_u16_e32 vcc, 0, v14
	s_and_saveexec_b64 s[22:23], vcc
	s_cbranch_execz .LBB4_1032
; %bb.1027:                             ;   in Loop: Header=BB4_124 Depth=2
	v_cmp_ne_u16_e32 vcc, s76, v14
	v_bfrev_b32_e32 v3, 1
	s_and_saveexec_b64 s[56:57], vcc
	s_cbranch_execz .LBB4_1031
; %bb.1028:                             ;   in Loop: Header=BB4_124 Depth=2
	v_and_b32_e32 v21, 0x7f, v14
	v_cmp_ne_u32_e32 vcc, s75, v21
	v_mov_b32_e32 v3, 0x7f800001
	s_and_saveexec_b64 s[58:59], vcc
	s_cbranch_execz .LBB4_1030
; %bb.1029:                             ;   in Loop: Header=BB4_124 Depth=2
	v_and_b32_e32 v3, 7, v14
	v_ffbh_u32_e32 v22, v3
	v_min_u32_e32 v36, 32, v22
	v_subrev_u32_e32 v22, 28, v36
	v_lshlrev_b64 v[22:23], v22, v[14:15]
	v_lshrrev_b32_e32 v33, 3, v21
	v_sub_u32_e32 v14, 29, v36
	v_and_b32_e32 v22, 7, v22
	v_cmp_gt_u32_e32 vcc, 8, v21
	v_cndmask_b32_e32 v14, v33, v14, vcc
	v_cndmask_b32_e32 v3, v3, v22, vcc
	v_lshlrev_b32_e32 v2, 16, v2
	v_bfrev_b32_e32 v21, 60
	v_lshlrev_b32_e32 v3, 20, v3
	v_and_b32_e32 v2, 0x80000000, v2
	v_lshl_add_u32 v14, v14, 23, v21
	v_or3_b32 v3, v2, v14, v3
.LBB4_1030:                             ;   in Loop: Header=BB4_124 Depth=2
	s_or_b64 exec, exec, s[58:59]
.LBB4_1031:                             ;   in Loop: Header=BB4_124 Depth=2
	s_or_b64 exec, exec, s[56:57]
.LBB4_1032:                             ;   in Loop: Header=BB4_124 Depth=2
	s_or_b64 exec, exec, s[22:23]
	v_add_f32_e32 v21, v15, v3
	v_and_b32_sdwa v14, v21, s76 dst_sel:DWORD dst_unused:UNUSED_PAD src0_sel:BYTE_3 src1_sel:DWORD
	v_and_b32_e32 v22, 0x7f800000, v21
	v_mov_b32_e32 v23, v39
	v_and_b32_e32 v2, 0x7fffff, v21
	v_mov_b32_e32 v3, v39
	v_or_b32_e32 v15, 0x7e, v14
	v_cmp_ne_u64_e32 vcc, s[42:43], v[22:23]
	s_and_saveexec_b64 s[22:23], vcc
	s_xor_b64 s[56:57], exec, s[22:23]
	s_cbranch_execz .LBB4_1042
; %bb.1033:                             ;   in Loop: Header=BB4_124 Depth=2
	v_and_b32_e32 v22, 0x7fffffff, v21
	v_mov_b32_e32 v23, v39
	v_cmp_gt_u64_e32 vcc, s[44:45], v[22:23]
	s_and_saveexec_b64 s[58:59], vcc
	s_cbranch_execz .LBB4_1041
; %bb.1034:                             ;   in Loop: Header=BB4_124 Depth=2
	v_cmp_ne_u32_e32 vcc, 0, v21
	v_mov_b32_e32 v15, 0
	s_and_saveexec_b64 s[60:61], vcc
	s_cbranch_execz .LBB4_1040
; %bb.1035:                             ;   in Loop: Header=BB4_124 Depth=2
	v_bfe_u32 v15, v21, 23, 8
	v_sub_u32_e32 v22, 0x79, v15
	v_cmp_gt_u32_e32 vcc, s77, v15
	v_add_u32_e32 v21, 0xffffff81, v15
	v_cndmask_b32_e32 v22, 0, v22, vcc
	v_cmp_eq_u32_e32 vcc, 0, v15
	v_mov_b32_e32 v15, 0xffffff82
	v_cndmask_b32_e32 v15, v21, v15, vcc
	v_mov_b32_e32 v21, 0x78
	v_cndmask_b32_e32 v21, v22, v21, vcc
	v_or_b32_e32 v23, 0x800000, v2
	v_add_u32_e32 v22, 20, v21
	v_cndmask_b32_e32 v2, v23, v2, vcc
	v_lshlrev_b64 v[22:23], v22, -1
	v_not_b32_e32 v22, v22
	v_and_b32_e32 v36, v2, v22
	v_add_u32_e32 v22, 19, v21
	v_lshrrev_b64 v[2:3], v21, v[2:3]
	v_not_b32_e32 v23, v23
	v_lshlrev_b64 v[50:51], v22, 1
	v_lshrrev_b32_e32 v22, 23, v2
	v_and_b32_e32 v37, 0, v23
	v_add3_u32 v22, v21, v15, v22
	v_bfe_u32 v15, v2, 20, 1
	v_add_u32_e32 v15, -1, v15
	v_cmp_eq_u64_e32 vcc, v[36:37], v[50:51]
	v_cndmask_b32_e32 v15, 0, v15, vcc
	v_add_u32_e32 v15, v15, v2
	v_and_b32_e32 v15, 0xfffff, v15
	v_add_co_u32_e32 v2, vcc, v15, v2
	v_add_u32_e32 v21, 6, v22
	v_addc_co_u32_e32 v3, vcc, 0, v3, vcc
	v_cmp_ne_u32_e32 vcc, 0, v21
                                        ; implicit-def: $vgpr15
	s_and_saveexec_b64 s[22:23], vcc
	s_xor_b64 s[22:23], exec, s[22:23]
; %bb.1036:                             ;   in Loop: Header=BB4_124 Depth=2
	v_add_u32_e32 v15, 7, v22
	v_cmp_lt_u64_e32 vcc, s[48:49], v[2:3]
	v_cndmask_b32_e32 v15, v21, v15, vcc
	v_cndmask_b32_e64 v21, 0, 1, vcc
	v_lshrrev_b64 v[2:3], v21, v[2:3]
; %bb.1037:                             ;   in Loop: Header=BB4_124 Depth=2
	s_andn2_saveexec_b64 s[22:23], s[22:23]
; %bb.1038:                             ;   in Loop: Header=BB4_124 Depth=2
	v_bfe_u32 v15, v2, 23, 1
; %bb.1039:                             ;   in Loop: Header=BB4_124 Depth=2
	s_or_b64 exec, exec, s[22:23]
	v_lshrrev_b64 v[2:3], 20, v[2:3]
	v_cmp_gt_i32_e32 vcc, 16, v15
	v_cndmask_b32_e32 v3, 0, v3, vcc
	v_cndmask_b32_e32 v2, 7, v2, vcc
	v_cmp_eq_u64_e64 s[22:23], 0, v[2:3]
	v_min_i32_e32 v3, 15, v15
	v_cmp_eq_u32_e32 vcc, 0, v15
	v_lshlrev_b32_e32 v3, 3, v3
	v_and_or_b32 v2, v2, 7, v3
	s_and_b64 s[22:23], vcc, s[22:23]
	v_cndmask_b32_e64 v2, v2, 0, s[22:23]
	v_or_b32_e32 v15, v2, v14
.LBB4_1040:                             ;   in Loop: Header=BB4_124 Depth=2
	s_or_b64 exec, exec, s[60:61]
.LBB4_1041:                             ;   in Loop: Header=BB4_124 Depth=2
	s_or_b64 exec, exec, s[58:59]
                                        ; implicit-def: $vgpr21
                                        ; implicit-def: $vgpr2_vgpr3
.LBB4_1042:                             ;   in Loop: Header=BB4_124 Depth=2
	s_andn2_saveexec_b64 s[22:23], s[56:57]
; %bb.1043:                             ;   in Loop: Header=BB4_124 Depth=2
	v_or_b32_sdwa v14, v21, s75 dst_sel:DWORD dst_unused:UNUSED_PAD src0_sel:BYTE_3 src1_sel:DWORD
	v_cmp_eq_u64_e32 vcc, 0, v[2:3]
	v_cndmask_b32_e32 v15, v14, v15, vcc
; %bb.1044:                             ;   in Loop: Header=BB4_124 Depth=2
	s_or_b64 exec, exec, s[22:23]
	v_lshrrev_b32_e32 v2, 16, v38
	v_cmp_ne_u16_sdwa vcc, v2, v39 src0_sel:BYTE_0 src1_sel:DWORD
	v_mov_b32_e32 v3, 0
	v_mov_b32_e32 v14, 0
	s_and_saveexec_b64 s[22:23], vcc
	s_cbranch_execz .LBB4_1050
; %bb.1045:                             ;   in Loop: Header=BB4_124 Depth=2
	v_cmp_ne_u16_sdwa vcc, v2, s76 src0_sel:BYTE_0 src1_sel:DWORD
	v_bfrev_b32_e32 v14, 1
	s_and_saveexec_b64 s[56:57], vcc
	s_cbranch_execz .LBB4_1049
; %bb.1046:                             ;   in Loop: Header=BB4_124 Depth=2
	v_bfe_u32 v21, v38, 16, 7
	v_cmp_ne_u32_e32 vcc, s75, v21
	v_mov_b32_e32 v14, 0x7f800001
	s_and_saveexec_b64 s[58:59], vcc
	s_cbranch_execz .LBB4_1048
; %bb.1047:                             ;   in Loop: Header=BB4_124 Depth=2
	v_and_b32_e32 v14, 7, v2
	v_ffbh_u32_e32 v22, v14
	v_min_u32_e32 v36, 32, v22
	v_subrev_u32_e32 v22, 28, v36
	v_lshlrev_b64 v[22:23], v22, v[2:3]
	v_lshrrev_b32_e32 v33, 3, v21
	v_sub_u32_e32 v23, 29, v36
	v_and_b32_e32 v22, 7, v22
	v_cmp_gt_u32_e32 vcc, 8, v21
	v_cndmask_b32_e32 v21, v33, v23, vcc
	v_cndmask_b32_e32 v14, v14, v22, vcc
	v_lshlrev_b32_e32 v2, 24, v2
	v_bfrev_b32_e32 v22, 60
	v_lshlrev_b32_e32 v14, 20, v14
	v_and_b32_e32 v2, 0x80000000, v2
	v_lshl_add_u32 v21, v21, 23, v22
	v_or3_b32 v14, v2, v21, v14
.LBB4_1048:                             ;   in Loop: Header=BB4_124 Depth=2
	s_or_b64 exec, exec, s[58:59]
.LBB4_1049:                             ;   in Loop: Header=BB4_124 Depth=2
	s_or_b64 exec, exec, s[56:57]
.LBB4_1050:                             ;   in Loop: Header=BB4_124 Depth=2
	s_or_b64 exec, exec, s[22:23]
	v_lshrrev_b32_e32 v2, 16, v17
	v_cmp_ne_u16_sdwa vcc, v2, v39 src0_sel:BYTE_0 src1_sel:DWORD
	s_and_saveexec_b64 s[22:23], vcc
	s_cbranch_execz .LBB4_1056
; %bb.1051:                             ;   in Loop: Header=BB4_124 Depth=2
	v_cmp_ne_u16_sdwa vcc, v2, s76 src0_sel:BYTE_0 src1_sel:DWORD
	v_bfrev_b32_e32 v3, 1
	s_and_saveexec_b64 s[56:57], vcc
	s_cbranch_execz .LBB4_1055
; %bb.1052:                             ;   in Loop: Header=BB4_124 Depth=2
	v_bfe_u32 v21, v17, 16, 7
	v_cmp_ne_u32_e32 vcc, s75, v21
	v_mov_b32_e32 v3, 0x7f800001
	s_and_saveexec_b64 s[58:59], vcc
	s_cbranch_execz .LBB4_1054
; %bb.1053:                             ;   in Loop: Header=BB4_124 Depth=2
	v_and_b32_e32 v22, 7, v2
	v_ffbh_u32_e32 v3, v22
	v_min_u32_e32 v33, 32, v3
	v_subrev_u32_e32 v3, 28, v33
	v_lshlrev_b64 v[2:3], v3, v[2:3]
	v_lshrrev_b32_e32 v23, 3, v21
	v_sub_u32_e32 v3, 29, v33
	v_and_b32_e32 v2, 7, v2
	v_cmp_gt_u32_e32 vcc, 8, v21
	v_cndmask_b32_e32 v3, v23, v3, vcc
	v_cndmask_b32_e32 v2, v22, v2, vcc
	v_lshlrev_b32_e32 v21, 8, v17
	v_bfrev_b32_e32 v22, 60
	v_lshlrev_b32_e32 v2, 20, v2
	v_and_b32_e32 v21, 0x80000000, v21
	v_lshl_add_u32 v3, v3, 23, v22
	v_or3_b32 v3, v21, v3, v2
.LBB4_1054:                             ;   in Loop: Header=BB4_124 Depth=2
	s_or_b64 exec, exec, s[58:59]
.LBB4_1055:                             ;   in Loop: Header=BB4_124 Depth=2
	s_or_b64 exec, exec, s[56:57]
.LBB4_1056:                             ;   in Loop: Header=BB4_124 Depth=2
	s_or_b64 exec, exec, s[22:23]
	v_add_f32_e32 v22, v14, v3
	v_and_b32_sdwa v14, v22, s76 dst_sel:DWORD dst_unused:UNUSED_PAD src0_sel:BYTE_3 src1_sel:DWORD
	v_and_b32_e32 v36, 0x7f800000, v22
	v_mov_b32_e32 v37, v39
	v_and_b32_e32 v2, 0x7fffff, v22
	v_mov_b32_e32 v3, v39
	v_or_b32_e32 v21, 0x7e, v14
	v_cmp_ne_u64_e32 vcc, s[42:43], v[36:37]
	s_and_saveexec_b64 s[22:23], vcc
	s_xor_b64 s[56:57], exec, s[22:23]
	s_cbranch_execz .LBB4_1066
; %bb.1057:                             ;   in Loop: Header=BB4_124 Depth=2
	v_and_b32_e32 v36, 0x7fffffff, v22
	v_mov_b32_e32 v37, v39
	v_cmp_gt_u64_e32 vcc, s[44:45], v[36:37]
	s_and_saveexec_b64 s[58:59], vcc
	s_cbranch_execz .LBB4_1065
; %bb.1058:                             ;   in Loop: Header=BB4_124 Depth=2
	v_cmp_ne_u32_e32 vcc, 0, v22
	v_mov_b32_e32 v21, 0
	s_and_saveexec_b64 s[60:61], vcc
	s_cbranch_execz .LBB4_1064
; %bb.1059:                             ;   in Loop: Header=BB4_124 Depth=2
	v_bfe_u32 v21, v22, 23, 8
	v_sub_u32_e32 v23, 0x79, v21
	v_cmp_gt_u32_e32 vcc, s77, v21
	v_add_u32_e32 v22, 0xffffff81, v21
	v_cndmask_b32_e32 v23, 0, v23, vcc
	v_cmp_eq_u32_e32 vcc, 0, v21
	v_mov_b32_e32 v21, 0xffffff82
	v_cndmask_b32_e32 v21, v22, v21, vcc
	v_mov_b32_e32 v22, 0x78
	v_cndmask_b32_e32 v48, v23, v22, vcc
	v_add_u32_e32 v22, 20, v48
	v_or_b32_e32 v33, 0x800000, v2
	v_lshlrev_b64 v[22:23], v22, -1
	v_cndmask_b32_e32 v2, v33, v2, vcc
	v_not_b32_e32 v22, v22
	v_and_b32_e32 v36, v2, v22
	v_add_u32_e32 v22, 19, v48
	v_lshrrev_b64 v[2:3], v48, v[2:3]
	v_not_b32_e32 v23, v23
	v_lshlrev_b64 v[50:51], v22, 1
	v_lshrrev_b32_e32 v22, 23, v2
	v_and_b32_e32 v37, 0, v23
	v_add3_u32 v23, v48, v21, v22
	v_bfe_u32 v21, v2, 20, 1
	v_add_u32_e32 v21, -1, v21
	v_cmp_eq_u64_e32 vcc, v[36:37], v[50:51]
	v_cndmask_b32_e32 v21, 0, v21, vcc
	v_add_u32_e32 v21, v21, v2
	v_and_b32_e32 v21, 0xfffff, v21
	v_add_co_u32_e32 v2, vcc, v21, v2
	v_add_u32_e32 v22, 6, v23
	v_addc_co_u32_e32 v3, vcc, 0, v3, vcc
	v_cmp_ne_u32_e32 vcc, 0, v22
                                        ; implicit-def: $vgpr21
	s_and_saveexec_b64 s[22:23], vcc
	s_xor_b64 s[22:23], exec, s[22:23]
; %bb.1060:                             ;   in Loop: Header=BB4_124 Depth=2
	v_add_u32_e32 v21, 7, v23
	v_cmp_lt_u64_e32 vcc, s[48:49], v[2:3]
	v_cndmask_b32_e32 v21, v22, v21, vcc
	v_cndmask_b32_e64 v22, 0, 1, vcc
	v_lshrrev_b64 v[2:3], v22, v[2:3]
; %bb.1061:                             ;   in Loop: Header=BB4_124 Depth=2
	s_andn2_saveexec_b64 s[22:23], s[22:23]
; %bb.1062:                             ;   in Loop: Header=BB4_124 Depth=2
	v_bfe_u32 v21, v2, 23, 1
; %bb.1063:                             ;   in Loop: Header=BB4_124 Depth=2
	s_or_b64 exec, exec, s[22:23]
	v_lshrrev_b64 v[2:3], 20, v[2:3]
	v_cmp_gt_i32_e32 vcc, 16, v21
	v_cndmask_b32_e32 v3, 0, v3, vcc
	v_cndmask_b32_e32 v2, 7, v2, vcc
	v_cmp_eq_u64_e64 s[22:23], 0, v[2:3]
	v_min_i32_e32 v3, 15, v21
	v_lshlrev_b32_e32 v3, 3, v3
	v_cmp_eq_u32_e32 vcc, 0, v21
	v_and_b32_e32 v3, 0xf8, v3
	v_and_or_b32 v2, v2, 7, v3
	s_and_b64 s[22:23], vcc, s[22:23]
	v_cndmask_b32_e64 v2, v2, 0, s[22:23]
	v_or_b32_e32 v21, v2, v14
.LBB4_1064:                             ;   in Loop: Header=BB4_124 Depth=2
	s_or_b64 exec, exec, s[60:61]
.LBB4_1065:                             ;   in Loop: Header=BB4_124 Depth=2
	s_or_b64 exec, exec, s[58:59]
                                        ; implicit-def: $vgpr22
                                        ; implicit-def: $vgpr2_vgpr3
.LBB4_1066:                             ;   in Loop: Header=BB4_124 Depth=2
	s_andn2_saveexec_b64 s[22:23], s[56:57]
; %bb.1067:                             ;   in Loop: Header=BB4_124 Depth=2
	v_or_b32_sdwa v14, v22, s75 dst_sel:DWORD dst_unused:UNUSED_PAD src0_sel:BYTE_3 src1_sel:DWORD
	v_cmp_eq_u64_e32 vcc, 0, v[2:3]
	v_cndmask_b32_e32 v21, v14, v21, vcc
; %bb.1068:                             ;   in Loop: Header=BB4_124 Depth=2
	s_or_b64 exec, exec, s[22:23]
	v_cmp_lt_u32_e32 vcc, s47, v38
	v_mov_b32_e32 v3, 0
	v_mov_b32_e32 v14, 0
	s_and_saveexec_b64 s[22:23], vcc
	s_cbranch_execz .LBB4_1074
; %bb.1069:                             ;   in Loop: Header=BB4_124 Depth=2
	v_lshrrev_b32_e32 v2, 24, v38
	v_cmp_ne_u32_sdwa vcc, v38, s76 src0_sel:BYTE_3 src1_sel:DWORD
	v_bfrev_b32_e32 v14, 1
	s_and_saveexec_b64 s[56:57], vcc
	s_cbranch_execz .LBB4_1073
; %bb.1070:                             ;   in Loop: Header=BB4_124 Depth=2
	v_bfe_u32 v22, v38, 24, 7
	v_cmp_ne_u32_e32 vcc, s75, v22
	v_mov_b32_e32 v14, 0x7f800001
	s_and_saveexec_b64 s[58:59], vcc
	s_cbranch_execz .LBB4_1072
; %bb.1071:                             ;   in Loop: Header=BB4_124 Depth=2
	v_and_b32_e32 v14, 7, v2
	v_ffbh_u32_e32 v33, v14
	v_min_u32_e32 v33, 32, v33
	v_subrev_u32_e32 v36, 28, v33
	v_lshlrev_b64 v[36:37], v36, v[2:3]
	v_lshrrev_b32_e32 v23, 3, v22
	v_sub_u32_e32 v2, 29, v33
	v_and_b32_e32 v33, 7, v36
	v_cmp_gt_u32_e32 vcc, 8, v22
	v_mov_b32_e32 v22, 24
	v_cndmask_b32_e32 v2, v23, v2, vcc
	v_cndmask_b32_e32 v14, v14, v33, vcc
	v_lshlrev_b32_sdwa v22, v22, v38 dst_sel:DWORD dst_unused:UNUSED_PAD src0_sel:DWORD src1_sel:BYTE_3
	v_bfrev_b32_e32 v23, 60
	v_lshlrev_b32_e32 v14, 20, v14
	v_and_b32_e32 v22, 0x80000000, v22
	v_lshl_add_u32 v2, v2, 23, v23
	v_or3_b32 v14, v22, v2, v14
.LBB4_1072:                             ;   in Loop: Header=BB4_124 Depth=2
	s_or_b64 exec, exec, s[58:59]
.LBB4_1073:                             ;   in Loop: Header=BB4_124 Depth=2
	s_or_b64 exec, exec, s[56:57]
.LBB4_1074:                             ;   in Loop: Header=BB4_124 Depth=2
	s_or_b64 exec, exec, s[22:23]
	v_cmp_lt_u64_e32 vcc, s[46:47], v[16:17]
	s_and_saveexec_b64 s[22:23], vcc
	s_cbranch_execz .LBB4_1080
; %bb.1075:                             ;   in Loop: Header=BB4_124 Depth=2
	v_lshrrev_b32_e32 v2, 24, v17
	v_cmp_ne_u32_e32 vcc, s76, v2
	v_bfrev_b32_e32 v3, 1
	s_and_saveexec_b64 s[56:57], vcc
	s_cbranch_execz .LBB4_1079
; %bb.1076:                             ;   in Loop: Header=BB4_124 Depth=2
	v_bfe_u32 v16, v17, 24, 7
	v_cmp_ne_u32_e32 vcc, s75, v16
	v_mov_b32_e32 v3, 0x7f800001
	s_and_saveexec_b64 s[58:59], vcc
	s_cbranch_execz .LBB4_1078
; %bb.1077:                             ;   in Loop: Header=BB4_124 Depth=2
	v_and_b32_e32 v3, 7, v2
	v_ffbh_u32_e32 v22, v3
	v_min_u32_e32 v33, 32, v22
	v_subrev_u32_e32 v22, 28, v33
	v_lshlrev_b64 v[22:23], v22, v[2:3]
	v_lshrrev_b32_e32 v17, 3, v16
	v_sub_u32_e32 v23, 29, v33
	v_and_b32_e32 v22, 7, v22
	v_cmp_gt_u32_e32 vcc, 8, v16
	v_cndmask_b32_e32 v16, v17, v23, vcc
	v_cndmask_b32_e32 v3, v3, v22, vcc
	v_lshlrev_b32_e32 v2, 24, v2
	v_bfrev_b32_e32 v17, 60
	v_lshlrev_b32_e32 v3, 20, v3
	v_and_b32_e32 v2, 0x80000000, v2
	v_lshl_add_u32 v16, v16, 23, v17
	v_or3_b32 v3, v2, v16, v3
.LBB4_1078:                             ;   in Loop: Header=BB4_124 Depth=2
	s_or_b64 exec, exec, s[58:59]
.LBB4_1079:                             ;   in Loop: Header=BB4_124 Depth=2
	s_or_b64 exec, exec, s[56:57]
.LBB4_1080:                             ;   in Loop: Header=BB4_124 Depth=2
	s_or_b64 exec, exec, s[22:23]
	v_add_f32_e32 v2, v14, v3
	v_and_b32_sdwa v14, v2, s76 dst_sel:DWORD dst_unused:UNUSED_PAD src0_sel:BYTE_3 src1_sel:DWORD
	v_and_b32_e32 v22, 0x7f800000, v2
	v_mov_b32_e32 v23, v39
	v_and_b32_e32 v38, 0x7fffff, v2
	v_or_b32_e32 v16, 0x7e, v14
	v_cmp_ne_u64_e32 vcc, s[42:43], v[22:23]
	s_and_saveexec_b64 s[22:23], vcc
	s_xor_b64 s[56:57], exec, s[22:23]
	s_cbranch_execz .LBB4_1090
; %bb.1081:                             ;   in Loop: Header=BB4_124 Depth=2
	v_and_b32_e32 v22, 0x7fffffff, v2
	v_mov_b32_e32 v23, v39
	v_cmp_gt_u64_e32 vcc, s[44:45], v[22:23]
	s_and_saveexec_b64 s[58:59], vcc
	s_cbranch_execz .LBB4_1089
; %bb.1082:                             ;   in Loop: Header=BB4_124 Depth=2
	v_cmp_ne_u32_e32 vcc, 0, v2
	v_mov_b32_e32 v16, 0
	s_and_saveexec_b64 s[60:61], vcc
	s_cbranch_execz .LBB4_1088
; %bb.1083:                             ;   in Loop: Header=BB4_124 Depth=2
	v_bfe_u32 v2, v2, 23, 8
	v_sub_u32_e32 v16, 0x79, v2
	v_cmp_gt_u32_e32 vcc, s77, v2
	v_add_u32_e32 v3, 0xffffff81, v2
	v_cndmask_b32_e32 v16, 0, v16, vcc
	v_cmp_eq_u32_e32 vcc, 0, v2
	v_mov_b32_e32 v2, 0xffffff82
	v_cndmask_b32_e32 v22, v3, v2, vcc
	v_mov_b32_e32 v2, 0x78
	v_or_b32_e32 v17, 0x800000, v38
	v_cndmask_b32_e32 v16, v16, v2, vcc
	v_cndmask_b32_e32 v38, v17, v38, vcc
	v_add_u32_e32 v2, 20, v16
	v_lshlrev_b64 v[2:3], v2, -1
	v_add_u32_e32 v17, 19, v16
	v_lshrrev_b64 v[50:51], v16, v[38:39]
	v_not_b32_e32 v3, v3
	v_not_b32_e32 v2, v2
	v_lshlrev_b64 v[36:37], v17, 1
	v_lshrrev_b32_e32 v17, 23, v50
	v_and_b32_e32 v3, 0, v3
	v_and_b32_e32 v2, v38, v2
	v_add3_u32 v22, v16, v22, v17
	v_bfe_u32 v16, v50, 20, 1
	v_add_u32_e32 v16, -1, v16
	v_cmp_eq_u64_e32 vcc, v[2:3], v[36:37]
	v_cndmask_b32_e32 v2, 0, v16, vcc
	v_add_u32_e32 v2, v2, v50
	v_and_b32_e32 v2, 0xfffff, v2
	v_add_co_u32_e32 v2, vcc, v2, v50
	v_add_u32_e32 v17, 6, v22
	v_addc_co_u32_e32 v3, vcc, 0, v51, vcc
	v_cmp_ne_u32_e32 vcc, 0, v17
                                        ; implicit-def: $vgpr16
	s_and_saveexec_b64 s[22:23], vcc
	s_xor_b64 s[22:23], exec, s[22:23]
; %bb.1084:                             ;   in Loop: Header=BB4_124 Depth=2
	v_add_u32_e32 v16, 7, v22
	v_cmp_lt_u64_e32 vcc, s[48:49], v[2:3]
	v_cndmask_b32_e32 v16, v17, v16, vcc
	v_cndmask_b32_e64 v17, 0, 1, vcc
	v_lshrrev_b64 v[2:3], v17, v[2:3]
; %bb.1085:                             ;   in Loop: Header=BB4_124 Depth=2
	s_andn2_saveexec_b64 s[22:23], s[22:23]
; %bb.1086:                             ;   in Loop: Header=BB4_124 Depth=2
	v_bfe_u32 v16, v2, 23, 1
; %bb.1087:                             ;   in Loop: Header=BB4_124 Depth=2
	s_or_b64 exec, exec, s[22:23]
	v_lshrrev_b64 v[2:3], 20, v[2:3]
	v_cmp_gt_i32_e32 vcc, 16, v16
	v_cndmask_b32_e32 v3, 0, v3, vcc
	v_cndmask_b32_e32 v2, 7, v2, vcc
	v_cmp_eq_u64_e64 s[22:23], 0, v[2:3]
	v_min_i32_e32 v3, 15, v16
	v_lshlrev_b32_e32 v3, 3, v3
	v_cmp_eq_u32_e32 vcc, 0, v16
	v_and_b32_e32 v3, 0xf8, v3
	v_and_or_b32 v2, v2, 7, v3
	s_and_b64 s[22:23], vcc, s[22:23]
	v_cndmask_b32_e64 v2, v2, 0, s[22:23]
	v_or_b32_e32 v16, v2, v14
.LBB4_1088:                             ;   in Loop: Header=BB4_124 Depth=2
	s_or_b64 exec, exec, s[60:61]
.LBB4_1089:                             ;   in Loop: Header=BB4_124 Depth=2
	s_or_b64 exec, exec, s[58:59]
                                        ; implicit-def: $vgpr2
.LBB4_1090:                             ;   in Loop: Header=BB4_124 Depth=2
	s_andn2_saveexec_b64 s[22:23], s[56:57]
; %bb.1091:                             ;   in Loop: Header=BB4_124 Depth=2
	v_or_b32_sdwa v2, v2, s75 dst_sel:DWORD dst_unused:UNUSED_PAD src0_sel:BYTE_3 src1_sel:DWORD
	v_cmp_eq_u64_e32 vcc, 0, v[38:39]
	v_cndmask_b32_e32 v16, v2, v16, vcc
; %bb.1092:                             ;   in Loop: Header=BB4_124 Depth=2
	s_or_b64 exec, exec, s[22:23]
	v_lshlrev_b32_e32 v14, 8, v35
	v_cmp_ne_u16_sdwa vcc, v31, v39 src0_sel:BYTE_0 src1_sel:DWORD
	v_mov_b32_e32 v2, 0
	v_mov_b32_e32 v3, 0
	s_and_saveexec_b64 s[22:23], vcc
	s_cbranch_execz .LBB4_1098
; %bb.1093:                             ;   in Loop: Header=BB4_124 Depth=2
	v_cmp_ne_u16_sdwa vcc, v31, s76 src0_sel:BYTE_0 src1_sel:DWORD
	v_bfrev_b32_e32 v3, 1
	s_and_saveexec_b64 s[56:57], vcc
	s_cbranch_execz .LBB4_1097
; %bb.1094:                             ;   in Loop: Header=BB4_124 Depth=2
	v_and_b32_e32 v17, 0x7f, v31
	v_cmp_ne_u32_e32 vcc, s75, v17
	v_mov_b32_e32 v3, 0x7f800001
	s_and_saveexec_b64 s[58:59], vcc
	s_cbranch_execz .LBB4_1096
; %bb.1095:                             ;   in Loop: Header=BB4_124 Depth=2
	v_and_b32_e32 v3, 7, v31
	v_ffbh_u32_e32 v3, v3
	v_min_u32_e32 v3, 32, v3
	v_subrev_u32_e32 v33, 28, v3
	v_cmp_gt_u32_e32 vcc, 8, v17
	v_lshrrev_b32_e32 v23, 3, v17
	v_perm_b32 v22, v14, v31, s78
	v_sub_u32_e32 v3, 29, v3
	v_cndmask_b32_e32 v17, 0, v33, vcc
	v_cndmask_b32_e32 v3, v23, v3, vcc
	v_lshlrev_b64 v[22:23], v17, v[22:23]
	v_lshlrev_b32_e32 v17, 20, v22
	v_lshlrev_b32_e32 v22, 24, v31
	v_bfrev_b32_e32 v23, 60
	v_and_b32_e32 v17, 0x700000, v17
	v_and_b32_e32 v22, 0x80000000, v22
	v_lshl_add_u32 v3, v3, 23, v23
	v_or3_b32 v3, v22, v3, v17
.LBB4_1096:                             ;   in Loop: Header=BB4_124 Depth=2
	s_or_b64 exec, exec, s[58:59]
.LBB4_1097:                             ;   in Loop: Header=BB4_124 Depth=2
	s_or_b64 exec, exec, s[56:57]
.LBB4_1098:                             ;   in Loop: Header=BB4_124 Depth=2
	s_or_b64 exec, exec, s[22:23]
	s_waitcnt vmcnt(0)
	v_cmp_ne_u16_sdwa vcc, v10, v39 src0_sel:BYTE_0 src1_sel:DWORD
	s_and_saveexec_b64 s[22:23], vcc
	s_cbranch_execz .LBB4_1104
; %bb.1099:                             ;   in Loop: Header=BB4_124 Depth=2
	v_cmp_ne_u16_sdwa vcc, v10, s76 src0_sel:BYTE_0 src1_sel:DWORD
	v_bfrev_b32_e32 v2, 1
	s_and_saveexec_b64 s[56:57], vcc
	s_cbranch_execz .LBB4_1103
; %bb.1100:                             ;   in Loop: Header=BB4_124 Depth=2
	v_and_b32_e32 v17, 0x7f, v10
	v_cmp_ne_u32_e32 vcc, s75, v17
	v_mov_b32_e32 v2, 0x7f800001
	s_and_saveexec_b64 s[58:59], vcc
	s_cbranch_execz .LBB4_1102
; %bb.1101:                             ;   in Loop: Header=BB4_124 Depth=2
	v_and_b32_e32 v2, 7, v10
	v_ffbh_u32_e32 v2, v2
	v_min_u32_e32 v2, 32, v2
	v_subrev_u32_e32 v23, 28, v2
	v_cmp_gt_u32_e32 vcc, 8, v17
	v_lshrrev_b32_e32 v22, 3, v17
	v_sub_u32_e32 v2, 29, v2
	v_cndmask_b32_e32 v17, 0, v23, vcc
	v_cndmask_b32_e32 v2, v22, v2, vcc
	v_lshlrev_b64 v[22:23], v17, v[10:11]
	v_lshlrev_b32_e32 v17, 20, v22
	v_lshlrev_b32_e32 v22, 24, v10
	v_bfrev_b32_e32 v23, 60
	v_and_b32_e32 v17, 0x700000, v17
	v_and_b32_e32 v22, 0x80000000, v22
	v_lshl_add_u32 v2, v2, 23, v23
	v_or3_b32 v2, v22, v2, v17
.LBB4_1102:                             ;   in Loop: Header=BB4_124 Depth=2
	s_or_b64 exec, exec, s[58:59]
.LBB4_1103:                             ;   in Loop: Header=BB4_124 Depth=2
	s_or_b64 exec, exec, s[56:57]
.LBB4_1104:                             ;   in Loop: Header=BB4_124 Depth=2
	s_or_b64 exec, exec, s[22:23]
	v_add_f32_e32 v2, v3, v2
	v_and_b32_sdwa v22, v2, s76 dst_sel:DWORD dst_unused:UNUSED_PAD src0_sel:BYTE_3 src1_sel:DWORD
	v_and_b32_e32 v36, 0x7f800000, v2
	v_mov_b32_e32 v37, v39
	v_and_b32_e32 v38, 0x7fffff, v2
	v_or_b32_e32 v17, 0x7e, v22
	v_cmp_ne_u64_e32 vcc, s[42:43], v[36:37]
	s_and_saveexec_b64 s[22:23], vcc
	s_xor_b64 s[56:57], exec, s[22:23]
	s_cbranch_execz .LBB4_1114
; %bb.1105:                             ;   in Loop: Header=BB4_124 Depth=2
	v_and_b32_e32 v36, 0x7fffffff, v2
	v_mov_b32_e32 v37, v39
	v_cmp_gt_u64_e32 vcc, s[44:45], v[36:37]
	s_and_saveexec_b64 s[58:59], vcc
	s_cbranch_execz .LBB4_1113
; %bb.1106:                             ;   in Loop: Header=BB4_124 Depth=2
	v_cmp_ne_u32_e32 vcc, 0, v2
	v_mov_b32_e32 v17, 0
	s_and_saveexec_b64 s[60:61], vcc
	s_cbranch_execz .LBB4_1112
; %bb.1107:                             ;   in Loop: Header=BB4_124 Depth=2
	v_bfe_u32 v2, v2, 23, 8
	v_sub_u32_e32 v17, 0x79, v2
	v_cmp_gt_u32_e32 vcc, s77, v2
	v_add_u32_e32 v3, 0xffffff81, v2
	v_cndmask_b32_e32 v17, 0, v17, vcc
	v_cmp_eq_u32_e32 vcc, 0, v2
	v_mov_b32_e32 v2, 0xffffff82
	v_cndmask_b32_e32 v31, v3, v2, vcc
	v_mov_b32_e32 v2, 0x78
	v_or_b32_e32 v23, 0x800000, v38
	v_cndmask_b32_e32 v17, v17, v2, vcc
	v_cndmask_b32_e32 v38, v23, v38, vcc
	v_add_u32_e32 v2, 20, v17
	v_lshlrev_b64 v[2:3], v2, -1
	v_add_u32_e32 v23, 19, v17
	v_lshrrev_b64 v[50:51], v17, v[38:39]
	v_not_b32_e32 v3, v3
	v_not_b32_e32 v2, v2
	v_lshlrev_b64 v[36:37], v23, 1
	v_lshrrev_b32_e32 v23, 23, v50
	v_and_b32_e32 v3, 0, v3
	v_and_b32_e32 v2, v38, v2
	v_add3_u32 v31, v17, v31, v23
	v_bfe_u32 v17, v50, 20, 1
	v_add_u32_e32 v17, -1, v17
	v_cmp_eq_u64_e32 vcc, v[2:3], v[36:37]
	v_cndmask_b32_e32 v2, 0, v17, vcc
	v_add_u32_e32 v2, v2, v50
	v_and_b32_e32 v2, 0xfffff, v2
	v_add_co_u32_e32 v2, vcc, v2, v50
	v_add_u32_e32 v23, 6, v31
	v_addc_co_u32_e32 v3, vcc, 0, v51, vcc
	v_cmp_ne_u32_e32 vcc, 0, v23
                                        ; implicit-def: $vgpr17
	s_and_saveexec_b64 s[22:23], vcc
	s_xor_b64 s[22:23], exec, s[22:23]
; %bb.1108:                             ;   in Loop: Header=BB4_124 Depth=2
	v_add_u32_e32 v17, 7, v31
	v_cmp_lt_u64_e32 vcc, s[48:49], v[2:3]
	v_cndmask_b32_e32 v17, v23, v17, vcc
	v_cndmask_b32_e64 v23, 0, 1, vcc
	v_lshrrev_b64 v[2:3], v23, v[2:3]
; %bb.1109:                             ;   in Loop: Header=BB4_124 Depth=2
	s_andn2_saveexec_b64 s[22:23], s[22:23]
; %bb.1110:                             ;   in Loop: Header=BB4_124 Depth=2
	v_bfe_u32 v17, v2, 23, 1
; %bb.1111:                             ;   in Loop: Header=BB4_124 Depth=2
	s_or_b64 exec, exec, s[22:23]
	v_lshrrev_b64 v[2:3], 20, v[2:3]
	v_cmp_gt_i32_e32 vcc, 16, v17
	v_cndmask_b32_e32 v3, 0, v3, vcc
	v_cndmask_b32_e32 v2, 7, v2, vcc
	v_cmp_eq_u64_e64 s[22:23], 0, v[2:3]
	v_min_i32_e32 v3, 15, v17
	v_cmp_eq_u32_e32 vcc, 0, v17
	v_lshlrev_b32_e32 v3, 3, v3
	v_and_or_b32 v2, v2, 7, v3
	s_and_b64 s[22:23], vcc, s[22:23]
	v_cndmask_b32_e64 v2, v2, 0, s[22:23]
	v_or_b32_e32 v17, v2, v22
.LBB4_1112:                             ;   in Loop: Header=BB4_124 Depth=2
	s_or_b64 exec, exec, s[60:61]
.LBB4_1113:                             ;   in Loop: Header=BB4_124 Depth=2
	s_or_b64 exec, exec, s[58:59]
                                        ; implicit-def: $vgpr2
.LBB4_1114:                             ;   in Loop: Header=BB4_124 Depth=2
	s_andn2_saveexec_b64 s[22:23], s[56:57]
; %bb.1115:                             ;   in Loop: Header=BB4_124 Depth=2
	v_or_b32_sdwa v2, v2, s75 dst_sel:DWORD dst_unused:UNUSED_PAD src0_sel:BYTE_3 src1_sel:DWORD
	v_cmp_eq_u64_e32 vcc, 0, v[38:39]
	v_cndmask_b32_e32 v17, v2, v17, vcc
; %bb.1116:                             ;   in Loop: Header=BB4_124 Depth=2
	s_or_b64 exec, exec, s[22:23]
	v_lshrrev_b16_e32 v2, 8, v14
	v_cmp_ne_u16_e32 vcc, 0, v2
	v_mov_b32_e32 v3, 0
	v_mov_b32_e32 v22, 0
	s_and_saveexec_b64 s[22:23], vcc
	s_cbranch_execz .LBB4_1122
; %bb.1117:                             ;   in Loop: Header=BB4_124 Depth=2
	v_cmp_ne_u16_e32 vcc, s76, v2
	v_bfrev_b32_e32 v22, 1
	s_and_saveexec_b64 s[56:57], vcc
	s_cbranch_execz .LBB4_1121
; %bb.1118:                             ;   in Loop: Header=BB4_124 Depth=2
	v_and_b32_e32 v23, 0x7f, v2
	v_cmp_ne_u32_e32 vcc, s75, v23
	v_mov_b32_e32 v22, 0x7f800001
	s_and_saveexec_b64 s[58:59], vcc
	s_cbranch_execz .LBB4_1120
; %bb.1119:                             ;   in Loop: Header=BB4_124 Depth=2
	v_and_b32_e32 v22, 7, v2
	v_ffbh_u32_e32 v33, v22
	v_min_u32_e32 v33, 32, v33
	v_subrev_u32_e32 v35, 28, v33
	v_lshlrev_b64 v[36:37], v35, v[2:3]
	v_lshrrev_b32_e32 v31, 3, v23
	v_sub_u32_e32 v2, 29, v33
	v_and_b32_e32 v33, 7, v36
	v_cmp_gt_u32_e32 vcc, 8, v23
	v_cndmask_b32_e32 v2, v31, v2, vcc
	v_cndmask_b32_e32 v22, v22, v33, vcc
	v_lshlrev_b32_e32 v14, 16, v14
	v_bfrev_b32_e32 v23, 60
	v_lshlrev_b32_e32 v22, 20, v22
	v_and_b32_e32 v14, 0x80000000, v14
	v_lshl_add_u32 v2, v2, 23, v23
	v_or3_b32 v22, v14, v2, v22
.LBB4_1120:                             ;   in Loop: Header=BB4_124 Depth=2
	s_or_b64 exec, exec, s[58:59]
.LBB4_1121:                             ;   in Loop: Header=BB4_124 Depth=2
	s_or_b64 exec, exec, s[56:57]
.LBB4_1122:                             ;   in Loop: Header=BB4_124 Depth=2
	s_or_b64 exec, exec, s[22:23]
	v_lshrrev_b16_e32 v2, 8, v10
	v_cmp_ne_u16_e32 vcc, 0, v2
	s_and_saveexec_b64 s[22:23], vcc
	s_cbranch_execz .LBB4_1128
; %bb.1123:                             ;   in Loop: Header=BB4_124 Depth=2
	v_cmp_ne_u16_e32 vcc, s76, v2
	v_bfrev_b32_e32 v3, 1
	s_and_saveexec_b64 s[56:57], vcc
	s_cbranch_execz .LBB4_1127
; %bb.1124:                             ;   in Loop: Header=BB4_124 Depth=2
	v_and_b32_e32 v14, 0x7f, v2
	v_cmp_ne_u32_e32 vcc, s75, v14
	v_mov_b32_e32 v3, 0x7f800001
	s_and_saveexec_b64 s[58:59], vcc
	s_cbranch_execz .LBB4_1126
; %bb.1125:                             ;   in Loop: Header=BB4_124 Depth=2
	v_and_b32_e32 v23, 7, v2
	v_ffbh_u32_e32 v3, v23
	v_min_u32_e32 v33, 32, v3
	v_subrev_u32_e32 v3, 28, v33
	v_lshlrev_b64 v[2:3], v3, v[2:3]
	v_lshrrev_b32_e32 v31, 3, v14
	v_sub_u32_e32 v3, 29, v33
	v_and_b32_e32 v2, 7, v2
	v_cmp_gt_u32_e32 vcc, 8, v14
	v_cndmask_b32_e32 v3, v31, v3, vcc
	v_cndmask_b32_e32 v2, v23, v2, vcc
	v_lshlrev_b32_e32 v14, 16, v10
	v_bfrev_b32_e32 v23, 60
	v_lshlrev_b32_e32 v2, 20, v2
	v_and_b32_e32 v14, 0x80000000, v14
	v_lshl_add_u32 v3, v3, 23, v23
	v_or3_b32 v3, v14, v3, v2
.LBB4_1126:                             ;   in Loop: Header=BB4_124 Depth=2
	s_or_b64 exec, exec, s[58:59]
.LBB4_1127:                             ;   in Loop: Header=BB4_124 Depth=2
	s_or_b64 exec, exec, s[56:57]
.LBB4_1128:                             ;   in Loop: Header=BB4_124 Depth=2
	s_or_b64 exec, exec, s[22:23]
	v_add_f32_e32 v2, v22, v3
	v_and_b32_sdwa v14, v2, s76 dst_sel:DWORD dst_unused:UNUSED_PAD src0_sel:BYTE_3 src1_sel:DWORD
	v_and_b32_e32 v36, 0x7f800000, v2
	v_mov_b32_e32 v37, v39
	v_and_b32_e32 v38, 0x7fffff, v2
	v_or_b32_e32 v22, 0x7e, v14
	v_cmp_ne_u64_e32 vcc, s[42:43], v[36:37]
	s_and_saveexec_b64 s[22:23], vcc
	s_xor_b64 s[56:57], exec, s[22:23]
	s_cbranch_execz .LBB4_1138
; %bb.1129:                             ;   in Loop: Header=BB4_124 Depth=2
	v_and_b32_e32 v36, 0x7fffffff, v2
	v_mov_b32_e32 v37, v39
	v_cmp_gt_u64_e32 vcc, s[44:45], v[36:37]
	s_and_saveexec_b64 s[58:59], vcc
	s_cbranch_execz .LBB4_1137
; %bb.1130:                             ;   in Loop: Header=BB4_124 Depth=2
	v_cmp_ne_u32_e32 vcc, 0, v2
	v_mov_b32_e32 v22, 0
	s_and_saveexec_b64 s[60:61], vcc
	s_cbranch_execz .LBB4_1136
; %bb.1131:                             ;   in Loop: Header=BB4_124 Depth=2
	v_bfe_u32 v2, v2, 23, 8
	v_sub_u32_e32 v22, 0x79, v2
	v_cmp_gt_u32_e32 vcc, s77, v2
	v_add_u32_e32 v3, 0xffffff81, v2
	v_cndmask_b32_e32 v22, 0, v22, vcc
	v_cmp_eq_u32_e32 vcc, 0, v2
	v_mov_b32_e32 v2, 0xffffff82
	v_cndmask_b32_e32 v31, v3, v2, vcc
	v_mov_b32_e32 v2, 0x78
	v_or_b32_e32 v23, 0x800000, v38
	v_cndmask_b32_e32 v22, v22, v2, vcc
	v_cndmask_b32_e32 v38, v23, v38, vcc
	v_add_u32_e32 v2, 20, v22
	v_lshlrev_b64 v[2:3], v2, -1
	v_add_u32_e32 v23, 19, v22
	v_lshrrev_b64 v[50:51], v22, v[38:39]
	v_not_b32_e32 v3, v3
	v_not_b32_e32 v2, v2
	v_lshlrev_b64 v[36:37], v23, 1
	v_lshrrev_b32_e32 v23, 23, v50
	v_and_b32_e32 v3, 0, v3
	v_and_b32_e32 v2, v38, v2
	v_add3_u32 v31, v22, v31, v23
	v_bfe_u32 v22, v50, 20, 1
	v_add_u32_e32 v22, -1, v22
	v_cmp_eq_u64_e32 vcc, v[2:3], v[36:37]
	v_cndmask_b32_e32 v2, 0, v22, vcc
	v_add_u32_e32 v2, v2, v50
	v_and_b32_e32 v2, 0xfffff, v2
	v_add_co_u32_e32 v2, vcc, v2, v50
	v_add_u32_e32 v23, 6, v31
	v_addc_co_u32_e32 v3, vcc, 0, v51, vcc
	v_cmp_ne_u32_e32 vcc, 0, v23
                                        ; implicit-def: $vgpr22
	s_and_saveexec_b64 s[22:23], vcc
	s_xor_b64 s[22:23], exec, s[22:23]
; %bb.1132:                             ;   in Loop: Header=BB4_124 Depth=2
	v_add_u32_e32 v22, 7, v31
	v_cmp_lt_u64_e32 vcc, s[48:49], v[2:3]
	v_cndmask_b32_e32 v22, v23, v22, vcc
	v_cndmask_b32_e64 v23, 0, 1, vcc
	v_lshrrev_b64 v[2:3], v23, v[2:3]
; %bb.1133:                             ;   in Loop: Header=BB4_124 Depth=2
	s_andn2_saveexec_b64 s[22:23], s[22:23]
; %bb.1134:                             ;   in Loop: Header=BB4_124 Depth=2
	v_bfe_u32 v22, v2, 23, 1
; %bb.1135:                             ;   in Loop: Header=BB4_124 Depth=2
	s_or_b64 exec, exec, s[22:23]
	v_lshrrev_b64 v[2:3], 20, v[2:3]
	v_cmp_gt_i32_e32 vcc, 16, v22
	v_cndmask_b32_e32 v3, 0, v3, vcc
	v_cndmask_b32_e32 v2, 7, v2, vcc
	v_cmp_eq_u64_e64 s[22:23], 0, v[2:3]
	v_min_i32_e32 v3, 15, v22
	v_cmp_eq_u32_e32 vcc, 0, v22
	v_lshlrev_b32_e32 v3, 3, v3
	v_and_or_b32 v2, v2, 7, v3
	s_and_b64 s[22:23], vcc, s[22:23]
	v_cndmask_b32_e64 v2, v2, 0, s[22:23]
	v_or_b32_e32 v22, v2, v14
.LBB4_1136:                             ;   in Loop: Header=BB4_124 Depth=2
	s_or_b64 exec, exec, s[60:61]
.LBB4_1137:                             ;   in Loop: Header=BB4_124 Depth=2
	s_or_b64 exec, exec, s[58:59]
                                        ; implicit-def: $vgpr2
.LBB4_1138:                             ;   in Loop: Header=BB4_124 Depth=2
	s_andn2_saveexec_b64 s[22:23], s[56:57]
; %bb.1139:                             ;   in Loop: Header=BB4_124 Depth=2
	v_or_b32_sdwa v2, v2, s75 dst_sel:DWORD dst_unused:UNUSED_PAD src0_sel:BYTE_3 src1_sel:DWORD
	v_cmp_eq_u64_e32 vcc, 0, v[38:39]
	v_cndmask_b32_e32 v22, v2, v22, vcc
; %bb.1140:                             ;   in Loop: Header=BB4_124 Depth=2
	s_or_b64 exec, exec, s[22:23]
	v_cmp_ne_u16_sdwa vcc, v60, v39 src0_sel:BYTE_0 src1_sel:DWORD
	v_mov_b32_e32 v3, 0
	v_mov_b32_e32 v14, 0
	s_and_saveexec_b64 s[22:23], vcc
	s_cbranch_execz .LBB4_1146
; %bb.1141:                             ;   in Loop: Header=BB4_124 Depth=2
	v_cmp_ne_u16_sdwa vcc, v60, s76 src0_sel:BYTE_0 src1_sel:DWORD
	v_bfrev_b32_e32 v14, 1
	s_and_saveexec_b64 s[56:57], vcc
	s_cbranch_execz .LBB4_1145
; %bb.1142:                             ;   in Loop: Header=BB4_124 Depth=2
	v_and_b32_e32 v2, 0x7f, v60
	v_cmp_ne_u32_e32 vcc, s75, v2
	v_mov_b32_e32 v14, 0x7f800001
	s_and_saveexec_b64 s[58:59], vcc
	s_cbranch_execz .LBB4_1144
; %bb.1143:                             ;   in Loop: Header=BB4_124 Depth=2
	v_and_b32_e32 v14, 7, v60
	v_ffbh_u32_e32 v31, v14
	v_min_u32_e32 v31, 32, v31
	v_subrev_u32_e32 v33, 28, v31
	v_lshlrev_b64 v[36:37], v33, v[60:61]
	v_lshrrev_b32_e32 v23, 3, v2
	v_sub_u32_e32 v31, 29, v31
	v_and_b32_e32 v33, 7, v36
	v_cmp_gt_u32_e32 vcc, 8, v2
	v_cndmask_b32_e32 v2, v23, v31, vcc
	v_cndmask_b32_e32 v14, v14, v33, vcc
	v_lshlrev_b32_e32 v23, 24, v60
	v_bfrev_b32_e32 v31, 60
	v_lshlrev_b32_e32 v14, 20, v14
	v_and_b32_e32 v23, 0x80000000, v23
	v_lshl_add_u32 v2, v2, 23, v31
	v_or3_b32 v14, v23, v2, v14
.LBB4_1144:                             ;   in Loop: Header=BB4_124 Depth=2
	s_or_b64 exec, exec, s[58:59]
.LBB4_1145:                             ;   in Loop: Header=BB4_124 Depth=2
	s_or_b64 exec, exec, s[56:57]
.LBB4_1146:                             ;   in Loop: Header=BB4_124 Depth=2
	s_or_b64 exec, exec, s[22:23]
	v_lshrrev_b32_e32 v2, 16, v10
	v_cmp_ne_u16_sdwa vcc, v2, v39 src0_sel:BYTE_0 src1_sel:DWORD
	s_and_saveexec_b64 s[22:23], vcc
	s_cbranch_execz .LBB4_1152
; %bb.1147:                             ;   in Loop: Header=BB4_124 Depth=2
	v_cmp_ne_u16_sdwa vcc, v2, s76 src0_sel:BYTE_0 src1_sel:DWORD
	v_bfrev_b32_e32 v3, 1
	s_and_saveexec_b64 s[56:57], vcc
	s_cbranch_execz .LBB4_1151
; %bb.1148:                             ;   in Loop: Header=BB4_124 Depth=2
	v_bfe_u32 v23, v10, 16, 7
	v_cmp_ne_u32_e32 vcc, s75, v23
	v_mov_b32_e32 v3, 0x7f800001
	s_and_saveexec_b64 s[58:59], vcc
	s_cbranch_execz .LBB4_1150
; %bb.1149:                             ;   in Loop: Header=BB4_124 Depth=2
	v_and_b32_e32 v31, 7, v2
	v_ffbh_u32_e32 v3, v31
	v_min_u32_e32 v35, 32, v3
	v_subrev_u32_e32 v3, 28, v35
	v_lshlrev_b64 v[2:3], v3, v[2:3]
	v_lshrrev_b32_e32 v33, 3, v23
	v_sub_u32_e32 v3, 29, v35
	v_and_b32_e32 v2, 7, v2
	v_cmp_gt_u32_e32 vcc, 8, v23
	v_cndmask_b32_e32 v3, v33, v3, vcc
	v_cndmask_b32_e32 v2, v31, v2, vcc
	v_lshlrev_b32_e32 v23, 8, v10
	v_bfrev_b32_e32 v31, 60
	v_lshlrev_b32_e32 v2, 20, v2
	v_and_b32_e32 v23, 0x80000000, v23
	v_lshl_add_u32 v3, v3, 23, v31
	v_or3_b32 v3, v23, v3, v2
.LBB4_1150:                             ;   in Loop: Header=BB4_124 Depth=2
	s_or_b64 exec, exec, s[58:59]
.LBB4_1151:                             ;   in Loop: Header=BB4_124 Depth=2
	s_or_b64 exec, exec, s[56:57]
.LBB4_1152:                             ;   in Loop: Header=BB4_124 Depth=2
	s_or_b64 exec, exec, s[22:23]
	v_add_f32_e32 v2, v14, v3
	v_and_b32_sdwa v14, v2, s76 dst_sel:DWORD dst_unused:UNUSED_PAD src0_sel:BYTE_3 src1_sel:DWORD
	v_and_b32_e32 v36, 0x7f800000, v2
	v_mov_b32_e32 v37, v39
	v_and_b32_e32 v38, 0x7fffff, v2
	v_or_b32_e32 v23, 0x7e, v14
	v_cmp_ne_u64_e32 vcc, s[42:43], v[36:37]
	s_and_saveexec_b64 s[22:23], vcc
	s_xor_b64 s[56:57], exec, s[22:23]
	s_cbranch_execz .LBB4_1162
; %bb.1153:                             ;   in Loop: Header=BB4_124 Depth=2
	v_and_b32_e32 v36, 0x7fffffff, v2
	v_mov_b32_e32 v37, v39
	v_cmp_gt_u64_e32 vcc, s[44:45], v[36:37]
	s_and_saveexec_b64 s[58:59], vcc
	s_cbranch_execz .LBB4_1161
; %bb.1154:                             ;   in Loop: Header=BB4_124 Depth=2
	v_cmp_ne_u32_e32 vcc, 0, v2
	v_mov_b32_e32 v23, 0
	s_and_saveexec_b64 s[60:61], vcc
	s_cbranch_execz .LBB4_1160
; %bb.1155:                             ;   in Loop: Header=BB4_124 Depth=2
	v_bfe_u32 v2, v2, 23, 8
	v_sub_u32_e32 v23, 0x79, v2
	v_cmp_gt_u32_e32 vcc, s77, v2
	v_add_u32_e32 v3, 0xffffff81, v2
	v_cndmask_b32_e32 v23, 0, v23, vcc
	v_cmp_eq_u32_e32 vcc, 0, v2
	v_mov_b32_e32 v2, 0xffffff82
	v_cndmask_b32_e32 v33, v3, v2, vcc
	v_mov_b32_e32 v2, 0x78
	v_or_b32_e32 v31, 0x800000, v38
	v_cndmask_b32_e32 v23, v23, v2, vcc
	v_cndmask_b32_e32 v38, v31, v38, vcc
	v_add_u32_e32 v2, 20, v23
	v_lshlrev_b64 v[2:3], v2, -1
	v_add_u32_e32 v31, 19, v23
	v_lshrrev_b64 v[50:51], v23, v[38:39]
	v_not_b32_e32 v3, v3
	v_not_b32_e32 v2, v2
	v_lshlrev_b64 v[36:37], v31, 1
	v_lshrrev_b32_e32 v31, 23, v50
	v_and_b32_e32 v3, 0, v3
	v_and_b32_e32 v2, v38, v2
	v_add3_u32 v33, v23, v33, v31
	v_bfe_u32 v23, v50, 20, 1
	v_add_u32_e32 v23, -1, v23
	v_cmp_eq_u64_e32 vcc, v[2:3], v[36:37]
	v_cndmask_b32_e32 v2, 0, v23, vcc
	v_add_u32_e32 v2, v2, v50
	v_and_b32_e32 v2, 0xfffff, v2
	v_add_co_u32_e32 v2, vcc, v2, v50
	v_add_u32_e32 v31, 6, v33
	v_addc_co_u32_e32 v3, vcc, 0, v51, vcc
	v_cmp_ne_u32_e32 vcc, 0, v31
                                        ; implicit-def: $vgpr23
	s_and_saveexec_b64 s[22:23], vcc
	s_xor_b64 s[22:23], exec, s[22:23]
; %bb.1156:                             ;   in Loop: Header=BB4_124 Depth=2
	v_add_u32_e32 v23, 7, v33
	v_cmp_lt_u64_e32 vcc, s[48:49], v[2:3]
	v_cndmask_b32_e32 v23, v31, v23, vcc
	v_cndmask_b32_e64 v31, 0, 1, vcc
	v_lshrrev_b64 v[2:3], v31, v[2:3]
; %bb.1157:                             ;   in Loop: Header=BB4_124 Depth=2
	s_andn2_saveexec_b64 s[22:23], s[22:23]
; %bb.1158:                             ;   in Loop: Header=BB4_124 Depth=2
	v_bfe_u32 v23, v2, 23, 1
; %bb.1159:                             ;   in Loop: Header=BB4_124 Depth=2
	s_or_b64 exec, exec, s[22:23]
	v_lshrrev_b64 v[2:3], 20, v[2:3]
	v_cmp_gt_i32_e32 vcc, 16, v23
	v_cndmask_b32_e32 v3, 0, v3, vcc
	v_cndmask_b32_e32 v2, 7, v2, vcc
	v_cmp_eq_u64_e64 s[22:23], 0, v[2:3]
	v_min_i32_e32 v3, 15, v23
	v_cmp_eq_u32_e32 vcc, 0, v23
	v_lshlrev_b32_e32 v3, 3, v3
	v_and_or_b32 v2, v2, 7, v3
	s_and_b64 s[22:23], vcc, s[22:23]
	v_cndmask_b32_e64 v2, v2, 0, s[22:23]
	v_or_b32_e32 v23, v2, v14
.LBB4_1160:                             ;   in Loop: Header=BB4_124 Depth=2
	s_or_b64 exec, exec, s[60:61]
.LBB4_1161:                             ;   in Loop: Header=BB4_124 Depth=2
	s_or_b64 exec, exec, s[58:59]
                                        ; implicit-def: $vgpr2
.LBB4_1162:                             ;   in Loop: Header=BB4_124 Depth=2
	s_andn2_saveexec_b64 s[22:23], s[56:57]
; %bb.1163:                             ;   in Loop: Header=BB4_124 Depth=2
	v_or_b32_sdwa v2, v2, s75 dst_sel:DWORD dst_unused:UNUSED_PAD src0_sel:BYTE_3 src1_sel:DWORD
	v_cmp_eq_u64_e32 vcc, 0, v[38:39]
	v_cndmask_b32_e32 v23, v2, v23, vcc
; %bb.1164:                             ;   in Loop: Header=BB4_124 Depth=2
	s_or_b64 exec, exec, s[22:23]
	v_lshlrev_b32_e32 v2, 8, v49
	v_and_b32_e32 v2, 0xff00, v2
	v_cmp_ne_u32_e32 vcc, 0, v2
	v_mov_b32_e32 v3, 0
	v_mov_b32_e32 v14, 0
	s_and_saveexec_b64 s[22:23], vcc
	s_cbranch_execz .LBB4_1170
; %bb.1165:                             ;   in Loop: Header=BB4_124 Depth=2
	v_cmp_ne_u32_e32 vcc, s79, v2
	v_bfrev_b32_e32 v14, 1
	s_and_saveexec_b64 s[56:57], vcc
	s_cbranch_execz .LBB4_1169
; %bb.1166:                             ;   in Loop: Header=BB4_124 Depth=2
	v_bfe_u32 v31, v2, 8, 7
	v_cmp_ne_u32_e32 vcc, s75, v31
	v_mov_b32_e32 v14, 0x7f800001
	s_and_saveexec_b64 s[58:59], vcc
	s_cbranch_execz .LBB4_1168
; %bb.1167:                             ;   in Loop: Header=BB4_124 Depth=2
	v_lshrrev_b32_e32 v14, 8, v2
	v_and_b32_e32 v33, 7, v14
	v_ffbh_u32_e32 v36, v33
	v_min_u32_e32 v38, 32, v36
	v_subrev_u32_e32 v36, 28, v38
	v_lshlrev_b64 v[36:37], v36, v[14:15]
	v_lshrrev_b32_e32 v35, 3, v31
	v_sub_u32_e32 v14, 29, v38
	v_and_b32_e32 v36, 7, v36
	v_cmp_gt_u32_e32 vcc, 8, v31
	v_cndmask_b32_e32 v14, v35, v14, vcc
	v_cndmask_b32_e32 v31, v33, v36, vcc
	v_lshlrev_b32_e32 v2, 16, v2
	v_bfrev_b32_e32 v33, 60
	v_lshlrev_b32_e32 v31, 20, v31
	v_and_b32_e32 v2, 0x80000000, v2
	v_lshl_add_u32 v14, v14, 23, v33
	v_or3_b32 v14, v2, v14, v31
.LBB4_1168:                             ;   in Loop: Header=BB4_124 Depth=2
	s_or_b64 exec, exec, s[58:59]
.LBB4_1169:                             ;   in Loop: Header=BB4_124 Depth=2
	s_or_b64 exec, exec, s[56:57]
.LBB4_1170:                             ;   in Loop: Header=BB4_124 Depth=2
	s_or_b64 exec, exec, s[22:23]
	v_cmp_lt_u32_e32 vcc, s47, v10
	s_and_saveexec_b64 s[22:23], vcc
	s_cbranch_execz .LBB4_1176
; %bb.1171:                             ;   in Loop: Header=BB4_124 Depth=2
	v_lshrrev_b32_e32 v2, 24, v10
	v_cmp_ne_u32_e32 vcc, s76, v2
	v_bfrev_b32_e32 v3, 1
	s_and_saveexec_b64 s[56:57], vcc
	s_cbranch_execz .LBB4_1175
; %bb.1172:                             ;   in Loop: Header=BB4_124 Depth=2
	v_bfe_u32 v31, v10, 24, 7
	v_cmp_ne_u32_e32 vcc, s75, v31
	v_mov_b32_e32 v3, 0x7f800001
	s_and_saveexec_b64 s[58:59], vcc
	s_cbranch_execz .LBB4_1174
; %bb.1173:                             ;   in Loop: Header=BB4_124 Depth=2
	v_and_b32_e32 v3, 7, v2
	v_ffbh_u32_e32 v35, v3
	v_min_u32_e32 v35, 32, v35
	v_subrev_u32_e32 v36, 28, v35
	v_lshlrev_b64 v[36:37], v36, v[2:3]
	v_lshrrev_b32_e32 v33, 3, v31
	v_sub_u32_e32 v35, 29, v35
	v_and_b32_e32 v36, 7, v36
	v_cmp_gt_u32_e32 vcc, 8, v31
	v_cndmask_b32_e32 v31, v33, v35, vcc
	v_cndmask_b32_e32 v3, v3, v36, vcc
	v_lshlrev_b32_e32 v2, 24, v2
	v_bfrev_b32_e32 v33, 60
	v_lshlrev_b32_e32 v3, 20, v3
	v_and_b32_e32 v2, 0x80000000, v2
	v_lshl_add_u32 v31, v31, 23, v33
	v_or3_b32 v3, v2, v31, v3
.LBB4_1174:                             ;   in Loop: Header=BB4_124 Depth=2
	s_or_b64 exec, exec, s[58:59]
.LBB4_1175:                             ;   in Loop: Header=BB4_124 Depth=2
	s_or_b64 exec, exec, s[56:57]
.LBB4_1176:                             ;   in Loop: Header=BB4_124 Depth=2
	s_or_b64 exec, exec, s[22:23]
	v_add_f32_e32 v2, v14, v3
	v_and_b32_sdwa v14, v2, s76 dst_sel:DWORD dst_unused:UNUSED_PAD src0_sel:BYTE_3 src1_sel:DWORD
	v_and_b32_e32 v36, 0x7f800000, v2
	v_mov_b32_e32 v37, v39
	v_and_b32_e32 v38, 0x7fffff, v2
	v_or_b32_e32 v31, 0x7e, v14
	v_cmp_ne_u64_e32 vcc, s[42:43], v[36:37]
	s_and_saveexec_b64 s[22:23], vcc
	s_xor_b64 s[56:57], exec, s[22:23]
	s_cbranch_execz .LBB4_1186
; %bb.1177:                             ;   in Loop: Header=BB4_124 Depth=2
	v_and_b32_e32 v36, 0x7fffffff, v2
	v_mov_b32_e32 v37, v39
	v_cmp_gt_u64_e32 vcc, s[44:45], v[36:37]
	s_and_saveexec_b64 s[58:59], vcc
	s_cbranch_execz .LBB4_1185
; %bb.1178:                             ;   in Loop: Header=BB4_124 Depth=2
	v_cmp_ne_u32_e32 vcc, 0, v2
	v_mov_b32_e32 v31, 0
	s_and_saveexec_b64 s[60:61], vcc
	s_cbranch_execz .LBB4_1184
; %bb.1179:                             ;   in Loop: Header=BB4_124 Depth=2
	v_bfe_u32 v2, v2, 23, 8
	v_sub_u32_e32 v31, 0x79, v2
	v_cmp_gt_u32_e32 vcc, s77, v2
	v_add_u32_e32 v3, 0xffffff81, v2
	v_cndmask_b32_e32 v31, 0, v31, vcc
	v_cmp_eq_u32_e32 vcc, 0, v2
	v_mov_b32_e32 v2, 0xffffff82
	v_cndmask_b32_e32 v35, v3, v2, vcc
	v_mov_b32_e32 v2, 0x78
	v_or_b32_e32 v33, 0x800000, v38
	v_cndmask_b32_e32 v31, v31, v2, vcc
	v_cndmask_b32_e32 v38, v33, v38, vcc
	v_add_u32_e32 v2, 20, v31
	v_lshlrev_b64 v[2:3], v2, -1
	v_add_u32_e32 v33, 19, v31
	v_lshrrev_b64 v[48:49], v31, v[38:39]
	v_not_b32_e32 v3, v3
	v_not_b32_e32 v2, v2
	v_lshlrev_b64 v[36:37], v33, 1
	v_lshrrev_b32_e32 v33, 23, v48
	v_and_b32_e32 v3, 0, v3
	v_and_b32_e32 v2, v38, v2
	v_add3_u32 v35, v31, v35, v33
	v_bfe_u32 v31, v48, 20, 1
	v_add_u32_e32 v31, -1, v31
	v_cmp_eq_u64_e32 vcc, v[2:3], v[36:37]
	v_cndmask_b32_e32 v2, 0, v31, vcc
	v_add_u32_e32 v2, v2, v48
	v_and_b32_e32 v2, 0xfffff, v2
	v_add_co_u32_e32 v2, vcc, v2, v48
	v_add_u32_e32 v33, 6, v35
	v_addc_co_u32_e32 v3, vcc, 0, v49, vcc
	v_cmp_ne_u32_e32 vcc, 0, v33
                                        ; implicit-def: $vgpr31
	s_and_saveexec_b64 s[22:23], vcc
	s_xor_b64 s[22:23], exec, s[22:23]
; %bb.1180:                             ;   in Loop: Header=BB4_124 Depth=2
	v_add_u32_e32 v31, 7, v35
	v_cmp_lt_u64_e32 vcc, s[48:49], v[2:3]
	v_cndmask_b32_e32 v31, v33, v31, vcc
	v_cndmask_b32_e64 v33, 0, 1, vcc
	v_lshrrev_b64 v[2:3], v33, v[2:3]
; %bb.1181:                             ;   in Loop: Header=BB4_124 Depth=2
	s_andn2_saveexec_b64 s[22:23], s[22:23]
; %bb.1182:                             ;   in Loop: Header=BB4_124 Depth=2
	v_bfe_u32 v31, v2, 23, 1
; %bb.1183:                             ;   in Loop: Header=BB4_124 Depth=2
	s_or_b64 exec, exec, s[22:23]
	v_lshrrev_b64 v[2:3], 20, v[2:3]
	v_cmp_gt_i32_e32 vcc, 16, v31
	v_cndmask_b32_e32 v3, 0, v3, vcc
	v_cndmask_b32_e32 v2, 7, v2, vcc
	v_cmp_eq_u64_e64 s[22:23], 0, v[2:3]
	v_min_i32_e32 v3, 15, v31
	v_cmp_eq_u32_e32 vcc, 0, v31
	v_lshlrev_b32_e32 v3, 3, v3
	v_and_or_b32 v2, v2, 7, v3
	s_and_b64 s[22:23], vcc, s[22:23]
	v_cndmask_b32_e64 v2, v2, 0, s[22:23]
	v_or_b32_e32 v31, v2, v14
.LBB4_1184:                             ;   in Loop: Header=BB4_124 Depth=2
	s_or_b64 exec, exec, s[60:61]
.LBB4_1185:                             ;   in Loop: Header=BB4_124 Depth=2
	s_or_b64 exec, exec, s[58:59]
                                        ; implicit-def: $vgpr2
.LBB4_1186:                             ;   in Loop: Header=BB4_124 Depth=2
	s_andn2_saveexec_b64 s[22:23], s[56:57]
; %bb.1187:                             ;   in Loop: Header=BB4_124 Depth=2
	v_or_b32_sdwa v2, v2, s75 dst_sel:DWORD dst_unused:UNUSED_PAD src0_sel:BYTE_3 src1_sel:DWORD
	v_cmp_eq_u64_e32 vcc, 0, v[38:39]
	v_cndmask_b32_e32 v31, v2, v31, vcc
; %bb.1188:                             ;   in Loop: Header=BB4_124 Depth=2
	s_or_b64 exec, exec, s[22:23]
	v_lshlrev_b32_e32 v14, 8, v40
	v_lshlrev_b32_e32 v2, 24, v32
	v_perm_b32 v3, v34, v27, s80
	v_or3_b32 v38, v3, v2, v14
	v_cmp_ne_u16_sdwa vcc, v27, v39 src0_sel:BYTE_0 src1_sel:DWORD
	v_mov_b32_e32 v3, 0
	v_mov_b32_e32 v2, 0
	s_and_saveexec_b64 s[22:23], vcc
	s_cbranch_execz .LBB4_1194
; %bb.1189:                             ;   in Loop: Header=BB4_124 Depth=2
	v_cmp_ne_u16_sdwa vcc, v27, s76 src0_sel:BYTE_0 src1_sel:DWORD
	v_bfrev_b32_e32 v2, 1
	s_and_saveexec_b64 s[56:57], vcc
	s_cbranch_execz .LBB4_1193
; %bb.1190:                             ;   in Loop: Header=BB4_124 Depth=2
	v_and_b32_e32 v32, 0x7f, v27
	v_cmp_ne_u32_e32 vcc, s75, v32
	v_mov_b32_e32 v2, 0x7f800001
	s_and_saveexec_b64 s[58:59], vcc
	s_cbranch_execz .LBB4_1192
; %bb.1191:                             ;   in Loop: Header=BB4_124 Depth=2
	v_and_b32_e32 v2, 7, v27
	v_ffbh_u32_e32 v2, v2
	v_min_u32_e32 v2, 32, v2
	v_lshrrev_b32_e32 v27, 3, v32
	v_subrev_u32_e32 v33, 28, v2
	v_sub_u32_e32 v2, 29, v2
	v_cmp_gt_u32_e32 vcc, 8, v32
	v_cndmask_b32_e32 v2, v27, v2, vcc
	v_cndmask_b32_e32 v27, 0, v33, vcc
	v_lshlrev_b64 v[32:33], v27, v[38:39]
	v_lshlrev_b32_e32 v27, 20, v32
	v_lshlrev_b32_e32 v32, 24, v38
	v_bfrev_b32_e32 v33, 60
	v_and_b32_e32 v27, 0x700000, v27
	v_and_b32_e32 v32, 0x80000000, v32
	v_lshl_add_u32 v2, v2, 23, v33
	v_or3_b32 v2, v32, v2, v27
.LBB4_1192:                             ;   in Loop: Header=BB4_124 Depth=2
	s_or_b64 exec, exec, s[58:59]
.LBB4_1193:                             ;   in Loop: Header=BB4_124 Depth=2
	s_or_b64 exec, exec, s[56:57]
.LBB4_1194:                             ;   in Loop: Header=BB4_124 Depth=2
	s_or_b64 exec, exec, s[22:23]
	v_cmp_ne_u16_sdwa vcc, v11, v39 src0_sel:BYTE_0 src1_sel:DWORD
	s_and_saveexec_b64 s[22:23], vcc
	s_cbranch_execz .LBB4_1200
; %bb.1195:                             ;   in Loop: Header=BB4_124 Depth=2
	v_cmp_ne_u16_sdwa vcc, v11, s76 src0_sel:BYTE_0 src1_sel:DWORD
	v_bfrev_b32_e32 v3, 1
	s_and_saveexec_b64 s[56:57], vcc
	s_cbranch_execz .LBB4_1199
; %bb.1196:                             ;   in Loop: Header=BB4_124 Depth=2
	v_and_b32_e32 v27, 0x7f, v11
	v_cmp_ne_u32_e32 vcc, s75, v27
	v_mov_b32_e32 v3, 0x7f800001
	s_and_saveexec_b64 s[58:59], vcc
	s_cbranch_execz .LBB4_1198
; %bb.1197:                             ;   in Loop: Header=BB4_124 Depth=2
	v_and_b32_e32 v3, 7, v11
	v_ffbh_u32_e32 v3, v3
	v_min_u32_e32 v3, 32, v3
	v_subrev_u32_e32 v35, 28, v3
	v_cmp_gt_u32_e32 vcc, 8, v27
	v_mov_b32_e32 v32, v11
	v_mov_b32_e32 v33, v39
	v_lshrrev_b32_e32 v34, 3, v27
	v_sub_u32_e32 v3, 29, v3
	v_cndmask_b32_e32 v27, 0, v35, vcc
	v_cndmask_b32_e32 v3, v34, v3, vcc
	v_lshlrev_b64 v[34:35], v27, v[32:33]
	v_lshlrev_b32_e32 v27, 20, v34
	v_lshlrev_b32_e32 v32, 24, v32
	v_bfrev_b32_e32 v33, 60
	v_and_b32_e32 v27, 0x700000, v27
	v_and_b32_e32 v32, 0x80000000, v32
	v_lshl_add_u32 v3, v3, 23, v33
	v_or3_b32 v3, v32, v3, v27
.LBB4_1198:                             ;   in Loop: Header=BB4_124 Depth=2
	s_or_b64 exec, exec, s[58:59]
.LBB4_1199:                             ;   in Loop: Header=BB4_124 Depth=2
	s_or_b64 exec, exec, s[56:57]
.LBB4_1200:                             ;   in Loop: Header=BB4_124 Depth=2
	s_or_b64 exec, exec, s[22:23]
	v_add_f32_e32 v33, v2, v3
	v_and_b32_sdwa v32, v33, s76 dst_sel:DWORD dst_unused:UNUSED_PAD src0_sel:BYTE_3 src1_sel:DWORD
	v_and_b32_e32 v34, 0x7f800000, v33
	v_mov_b32_e32 v35, v39
	v_and_b32_e32 v2, 0x7fffff, v33
	v_mov_b32_e32 v3, v39
	v_or_b32_e32 v27, 0x7e, v32
	v_cmp_ne_u64_e32 vcc, s[42:43], v[34:35]
	s_and_saveexec_b64 s[22:23], vcc
	s_xor_b64 s[56:57], exec, s[22:23]
	s_cbranch_execz .LBB4_1210
; %bb.1201:                             ;   in Loop: Header=BB4_124 Depth=2
	v_and_b32_e32 v34, 0x7fffffff, v33
	v_mov_b32_e32 v35, v39
	v_cmp_gt_u64_e32 vcc, s[44:45], v[34:35]
	s_and_saveexec_b64 s[58:59], vcc
	s_cbranch_execz .LBB4_1209
; %bb.1202:                             ;   in Loop: Header=BB4_124 Depth=2
	v_cmp_ne_u32_e32 vcc, 0, v33
	v_mov_b32_e32 v27, 0
	s_and_saveexec_b64 s[60:61], vcc
	s_cbranch_execz .LBB4_1208
; %bb.1203:                             ;   in Loop: Header=BB4_124 Depth=2
	v_bfe_u32 v27, v33, 23, 8
	v_sub_u32_e32 v34, 0x79, v27
	v_cmp_gt_u32_e32 vcc, s77, v27
	v_add_u32_e32 v33, 0xffffff81, v27
	v_cndmask_b32_e32 v34, 0, v34, vcc
	v_cmp_eq_u32_e32 vcc, 0, v27
	v_mov_b32_e32 v27, 0xffffff82
	v_cndmask_b32_e32 v27, v33, v27, vcc
	v_mov_b32_e32 v33, 0x78
	v_cndmask_b32_e32 v33, v34, v33, vcc
	v_or_b32_e32 v35, 0x800000, v2
	v_add_u32_e32 v34, 20, v33
	v_cndmask_b32_e32 v2, v35, v2, vcc
	v_lshlrev_b64 v[34:35], v34, -1
	v_not_b32_e32 v34, v34
	v_and_b32_e32 v36, v2, v34
	v_add_u32_e32 v34, 19, v33
	v_lshrrev_b64 v[2:3], v33, v[2:3]
	v_not_b32_e32 v35, v35
	v_lshlrev_b64 v[48:49], v34, 1
	v_lshrrev_b32_e32 v34, 23, v2
	v_and_b32_e32 v37, 0, v35
	v_add3_u32 v34, v33, v27, v34
	v_bfe_u32 v27, v2, 20, 1
	v_add_u32_e32 v27, -1, v27
	v_cmp_eq_u64_e32 vcc, v[36:37], v[48:49]
	v_cndmask_b32_e32 v27, 0, v27, vcc
	v_add_u32_e32 v27, v27, v2
	v_and_b32_e32 v27, 0xfffff, v27
	v_add_co_u32_e32 v2, vcc, v27, v2
	v_add_u32_e32 v33, 6, v34
	v_addc_co_u32_e32 v3, vcc, 0, v3, vcc
	v_cmp_ne_u32_e32 vcc, 0, v33
                                        ; implicit-def: $vgpr27
	s_and_saveexec_b64 s[22:23], vcc
	s_xor_b64 s[22:23], exec, s[22:23]
; %bb.1204:                             ;   in Loop: Header=BB4_124 Depth=2
	v_add_u32_e32 v27, 7, v34
	v_cmp_lt_u64_e32 vcc, s[48:49], v[2:3]
	v_cndmask_b32_e32 v27, v33, v27, vcc
	v_cndmask_b32_e64 v33, 0, 1, vcc
	v_lshrrev_b64 v[2:3], v33, v[2:3]
; %bb.1205:                             ;   in Loop: Header=BB4_124 Depth=2
	s_andn2_saveexec_b64 s[22:23], s[22:23]
; %bb.1206:                             ;   in Loop: Header=BB4_124 Depth=2
	v_bfe_u32 v27, v2, 23, 1
; %bb.1207:                             ;   in Loop: Header=BB4_124 Depth=2
	s_or_b64 exec, exec, s[22:23]
	v_lshrrev_b64 v[2:3], 20, v[2:3]
	v_cmp_gt_i32_e32 vcc, 16, v27
	v_cndmask_b32_e32 v3, 0, v3, vcc
	v_cndmask_b32_e32 v2, 7, v2, vcc
	v_cmp_eq_u64_e64 s[22:23], 0, v[2:3]
	v_min_i32_e32 v3, 15, v27
	v_cmp_eq_u32_e32 vcc, 0, v27
	v_lshlrev_b32_e32 v3, 3, v3
	v_and_or_b32 v2, v2, 7, v3
	s_and_b64 s[22:23], vcc, s[22:23]
	v_cndmask_b32_e64 v2, v2, 0, s[22:23]
	v_or_b32_e32 v27, v2, v32
.LBB4_1208:                             ;   in Loop: Header=BB4_124 Depth=2
	s_or_b64 exec, exec, s[60:61]
.LBB4_1209:                             ;   in Loop: Header=BB4_124 Depth=2
	s_or_b64 exec, exec, s[58:59]
                                        ; implicit-def: $vgpr33
                                        ; implicit-def: $vgpr2_vgpr3
.LBB4_1210:                             ;   in Loop: Header=BB4_124 Depth=2
	s_andn2_saveexec_b64 s[22:23], s[56:57]
; %bb.1211:                             ;   in Loop: Header=BB4_124 Depth=2
	v_or_b32_sdwa v32, v33, s75 dst_sel:DWORD dst_unused:UNUSED_PAD src0_sel:BYTE_3 src1_sel:DWORD
	v_cmp_eq_u64_e32 vcc, 0, v[2:3]
	v_cndmask_b32_e32 v27, v32, v27, vcc
; %bb.1212:                             ;   in Loop: Header=BB4_124 Depth=2
	s_or_b64 exec, exec, s[22:23]
	v_lshrrev_b16_e32 v2, 8, v14
	v_cmp_ne_u16_e32 vcc, 0, v2
	v_mov_b32_e32 v3, 0
	v_mov_b32_e32 v32, 0
	s_and_saveexec_b64 s[22:23], vcc
	s_cbranch_execz .LBB4_1218
; %bb.1213:                             ;   in Loop: Header=BB4_124 Depth=2
	v_cmp_ne_u16_e32 vcc, s76, v2
	v_bfrev_b32_e32 v32, 1
	s_and_saveexec_b64 s[56:57], vcc
	s_cbranch_execz .LBB4_1217
; %bb.1214:                             ;   in Loop: Header=BB4_124 Depth=2
	v_and_b32_e32 v33, 0x7f, v2
	v_cmp_ne_u32_e32 vcc, s75, v33
	v_mov_b32_e32 v32, 0x7f800001
	s_and_saveexec_b64 s[58:59], vcc
	s_cbranch_execz .LBB4_1216
; %bb.1215:                             ;   in Loop: Header=BB4_124 Depth=2
	v_and_b32_e32 v32, 7, v2
	v_ffbh_u32_e32 v34, v32
	v_min_u32_e32 v37, 32, v34
	v_subrev_u32_e32 v34, 28, v37
	v_lshlrev_b64 v[34:35], v34, v[2:3]
	v_lshrrev_b32_e32 v36, 3, v33
	v_sub_u32_e32 v2, 29, v37
	v_and_b32_e32 v34, 7, v34
	v_cmp_gt_u32_e32 vcc, 8, v33
	v_cndmask_b32_e32 v2, v36, v2, vcc
	v_cndmask_b32_e32 v32, v32, v34, vcc
	v_lshlrev_b32_e32 v14, 16, v14
	v_bfrev_b32_e32 v33, 60
	v_lshlrev_b32_e32 v32, 20, v32
	v_and_b32_e32 v14, 0x80000000, v14
	v_lshl_add_u32 v2, v2, 23, v33
	v_or3_b32 v32, v14, v2, v32
.LBB4_1216:                             ;   in Loop: Header=BB4_124 Depth=2
	s_or_b64 exec, exec, s[58:59]
.LBB4_1217:                             ;   in Loop: Header=BB4_124 Depth=2
	s_or_b64 exec, exec, s[56:57]
.LBB4_1218:                             ;   in Loop: Header=BB4_124 Depth=2
	s_or_b64 exec, exec, s[22:23]
	v_mov_b32_e32 v2, v11
	v_lshrrev_b16_e32 v14, 8, v2
	v_cmp_ne_u16_e32 vcc, 0, v14
	s_and_saveexec_b64 s[22:23], vcc
	s_cbranch_execz .LBB4_1224
; %bb.1219:                             ;   in Loop: Header=BB4_124 Depth=2
	v_cmp_ne_u16_e32 vcc, s76, v14
	v_bfrev_b32_e32 v3, 1
	s_and_saveexec_b64 s[56:57], vcc
	s_cbranch_execz .LBB4_1223
; %bb.1220:                             ;   in Loop: Header=BB4_124 Depth=2
	v_and_b32_e32 v33, 0x7f, v14
	v_cmp_ne_u32_e32 vcc, s75, v33
	v_mov_b32_e32 v3, 0x7f800001
	s_and_saveexec_b64 s[58:59], vcc
	s_cbranch_execz .LBB4_1222
; %bb.1221:                             ;   in Loop: Header=BB4_124 Depth=2
	v_and_b32_e32 v3, 7, v14
	v_ffbh_u32_e32 v34, v3
	v_min_u32_e32 v37, 32, v34
	v_subrev_u32_e32 v34, 28, v37
	v_lshlrev_b64 v[34:35], v34, v[14:15]
	v_lshrrev_b32_e32 v36, 3, v33
	v_sub_u32_e32 v14, 29, v37
	v_and_b32_e32 v34, 7, v34
	v_cmp_gt_u32_e32 vcc, 8, v33
	v_cndmask_b32_e32 v14, v36, v14, vcc
	v_cndmask_b32_e32 v3, v3, v34, vcc
	v_lshlrev_b32_e32 v2, 16, v2
	v_bfrev_b32_e32 v33, 60
	v_lshlrev_b32_e32 v3, 20, v3
	v_and_b32_e32 v2, 0x80000000, v2
	v_lshl_add_u32 v14, v14, 23, v33
	v_or3_b32 v3, v2, v14, v3
.LBB4_1222:                             ;   in Loop: Header=BB4_124 Depth=2
	s_or_b64 exec, exec, s[58:59]
.LBB4_1223:                             ;   in Loop: Header=BB4_124 Depth=2
	s_or_b64 exec, exec, s[56:57]
.LBB4_1224:                             ;   in Loop: Header=BB4_124 Depth=2
	s_or_b64 exec, exec, s[22:23]
	v_add_f32_e32 v33, v32, v3
	v_and_b32_sdwa v32, v33, s76 dst_sel:DWORD dst_unused:UNUSED_PAD src0_sel:BYTE_3 src1_sel:DWORD
	v_and_b32_e32 v34, 0x7f800000, v33
	v_mov_b32_e32 v35, v39
	v_and_b32_e32 v2, 0x7fffff, v33
	v_mov_b32_e32 v3, v39
	v_or_b32_e32 v14, 0x7e, v32
	v_cmp_ne_u64_e32 vcc, s[42:43], v[34:35]
	s_and_saveexec_b64 s[22:23], vcc
	s_xor_b64 s[56:57], exec, s[22:23]
	s_cbranch_execz .LBB4_1234
; %bb.1225:                             ;   in Loop: Header=BB4_124 Depth=2
	v_and_b32_e32 v34, 0x7fffffff, v33
	v_mov_b32_e32 v35, v39
	v_cmp_gt_u64_e32 vcc, s[44:45], v[34:35]
	s_and_saveexec_b64 s[58:59], vcc
	s_cbranch_execz .LBB4_1233
; %bb.1226:                             ;   in Loop: Header=BB4_124 Depth=2
	v_cmp_ne_u32_e32 vcc, 0, v33
	v_mov_b32_e32 v14, 0
	s_and_saveexec_b64 s[60:61], vcc
	s_cbranch_execz .LBB4_1232
; %bb.1227:                             ;   in Loop: Header=BB4_124 Depth=2
	v_bfe_u32 v14, v33, 23, 8
	v_sub_u32_e32 v34, 0x79, v14
	v_cmp_gt_u32_e32 vcc, s77, v14
	v_add_u32_e32 v33, 0xffffff81, v14
	v_cndmask_b32_e32 v34, 0, v34, vcc
	v_cmp_eq_u32_e32 vcc, 0, v14
	v_mov_b32_e32 v14, 0xffffff82
	v_cndmask_b32_e32 v14, v33, v14, vcc
	v_mov_b32_e32 v33, 0x78
	v_cndmask_b32_e32 v33, v34, v33, vcc
	v_or_b32_e32 v35, 0x800000, v2
	v_add_u32_e32 v34, 20, v33
	v_cndmask_b32_e32 v2, v35, v2, vcc
	v_lshlrev_b64 v[34:35], v34, -1
	v_not_b32_e32 v34, v34
	v_and_b32_e32 v36, v2, v34
	v_add_u32_e32 v34, 19, v33
	v_lshrrev_b64 v[2:3], v33, v[2:3]
	v_not_b32_e32 v35, v35
	v_lshlrev_b64 v[48:49], v34, 1
	v_lshrrev_b32_e32 v34, 23, v2
	v_and_b32_e32 v37, 0, v35
	v_add3_u32 v34, v33, v14, v34
	v_bfe_u32 v14, v2, 20, 1
	v_add_u32_e32 v14, -1, v14
	v_cmp_eq_u64_e32 vcc, v[36:37], v[48:49]
	v_cndmask_b32_e32 v14, 0, v14, vcc
	v_add_u32_e32 v14, v14, v2
	v_and_b32_e32 v14, 0xfffff, v14
	v_add_co_u32_e32 v2, vcc, v14, v2
	v_add_u32_e32 v33, 6, v34
	v_addc_co_u32_e32 v3, vcc, 0, v3, vcc
	v_cmp_ne_u32_e32 vcc, 0, v33
                                        ; implicit-def: $vgpr14
	s_and_saveexec_b64 s[22:23], vcc
	s_xor_b64 s[22:23], exec, s[22:23]
; %bb.1228:                             ;   in Loop: Header=BB4_124 Depth=2
	v_add_u32_e32 v14, 7, v34
	v_cmp_lt_u64_e32 vcc, s[48:49], v[2:3]
	v_cndmask_b32_e32 v14, v33, v14, vcc
	v_cndmask_b32_e64 v33, 0, 1, vcc
	v_lshrrev_b64 v[2:3], v33, v[2:3]
; %bb.1229:                             ;   in Loop: Header=BB4_124 Depth=2
	s_andn2_saveexec_b64 s[22:23], s[22:23]
; %bb.1230:                             ;   in Loop: Header=BB4_124 Depth=2
	v_bfe_u32 v14, v2, 23, 1
; %bb.1231:                             ;   in Loop: Header=BB4_124 Depth=2
	s_or_b64 exec, exec, s[22:23]
	v_lshrrev_b64 v[2:3], 20, v[2:3]
	v_cmp_gt_i32_e32 vcc, 16, v14
	v_cndmask_b32_e32 v3, 0, v3, vcc
	v_cndmask_b32_e32 v2, 7, v2, vcc
	v_cmp_eq_u64_e64 s[22:23], 0, v[2:3]
	v_min_i32_e32 v3, 15, v14
	v_cmp_eq_u32_e32 vcc, 0, v14
	v_lshlrev_b32_e32 v3, 3, v3
	v_and_or_b32 v2, v2, 7, v3
	s_and_b64 s[22:23], vcc, s[22:23]
	v_cndmask_b32_e64 v2, v2, 0, s[22:23]
	v_or_b32_e32 v14, v2, v32
.LBB4_1232:                             ;   in Loop: Header=BB4_124 Depth=2
	s_or_b64 exec, exec, s[60:61]
.LBB4_1233:                             ;   in Loop: Header=BB4_124 Depth=2
	s_or_b64 exec, exec, s[58:59]
                                        ; implicit-def: $vgpr33
                                        ; implicit-def: $vgpr2_vgpr3
.LBB4_1234:                             ;   in Loop: Header=BB4_124 Depth=2
	s_andn2_saveexec_b64 s[22:23], s[56:57]
; %bb.1235:                             ;   in Loop: Header=BB4_124 Depth=2
	v_or_b32_sdwa v32, v33, s75 dst_sel:DWORD dst_unused:UNUSED_PAD src0_sel:BYTE_3 src1_sel:DWORD
	v_cmp_eq_u64_e32 vcc, 0, v[2:3]
	v_cndmask_b32_e32 v14, v32, v14, vcc
; %bb.1236:                             ;   in Loop: Header=BB4_124 Depth=2
	s_or_b64 exec, exec, s[22:23]
	v_lshrrev_b32_e32 v2, 16, v38
	v_cmp_ne_u16_sdwa vcc, v2, v39 src0_sel:BYTE_0 src1_sel:DWORD
	v_mov_b32_e32 v3, 0
	v_mov_b32_e32 v32, 0
	s_and_saveexec_b64 s[22:23], vcc
	s_cbranch_execz .LBB4_1242
; %bb.1237:                             ;   in Loop: Header=BB4_124 Depth=2
	v_cmp_ne_u16_sdwa vcc, v2, s76 src0_sel:BYTE_0 src1_sel:DWORD
	v_bfrev_b32_e32 v32, 1
	s_and_saveexec_b64 s[56:57], vcc
	s_cbranch_execz .LBB4_1241
; %bb.1238:                             ;   in Loop: Header=BB4_124 Depth=2
	v_bfe_u32 v33, v38, 16, 7
	v_cmp_ne_u32_e32 vcc, s75, v33
	v_mov_b32_e32 v32, 0x7f800001
	s_and_saveexec_b64 s[58:59], vcc
	s_cbranch_execz .LBB4_1240
; %bb.1239:                             ;   in Loop: Header=BB4_124 Depth=2
	v_and_b32_e32 v32, 7, v2
	v_ffbh_u32_e32 v34, v32
	v_min_u32_e32 v37, 32, v34
	v_subrev_u32_e32 v34, 28, v37
	v_lshlrev_b64 v[34:35], v34, v[2:3]
	v_lshrrev_b32_e32 v36, 3, v33
	v_sub_u32_e32 v35, 29, v37
	v_and_b32_e32 v34, 7, v34
	v_cmp_gt_u32_e32 vcc, 8, v33
	v_cndmask_b32_e32 v33, v36, v35, vcc
	v_cndmask_b32_e32 v32, v32, v34, vcc
	v_lshlrev_b32_e32 v2, 24, v2
	v_bfrev_b32_e32 v34, 60
	v_lshlrev_b32_e32 v32, 20, v32
	v_and_b32_e32 v2, 0x80000000, v2
	v_lshl_add_u32 v33, v33, 23, v34
	v_or3_b32 v32, v2, v33, v32
.LBB4_1240:                             ;   in Loop: Header=BB4_124 Depth=2
	s_or_b64 exec, exec, s[58:59]
.LBB4_1241:                             ;   in Loop: Header=BB4_124 Depth=2
	s_or_b64 exec, exec, s[56:57]
.LBB4_1242:                             ;   in Loop: Header=BB4_124 Depth=2
	s_or_b64 exec, exec, s[22:23]
	v_lshrrev_b32_e32 v2, 16, v11
	v_cmp_ne_u16_sdwa vcc, v2, v39 src0_sel:BYTE_0 src1_sel:DWORD
	s_and_saveexec_b64 s[22:23], vcc
	s_cbranch_execz .LBB4_1248
; %bb.1243:                             ;   in Loop: Header=BB4_124 Depth=2
	v_cmp_ne_u16_sdwa vcc, v2, s76 src0_sel:BYTE_0 src1_sel:DWORD
	v_bfrev_b32_e32 v3, 1
	s_and_saveexec_b64 s[56:57], vcc
	s_cbranch_execz .LBB4_1247
; %bb.1244:                             ;   in Loop: Header=BB4_124 Depth=2
	v_bfe_u32 v33, v11, 16, 7
	v_cmp_ne_u32_e32 vcc, s75, v33
	v_mov_b32_e32 v3, 0x7f800001
	s_and_saveexec_b64 s[58:59], vcc
	s_cbranch_execz .LBB4_1246
; %bb.1245:                             ;   in Loop: Header=BB4_124 Depth=2
	v_and_b32_e32 v34, 7, v2
	v_ffbh_u32_e32 v3, v34
	v_min_u32_e32 v36, 32, v3
	v_subrev_u32_e32 v3, 28, v36
	v_lshlrev_b64 v[2:3], v3, v[2:3]
	v_lshrrev_b32_e32 v35, 3, v33
	v_sub_u32_e32 v3, 29, v36
	v_and_b32_e32 v2, 7, v2
	v_cmp_gt_u32_e32 vcc, 8, v33
	v_cndmask_b32_e32 v3, v35, v3, vcc
	v_cndmask_b32_e32 v2, v34, v2, vcc
	v_lshlrev_b32_e32 v33, 8, v11
	v_bfrev_b32_e32 v34, 60
	v_lshlrev_b32_e32 v2, 20, v2
	v_and_b32_e32 v33, 0x80000000, v33
	v_lshl_add_u32 v3, v3, 23, v34
	v_or3_b32 v3, v33, v3, v2
.LBB4_1246:                             ;   in Loop: Header=BB4_124 Depth=2
	s_or_b64 exec, exec, s[58:59]
.LBB4_1247:                             ;   in Loop: Header=BB4_124 Depth=2
	s_or_b64 exec, exec, s[56:57]
.LBB4_1248:                             ;   in Loop: Header=BB4_124 Depth=2
	s_or_b64 exec, exec, s[22:23]
	v_add_f32_e32 v34, v32, v3
	v_and_b32_sdwa v33, v34, s76 dst_sel:DWORD dst_unused:UNUSED_PAD src0_sel:BYTE_3 src1_sel:DWORD
	v_and_b32_e32 v36, 0x7f800000, v34
	v_mov_b32_e32 v37, v39
	v_and_b32_e32 v2, 0x7fffff, v34
	v_mov_b32_e32 v3, v39
	v_or_b32_e32 v32, 0x7e, v33
	v_cmp_ne_u64_e32 vcc, s[42:43], v[36:37]
	s_and_saveexec_b64 s[22:23], vcc
	s_xor_b64 s[56:57], exec, s[22:23]
	s_cbranch_execz .LBB4_1258
; %bb.1249:                             ;   in Loop: Header=BB4_124 Depth=2
	v_and_b32_e32 v36, 0x7fffffff, v34
	v_mov_b32_e32 v37, v39
	v_cmp_gt_u64_e32 vcc, s[44:45], v[36:37]
	s_and_saveexec_b64 s[58:59], vcc
	s_cbranch_execz .LBB4_1257
; %bb.1250:                             ;   in Loop: Header=BB4_124 Depth=2
	v_cmp_ne_u32_e32 vcc, 0, v34
	v_mov_b32_e32 v32, 0
	s_and_saveexec_b64 s[60:61], vcc
	s_cbranch_execz .LBB4_1256
; %bb.1251:                             ;   in Loop: Header=BB4_124 Depth=2
	v_bfe_u32 v32, v34, 23, 8
	v_sub_u32_e32 v35, 0x79, v32
	v_cmp_gt_u32_e32 vcc, s77, v32
	v_add_u32_e32 v34, 0xffffff81, v32
	v_cndmask_b32_e32 v35, 0, v35, vcc
	v_cmp_eq_u32_e32 vcc, 0, v32
	v_mov_b32_e32 v32, 0xffffff82
	v_cndmask_b32_e32 v32, v34, v32, vcc
	v_mov_b32_e32 v34, 0x78
	v_cndmask_b32_e32 v50, v35, v34, vcc
	v_add_u32_e32 v34, 20, v50
	v_or_b32_e32 v36, 0x800000, v2
	v_lshlrev_b64 v[34:35], v34, -1
	v_cndmask_b32_e32 v2, v36, v2, vcc
	v_not_b32_e32 v34, v34
	v_and_b32_e32 v36, v2, v34
	v_add_u32_e32 v34, 19, v50
	v_lshrrev_b64 v[2:3], v50, v[2:3]
	v_not_b32_e32 v35, v35
	v_lshlrev_b64 v[48:49], v34, 1
	v_lshrrev_b32_e32 v34, 23, v2
	v_and_b32_e32 v37, 0, v35
	v_add3_u32 v35, v50, v32, v34
	v_bfe_u32 v32, v2, 20, 1
	v_add_u32_e32 v32, -1, v32
	v_cmp_eq_u64_e32 vcc, v[36:37], v[48:49]
	v_cndmask_b32_e32 v32, 0, v32, vcc
	v_add_u32_e32 v32, v32, v2
	v_and_b32_e32 v32, 0xfffff, v32
	v_add_co_u32_e32 v2, vcc, v32, v2
	v_add_u32_e32 v34, 6, v35
	v_addc_co_u32_e32 v3, vcc, 0, v3, vcc
	v_cmp_ne_u32_e32 vcc, 0, v34
                                        ; implicit-def: $vgpr32
	s_and_saveexec_b64 s[22:23], vcc
	s_xor_b64 s[22:23], exec, s[22:23]
; %bb.1252:                             ;   in Loop: Header=BB4_124 Depth=2
	v_add_u32_e32 v32, 7, v35
	v_cmp_lt_u64_e32 vcc, s[48:49], v[2:3]
	v_cndmask_b32_e32 v32, v34, v32, vcc
	v_cndmask_b32_e64 v34, 0, 1, vcc
	v_lshrrev_b64 v[2:3], v34, v[2:3]
; %bb.1253:                             ;   in Loop: Header=BB4_124 Depth=2
	s_andn2_saveexec_b64 s[22:23], s[22:23]
; %bb.1254:                             ;   in Loop: Header=BB4_124 Depth=2
	v_bfe_u32 v32, v2, 23, 1
; %bb.1255:                             ;   in Loop: Header=BB4_124 Depth=2
	s_or_b64 exec, exec, s[22:23]
	v_lshrrev_b64 v[2:3], 20, v[2:3]
	v_cmp_gt_i32_e32 vcc, 16, v32
	v_cndmask_b32_e32 v3, 0, v3, vcc
	v_cndmask_b32_e32 v2, 7, v2, vcc
	v_cmp_eq_u64_e64 s[22:23], 0, v[2:3]
	v_min_i32_e32 v3, 15, v32
	v_lshlrev_b32_e32 v3, 3, v3
	v_cmp_eq_u32_e32 vcc, 0, v32
	v_and_b32_e32 v3, 0xf8, v3
	v_and_or_b32 v2, v2, 7, v3
	s_and_b64 s[22:23], vcc, s[22:23]
	v_cndmask_b32_e64 v2, v2, 0, s[22:23]
	v_or_b32_e32 v32, v2, v33
.LBB4_1256:                             ;   in Loop: Header=BB4_124 Depth=2
	s_or_b64 exec, exec, s[60:61]
.LBB4_1257:                             ;   in Loop: Header=BB4_124 Depth=2
	s_or_b64 exec, exec, s[58:59]
                                        ; implicit-def: $vgpr34
                                        ; implicit-def: $vgpr2_vgpr3
.LBB4_1258:                             ;   in Loop: Header=BB4_124 Depth=2
	s_andn2_saveexec_b64 s[22:23], s[56:57]
; %bb.1259:                             ;   in Loop: Header=BB4_124 Depth=2
	v_or_b32_sdwa v33, v34, s75 dst_sel:DWORD dst_unused:UNUSED_PAD src0_sel:BYTE_3 src1_sel:DWORD
	v_cmp_eq_u64_e32 vcc, 0, v[2:3]
	v_cndmask_b32_e32 v32, v33, v32, vcc
; %bb.1260:                             ;   in Loop: Header=BB4_124 Depth=2
	s_or_b64 exec, exec, s[22:23]
	v_cmp_lt_u32_e32 vcc, s47, v38
	v_mov_b32_e32 v3, 0
	v_mov_b32_e32 v33, 0
	s_and_saveexec_b64 s[22:23], vcc
	s_cbranch_execz .LBB4_1266
; %bb.1261:                             ;   in Loop: Header=BB4_124 Depth=2
	v_lshrrev_b32_e32 v2, 24, v38
	v_cmp_ne_u32_sdwa vcc, v38, s76 src0_sel:BYTE_3 src1_sel:DWORD
	v_bfrev_b32_e32 v33, 1
	s_and_saveexec_b64 s[56:57], vcc
	s_cbranch_execz .LBB4_1265
; %bb.1262:                             ;   in Loop: Header=BB4_124 Depth=2
	v_bfe_u32 v34, v38, 24, 7
	v_cmp_ne_u32_e32 vcc, s75, v34
	v_mov_b32_e32 v33, 0x7f800001
	s_and_saveexec_b64 s[58:59], vcc
	s_cbranch_execz .LBB4_1264
; %bb.1263:                             ;   in Loop: Header=BB4_124 Depth=2
	v_and_b32_e32 v33, 7, v2
	v_ffbh_u32_e32 v36, v33
	v_min_u32_e32 v48, 32, v36
	v_subrev_u32_e32 v36, 28, v48
	v_lshlrev_b64 v[36:37], v36, v[2:3]
	v_lshrrev_b32_e32 v35, 3, v34
	v_sub_u32_e32 v2, 29, v48
	v_and_b32_e32 v36, 7, v36
	v_cmp_gt_u32_e32 vcc, 8, v34
	v_mov_b32_e32 v34, 24
	v_cndmask_b32_e32 v2, v35, v2, vcc
	v_cndmask_b32_e32 v33, v33, v36, vcc
	v_lshlrev_b32_sdwa v34, v34, v38 dst_sel:DWORD dst_unused:UNUSED_PAD src0_sel:DWORD src1_sel:BYTE_3
	v_bfrev_b32_e32 v35, 60
	v_lshlrev_b32_e32 v33, 20, v33
	v_and_b32_e32 v34, 0x80000000, v34
	v_lshl_add_u32 v2, v2, 23, v35
	v_or3_b32 v33, v34, v2, v33
.LBB4_1264:                             ;   in Loop: Header=BB4_124 Depth=2
	s_or_b64 exec, exec, s[58:59]
.LBB4_1265:                             ;   in Loop: Header=BB4_124 Depth=2
	s_or_b64 exec, exec, s[56:57]
.LBB4_1266:                             ;   in Loop: Header=BB4_124 Depth=2
	s_or_b64 exec, exec, s[22:23]
	v_cmp_lt_u64_e32 vcc, s[46:47], v[10:11]
	s_and_saveexec_b64 s[22:23], vcc
	s_cbranch_execz .LBB4_1272
; %bb.1267:                             ;   in Loop: Header=BB4_124 Depth=2
	v_lshrrev_b32_e32 v2, 24, v11
	v_cmp_ne_u32_e32 vcc, s76, v2
	v_bfrev_b32_e32 v3, 1
	s_and_saveexec_b64 s[56:57], vcc
	s_cbranch_execz .LBB4_1271
; %bb.1268:                             ;   in Loop: Header=BB4_124 Depth=2
	v_bfe_u32 v10, v11, 24, 7
	v_cmp_ne_u32_e32 vcc, s75, v10
	v_mov_b32_e32 v3, 0x7f800001
	s_and_saveexec_b64 s[58:59], vcc
	s_cbranch_execz .LBB4_1270
; %bb.1269:                             ;   in Loop: Header=BB4_124 Depth=2
	v_and_b32_e32 v3, 7, v2
	v_ffbh_u32_e32 v34, v3
	v_min_u32_e32 v36, 32, v34
	v_subrev_u32_e32 v34, 28, v36
	v_lshlrev_b64 v[34:35], v34, v[2:3]
	v_lshrrev_b32_e32 v11, 3, v10
	v_sub_u32_e32 v35, 29, v36
	v_and_b32_e32 v34, 7, v34
	v_cmp_gt_u32_e32 vcc, 8, v10
	v_cndmask_b32_e32 v10, v11, v35, vcc
	v_cndmask_b32_e32 v3, v3, v34, vcc
	v_lshlrev_b32_e32 v2, 24, v2
	v_bfrev_b32_e32 v11, 60
	v_lshlrev_b32_e32 v3, 20, v3
	v_and_b32_e32 v2, 0x80000000, v2
	v_lshl_add_u32 v10, v10, 23, v11
	v_or3_b32 v3, v2, v10, v3
.LBB4_1270:                             ;   in Loop: Header=BB4_124 Depth=2
	s_or_b64 exec, exec, s[58:59]
.LBB4_1271:                             ;   in Loop: Header=BB4_124 Depth=2
	s_or_b64 exec, exec, s[56:57]
.LBB4_1272:                             ;   in Loop: Header=BB4_124 Depth=2
	s_or_b64 exec, exec, s[22:23]
	v_add_f32_e32 v2, v33, v3
	v_and_b32_sdwa v10, v2, s76 dst_sel:DWORD dst_unused:UNUSED_PAD src0_sel:BYTE_3 src1_sel:DWORD
	v_and_b32_e32 v34, 0x7f800000, v2
	v_mov_b32_e32 v35, v39
	v_and_b32_e32 v38, 0x7fffff, v2
	v_or_b32_e32 v11, 0x7e, v10
	v_cmp_ne_u64_e32 vcc, s[42:43], v[34:35]
	s_and_saveexec_b64 s[22:23], vcc
	s_xor_b64 s[56:57], exec, s[22:23]
	s_cbranch_execz .LBB4_1282
; %bb.1273:                             ;   in Loop: Header=BB4_124 Depth=2
	v_and_b32_e32 v34, 0x7fffffff, v2
	v_mov_b32_e32 v35, v39
	v_cmp_gt_u64_e32 vcc, s[44:45], v[34:35]
	s_and_saveexec_b64 s[58:59], vcc
	s_cbranch_execz .LBB4_1281
; %bb.1274:                             ;   in Loop: Header=BB4_124 Depth=2
	v_cmp_ne_u32_e32 vcc, 0, v2
	v_mov_b32_e32 v11, 0
	s_and_saveexec_b64 s[60:61], vcc
	s_cbranch_execz .LBB4_1280
; %bb.1275:                             ;   in Loop: Header=BB4_124 Depth=2
	v_bfe_u32 v2, v2, 23, 8
	v_sub_u32_e32 v11, 0x79, v2
	v_cmp_gt_u32_e32 vcc, s77, v2
	v_add_u32_e32 v3, 0xffffff81, v2
	v_cndmask_b32_e32 v11, 0, v11, vcc
	v_cmp_eq_u32_e32 vcc, 0, v2
	v_mov_b32_e32 v2, 0xffffff82
	v_cndmask_b32_e32 v34, v3, v2, vcc
	v_mov_b32_e32 v2, 0x78
	v_or_b32_e32 v33, 0x800000, v38
	v_cndmask_b32_e32 v11, v11, v2, vcc
	v_cndmask_b32_e32 v38, v33, v38, vcc
	v_add_u32_e32 v2, 20, v11
	v_lshlrev_b64 v[2:3], v2, -1
	v_add_u32_e32 v33, 19, v11
	v_lshrrev_b64 v[48:49], v11, v[38:39]
	v_not_b32_e32 v3, v3
	v_not_b32_e32 v2, v2
	v_lshlrev_b64 v[36:37], v33, 1
	v_lshrrev_b32_e32 v33, 23, v48
	v_and_b32_e32 v3, 0, v3
	v_and_b32_e32 v2, v38, v2
	v_add3_u32 v34, v11, v34, v33
	v_bfe_u32 v11, v48, 20, 1
	v_add_u32_e32 v11, -1, v11
	v_cmp_eq_u64_e32 vcc, v[2:3], v[36:37]
	v_cndmask_b32_e32 v2, 0, v11, vcc
	v_add_u32_e32 v2, v2, v48
	v_and_b32_e32 v2, 0xfffff, v2
	v_add_co_u32_e32 v2, vcc, v2, v48
	v_add_u32_e32 v33, 6, v34
	v_addc_co_u32_e32 v3, vcc, 0, v49, vcc
	v_cmp_ne_u32_e32 vcc, 0, v33
                                        ; implicit-def: $vgpr11
	s_and_saveexec_b64 s[22:23], vcc
	s_xor_b64 s[22:23], exec, s[22:23]
; %bb.1276:                             ;   in Loop: Header=BB4_124 Depth=2
	v_add_u32_e32 v11, 7, v34
	v_cmp_lt_u64_e32 vcc, s[48:49], v[2:3]
	v_cndmask_b32_e32 v11, v33, v11, vcc
	v_cndmask_b32_e64 v33, 0, 1, vcc
	v_lshrrev_b64 v[2:3], v33, v[2:3]
; %bb.1277:                             ;   in Loop: Header=BB4_124 Depth=2
	s_andn2_saveexec_b64 s[22:23], s[22:23]
; %bb.1278:                             ;   in Loop: Header=BB4_124 Depth=2
	v_bfe_u32 v11, v2, 23, 1
; %bb.1279:                             ;   in Loop: Header=BB4_124 Depth=2
	s_or_b64 exec, exec, s[22:23]
	v_lshrrev_b64 v[2:3], 20, v[2:3]
	v_cmp_gt_i32_e32 vcc, 16, v11
	v_cndmask_b32_e32 v3, 0, v3, vcc
	v_cndmask_b32_e32 v2, 7, v2, vcc
	v_cmp_eq_u64_e64 s[22:23], 0, v[2:3]
	v_min_i32_e32 v3, 15, v11
	v_lshlrev_b32_e32 v3, 3, v3
	v_cmp_eq_u32_e32 vcc, 0, v11
	v_and_b32_e32 v3, 0xf8, v3
	v_and_or_b32 v2, v2, 7, v3
	s_and_b64 s[22:23], vcc, s[22:23]
	v_cndmask_b32_e64 v2, v2, 0, s[22:23]
	v_or_b32_e32 v11, v2, v10
.LBB4_1280:                             ;   in Loop: Header=BB4_124 Depth=2
	s_or_b64 exec, exec, s[60:61]
.LBB4_1281:                             ;   in Loop: Header=BB4_124 Depth=2
	s_or_b64 exec, exec, s[58:59]
                                        ; implicit-def: $vgpr2
.LBB4_1282:                             ;   in Loop: Header=BB4_124 Depth=2
	s_andn2_saveexec_b64 s[22:23], s[56:57]
; %bb.1283:                             ;   in Loop: Header=BB4_124 Depth=2
	v_or_b32_sdwa v2, v2, s75 dst_sel:DWORD dst_unused:UNUSED_PAD src0_sel:BYTE_3 src1_sel:DWORD
	v_cmp_eq_u64_e32 vcc, 0, v[38:39]
	v_cndmask_b32_e32 v11, v2, v11, vcc
; %bb.1284:                             ;   in Loop: Header=BB4_124 Depth=2
	s_or_b64 exec, exec, s[22:23]
	v_lshlrev_b32_e32 v10, 8, v20
	v_cmp_ne_u16_sdwa vcc, v43, v39 src0_sel:BYTE_0 src1_sel:DWORD
	v_mov_b32_e32 v2, 0
	v_mov_b32_e32 v3, 0
	s_and_saveexec_b64 s[22:23], vcc
	s_cbranch_execz .LBB4_1290
; %bb.1285:                             ;   in Loop: Header=BB4_124 Depth=2
	v_cmp_ne_u16_sdwa vcc, v43, s76 src0_sel:BYTE_0 src1_sel:DWORD
	v_bfrev_b32_e32 v3, 1
	s_and_saveexec_b64 s[56:57], vcc
	s_cbranch_execz .LBB4_1289
; %bb.1286:                             ;   in Loop: Header=BB4_124 Depth=2
	v_and_b32_e32 v33, 0x7f, v43
	v_cmp_ne_u32_e32 vcc, s75, v33
	v_mov_b32_e32 v3, 0x7f800001
	s_and_saveexec_b64 s[58:59], vcc
	s_cbranch_execz .LBB4_1288
; %bb.1287:                             ;   in Loop: Header=BB4_124 Depth=2
	v_and_b32_e32 v3, 7, v43
	v_ffbh_u32_e32 v3, v3
	v_min_u32_e32 v3, 32, v3
	v_subrev_u32_e32 v35, 28, v3
	v_cmp_gt_u32_e32 vcc, 8, v33
	v_lshrrev_b32_e32 v34, 3, v33
	v_perm_b32 v20, v10, v43, s78
	v_sub_u32_e32 v3, 29, v3
	v_cndmask_b32_e32 v33, 0, v35, vcc
	v_cndmask_b32_e32 v3, v34, v3, vcc
	v_lshlrev_b64 v[34:35], v33, v[20:21]
	v_lshlrev_b32_e32 v20, 20, v34
	v_lshlrev_b32_e32 v33, 24, v43
	v_bfrev_b32_e32 v34, 60
	v_and_b32_e32 v20, 0x700000, v20
	v_and_b32_e32 v33, 0x80000000, v33
	v_lshl_add_u32 v3, v3, 23, v34
	v_or3_b32 v3, v33, v3, v20
.LBB4_1288:                             ;   in Loop: Header=BB4_124 Depth=2
	s_or_b64 exec, exec, s[58:59]
.LBB4_1289:                             ;   in Loop: Header=BB4_124 Depth=2
	s_or_b64 exec, exec, s[56:57]
.LBB4_1290:                             ;   in Loop: Header=BB4_124 Depth=2
	s_or_b64 exec, exec, s[22:23]
	v_cmp_ne_u16_sdwa vcc, v12, v39 src0_sel:BYTE_0 src1_sel:DWORD
	s_and_saveexec_b64 s[22:23], vcc
	s_cbranch_execz .LBB4_1296
; %bb.1291:                             ;   in Loop: Header=BB4_124 Depth=2
	v_cmp_ne_u16_sdwa vcc, v12, s76 src0_sel:BYTE_0 src1_sel:DWORD
	v_bfrev_b32_e32 v2, 1
	s_and_saveexec_b64 s[56:57], vcc
	s_cbranch_execz .LBB4_1295
; %bb.1292:                             ;   in Loop: Header=BB4_124 Depth=2
	v_and_b32_e32 v33, 0x7f, v12
	v_cmp_ne_u32_e32 vcc, s75, v33
	v_mov_b32_e32 v2, 0x7f800001
	s_and_saveexec_b64 s[58:59], vcc
	s_cbranch_execz .LBB4_1294
; %bb.1293:                             ;   in Loop: Header=BB4_124 Depth=2
	v_and_b32_e32 v2, 7, v12
	v_ffbh_u32_e32 v2, v2
	v_min_u32_e32 v2, 32, v2
	v_lshrrev_b32_e32 v20, 3, v33
	v_subrev_u32_e32 v34, 28, v2
	v_sub_u32_e32 v2, 29, v2
	v_cmp_gt_u32_e32 vcc, 8, v33
	v_cndmask_b32_e32 v2, v20, v2, vcc
	v_cndmask_b32_e32 v20, 0, v34, vcc
	v_lshlrev_b64 v[34:35], v20, v[12:13]
	v_lshlrev_b32_e32 v20, 20, v34
	v_lshlrev_b32_e32 v33, 24, v12
	v_bfrev_b32_e32 v34, 60
	v_and_b32_e32 v20, 0x700000, v20
	v_and_b32_e32 v33, 0x80000000, v33
	v_lshl_add_u32 v2, v2, 23, v34
	v_or3_b32 v2, v33, v2, v20
.LBB4_1294:                             ;   in Loop: Header=BB4_124 Depth=2
	s_or_b64 exec, exec, s[58:59]
.LBB4_1295:                             ;   in Loop: Header=BB4_124 Depth=2
	s_or_b64 exec, exec, s[56:57]
.LBB4_1296:                             ;   in Loop: Header=BB4_124 Depth=2
	s_or_b64 exec, exec, s[22:23]
	v_add_f32_e32 v2, v3, v2
	v_and_b32_sdwa v34, v2, s76 dst_sel:DWORD dst_unused:UNUSED_PAD src0_sel:BYTE_3 src1_sel:DWORD
	v_and_b32_e32 v36, 0x7f800000, v2
	v_mov_b32_e32 v37, v39
	v_and_b32_e32 v38, 0x7fffff, v2
	v_or_b32_e32 v33, 0x7e, v34
	v_cmp_ne_u64_e32 vcc, s[42:43], v[36:37]
	s_and_saveexec_b64 s[22:23], vcc
	s_xor_b64 s[56:57], exec, s[22:23]
	s_cbranch_execz .LBB4_1306
; %bb.1297:                             ;   in Loop: Header=BB4_124 Depth=2
	v_and_b32_e32 v36, 0x7fffffff, v2
	v_mov_b32_e32 v37, v39
	v_cmp_gt_u64_e32 vcc, s[44:45], v[36:37]
	s_and_saveexec_b64 s[58:59], vcc
	s_cbranch_execz .LBB4_1305
; %bb.1298:                             ;   in Loop: Header=BB4_124 Depth=2
	v_cmp_ne_u32_e32 vcc, 0, v2
	v_mov_b32_e32 v33, 0
	s_and_saveexec_b64 s[60:61], vcc
	s_cbranch_execz .LBB4_1304
; %bb.1299:                             ;   in Loop: Header=BB4_124 Depth=2
	v_bfe_u32 v2, v2, 23, 8
	v_sub_u32_e32 v20, 0x79, v2
	v_cmp_gt_u32_e32 vcc, s77, v2
	v_add_u32_e32 v3, 0xffffff81, v2
	v_cndmask_b32_e32 v20, 0, v20, vcc
	v_cmp_eq_u32_e32 vcc, 0, v2
	v_mov_b32_e32 v2, 0xffffff82
	v_cndmask_b32_e32 v35, v3, v2, vcc
	v_mov_b32_e32 v2, 0x78
	v_or_b32_e32 v33, 0x800000, v38
	v_cndmask_b32_e32 v20, v20, v2, vcc
	v_cndmask_b32_e32 v38, v33, v38, vcc
	v_add_u32_e32 v2, 20, v20
	v_lshlrev_b64 v[2:3], v2, -1
	v_add_u32_e32 v33, 19, v20
	v_lshrrev_b64 v[50:51], v20, v[38:39]
	v_not_b32_e32 v3, v3
	v_not_b32_e32 v2, v2
	v_lshlrev_b64 v[48:49], v33, 1
	v_lshrrev_b32_e32 v33, 23, v50
	v_and_b32_e32 v3, 0, v3
	v_and_b32_e32 v2, v38, v2
	v_add3_u32 v36, v20, v35, v33
	v_bfe_u32 v20, v50, 20, 1
	v_add_u32_e32 v20, -1, v20
	v_cmp_eq_u64_e32 vcc, v[2:3], v[48:49]
	v_cndmask_b32_e32 v2, 0, v20, vcc
	v_add_u32_e32 v2, v2, v50
	v_and_b32_e32 v2, 0xfffff, v2
	v_add_co_u32_e32 v2, vcc, v2, v50
	v_add_u32_e32 v35, 6, v36
	v_addc_co_u32_e32 v3, vcc, 0, v51, vcc
	v_cmp_ne_u32_e32 vcc, 0, v35
                                        ; implicit-def: $vgpr33
	s_and_saveexec_b64 s[22:23], vcc
	s_xor_b64 s[22:23], exec, s[22:23]
; %bb.1300:                             ;   in Loop: Header=BB4_124 Depth=2
	v_add_u32_e32 v20, 7, v36
	v_cmp_lt_u64_e32 vcc, s[48:49], v[2:3]
	v_cndmask_b32_e32 v33, v35, v20, vcc
	v_cndmask_b32_e64 v20, 0, 1, vcc
	v_lshrrev_b64 v[2:3], v20, v[2:3]
; %bb.1301:                             ;   in Loop: Header=BB4_124 Depth=2
	s_andn2_saveexec_b64 s[22:23], s[22:23]
; %bb.1302:                             ;   in Loop: Header=BB4_124 Depth=2
	v_bfe_u32 v33, v2, 23, 1
; %bb.1303:                             ;   in Loop: Header=BB4_124 Depth=2
	s_or_b64 exec, exec, s[22:23]
	v_lshrrev_b64 v[2:3], 20, v[2:3]
	v_cmp_gt_i32_e32 vcc, 16, v33
	v_cndmask_b32_e32 v3, 0, v3, vcc
	v_cndmask_b32_e32 v2, 7, v2, vcc
	v_cmp_eq_u64_e64 s[22:23], 0, v[2:3]
	v_min_i32_e32 v3, 15, v33
	v_cmp_eq_u32_e32 vcc, 0, v33
	v_lshlrev_b32_e32 v3, 3, v3
	v_and_or_b32 v2, v2, 7, v3
	s_and_b64 s[22:23], vcc, s[22:23]
	v_cndmask_b32_e64 v2, v2, 0, s[22:23]
	v_or_b32_e32 v33, v2, v34
.LBB4_1304:                             ;   in Loop: Header=BB4_124 Depth=2
	s_or_b64 exec, exec, s[60:61]
.LBB4_1305:                             ;   in Loop: Header=BB4_124 Depth=2
	s_or_b64 exec, exec, s[58:59]
                                        ; implicit-def: $vgpr2
.LBB4_1306:                             ;   in Loop: Header=BB4_124 Depth=2
	s_andn2_saveexec_b64 s[22:23], s[56:57]
; %bb.1307:                             ;   in Loop: Header=BB4_124 Depth=2
	v_or_b32_sdwa v2, v2, s75 dst_sel:DWORD dst_unused:UNUSED_PAD src0_sel:BYTE_3 src1_sel:DWORD
	v_cmp_eq_u64_e32 vcc, 0, v[38:39]
	v_cndmask_b32_e32 v33, v2, v33, vcc
; %bb.1308:                             ;   in Loop: Header=BB4_124 Depth=2
	s_or_b64 exec, exec, s[22:23]
	v_lshrrev_b16_e32 v2, 8, v10
	v_cmp_ne_u16_e32 vcc, 0, v2
	v_mov_b32_e32 v3, 0
	v_mov_b32_e32 v34, 0
	s_and_saveexec_b64 s[22:23], vcc
	s_cbranch_execz .LBB4_1314
; %bb.1309:                             ;   in Loop: Header=BB4_124 Depth=2
	v_cmp_ne_u16_e32 vcc, s76, v2
	v_bfrev_b32_e32 v34, 1
	s_and_saveexec_b64 s[56:57], vcc
	s_cbranch_execz .LBB4_1313
; %bb.1310:                             ;   in Loop: Header=BB4_124 Depth=2
	v_and_b32_e32 v35, 0x7f, v2
	v_cmp_ne_u32_e32 vcc, s75, v35
	v_mov_b32_e32 v34, 0x7f800001
	s_and_saveexec_b64 s[58:59], vcc
	s_cbranch_execz .LBB4_1312
; %bb.1311:                             ;   in Loop: Header=BB4_124 Depth=2
	v_and_b32_e32 v20, 7, v2
	v_ffbh_u32_e32 v36, v20
	v_min_u32_e32 v38, 32, v36
	v_subrev_u32_e32 v36, 28, v38
	v_lshlrev_b64 v[36:37], v36, v[2:3]
	v_lshrrev_b32_e32 v34, 3, v35
	v_sub_u32_e32 v2, 29, v38
	v_and_b32_e32 v36, 7, v36
	v_cmp_gt_u32_e32 vcc, 8, v35
	v_cndmask_b32_e32 v2, v34, v2, vcc
	v_cndmask_b32_e32 v20, v20, v36, vcc
	v_lshlrev_b32_e32 v10, 16, v10
	v_bfrev_b32_e32 v34, 60
	v_lshlrev_b32_e32 v20, 20, v20
	v_and_b32_e32 v10, 0x80000000, v10
	v_lshl_add_u32 v2, v2, 23, v34
	v_or3_b32 v34, v10, v2, v20
.LBB4_1312:                             ;   in Loop: Header=BB4_124 Depth=2
	s_or_b64 exec, exec, s[58:59]
.LBB4_1313:                             ;   in Loop: Header=BB4_124 Depth=2
	s_or_b64 exec, exec, s[56:57]
.LBB4_1314:                             ;   in Loop: Header=BB4_124 Depth=2
	s_or_b64 exec, exec, s[22:23]
	v_lshrrev_b16_e32 v2, 8, v12
	v_cmp_ne_u16_e32 vcc, 0, v2
	s_and_saveexec_b64 s[22:23], vcc
	s_cbranch_execz .LBB4_1320
; %bb.1315:                             ;   in Loop: Header=BB4_124 Depth=2
	v_cmp_ne_u16_e32 vcc, s76, v2
	v_bfrev_b32_e32 v3, 1
	s_and_saveexec_b64 s[56:57], vcc
	s_cbranch_execz .LBB4_1319
; %bb.1316:                             ;   in Loop: Header=BB4_124 Depth=2
	v_and_b32_e32 v10, 0x7f, v2
	v_cmp_ne_u32_e32 vcc, s75, v10
	v_mov_b32_e32 v3, 0x7f800001
	s_and_saveexec_b64 s[58:59], vcc
	s_cbranch_execz .LBB4_1318
; %bb.1317:                             ;   in Loop: Header=BB4_124 Depth=2
	v_and_b32_e32 v20, 7, v2
	v_ffbh_u32_e32 v3, v20
	v_min_u32_e32 v36, 32, v3
	v_subrev_u32_e32 v3, 28, v36
	v_lshlrev_b64 v[2:3], v3, v[2:3]
	v_lshrrev_b32_e32 v35, 3, v10
	v_sub_u32_e32 v3, 29, v36
	v_and_b32_e32 v2, 7, v2
	v_cmp_gt_u32_e32 vcc, 8, v10
	v_cndmask_b32_e32 v3, v35, v3, vcc
	v_cndmask_b32_e32 v2, v20, v2, vcc
	v_lshlrev_b32_e32 v10, 16, v12
	v_bfrev_b32_e32 v20, 60
	v_lshlrev_b32_e32 v2, 20, v2
	v_and_b32_e32 v10, 0x80000000, v10
	v_lshl_add_u32 v3, v3, 23, v20
	v_or3_b32 v3, v10, v3, v2
.LBB4_1318:                             ;   in Loop: Header=BB4_124 Depth=2
	s_or_b64 exec, exec, s[58:59]
.LBB4_1319:                             ;   in Loop: Header=BB4_124 Depth=2
	s_or_b64 exec, exec, s[56:57]
.LBB4_1320:                             ;   in Loop: Header=BB4_124 Depth=2
	s_or_b64 exec, exec, s[22:23]
	v_add_f32_e32 v2, v34, v3
	v_and_b32_sdwa v10, v2, s76 dst_sel:DWORD dst_unused:UNUSED_PAD src0_sel:BYTE_3 src1_sel:DWORD
	v_and_b32_e32 v36, 0x7f800000, v2
	v_mov_b32_e32 v37, v39
	v_and_b32_e32 v38, 0x7fffff, v2
	v_or_b32_e32 v34, 0x7e, v10
	v_cmp_ne_u64_e32 vcc, s[42:43], v[36:37]
	s_and_saveexec_b64 s[22:23], vcc
	s_xor_b64 s[56:57], exec, s[22:23]
	s_cbranch_execz .LBB4_1330
; %bb.1321:                             ;   in Loop: Header=BB4_124 Depth=2
	v_and_b32_e32 v36, 0x7fffffff, v2
	v_mov_b32_e32 v37, v39
	v_cmp_gt_u64_e32 vcc, s[44:45], v[36:37]
	s_and_saveexec_b64 s[58:59], vcc
	s_cbranch_execz .LBB4_1329
; %bb.1322:                             ;   in Loop: Header=BB4_124 Depth=2
	v_cmp_ne_u32_e32 vcc, 0, v2
	v_mov_b32_e32 v34, 0
	s_and_saveexec_b64 s[60:61], vcc
	s_cbranch_execz .LBB4_1328
; %bb.1323:                             ;   in Loop: Header=BB4_124 Depth=2
	v_bfe_u32 v2, v2, 23, 8
	v_sub_u32_e32 v20, 0x79, v2
	v_cmp_gt_u32_e32 vcc, s77, v2
	v_add_u32_e32 v3, 0xffffff81, v2
	v_cndmask_b32_e32 v20, 0, v20, vcc
	v_cmp_eq_u32_e32 vcc, 0, v2
	v_mov_b32_e32 v2, 0xffffff82
	v_cndmask_b32_e32 v35, v3, v2, vcc
	v_mov_b32_e32 v2, 0x78
	v_or_b32_e32 v34, 0x800000, v38
	v_cndmask_b32_e32 v20, v20, v2, vcc
	v_cndmask_b32_e32 v38, v34, v38, vcc
	v_add_u32_e32 v2, 20, v20
	v_lshlrev_b64 v[2:3], v2, -1
	v_add_u32_e32 v34, 19, v20
	v_lshrrev_b64 v[50:51], v20, v[38:39]
	v_not_b32_e32 v3, v3
	v_not_b32_e32 v2, v2
	v_lshlrev_b64 v[48:49], v34, 1
	v_lshrrev_b32_e32 v34, 23, v50
	v_and_b32_e32 v3, 0, v3
	v_and_b32_e32 v2, v38, v2
	v_add3_u32 v36, v20, v35, v34
	v_bfe_u32 v20, v50, 20, 1
	v_add_u32_e32 v20, -1, v20
	v_cmp_eq_u64_e32 vcc, v[2:3], v[48:49]
	v_cndmask_b32_e32 v2, 0, v20, vcc
	v_add_u32_e32 v2, v2, v50
	v_and_b32_e32 v2, 0xfffff, v2
	v_add_co_u32_e32 v2, vcc, v2, v50
	v_add_u32_e32 v35, 6, v36
	v_addc_co_u32_e32 v3, vcc, 0, v51, vcc
	v_cmp_ne_u32_e32 vcc, 0, v35
                                        ; implicit-def: $vgpr34
	s_and_saveexec_b64 s[22:23], vcc
	s_xor_b64 s[22:23], exec, s[22:23]
; %bb.1324:                             ;   in Loop: Header=BB4_124 Depth=2
	v_add_u32_e32 v20, 7, v36
	v_cmp_lt_u64_e32 vcc, s[48:49], v[2:3]
	v_cndmask_b32_e32 v34, v35, v20, vcc
	v_cndmask_b32_e64 v20, 0, 1, vcc
	v_lshrrev_b64 v[2:3], v20, v[2:3]
; %bb.1325:                             ;   in Loop: Header=BB4_124 Depth=2
	s_andn2_saveexec_b64 s[22:23], s[22:23]
; %bb.1326:                             ;   in Loop: Header=BB4_124 Depth=2
	v_bfe_u32 v34, v2, 23, 1
; %bb.1327:                             ;   in Loop: Header=BB4_124 Depth=2
	s_or_b64 exec, exec, s[22:23]
	v_lshrrev_b64 v[2:3], 20, v[2:3]
	v_cmp_gt_i32_e32 vcc, 16, v34
	v_cndmask_b32_e32 v3, 0, v3, vcc
	v_cndmask_b32_e32 v2, 7, v2, vcc
	v_cmp_eq_u64_e64 s[22:23], 0, v[2:3]
	v_min_i32_e32 v3, 15, v34
	v_cmp_eq_u32_e32 vcc, 0, v34
	v_lshlrev_b32_e32 v3, 3, v3
	v_and_or_b32 v2, v2, 7, v3
	s_and_b64 s[22:23], vcc, s[22:23]
	v_cndmask_b32_e64 v2, v2, 0, s[22:23]
	v_or_b32_e32 v34, v2, v10
.LBB4_1328:                             ;   in Loop: Header=BB4_124 Depth=2
	s_or_b64 exec, exec, s[60:61]
.LBB4_1329:                             ;   in Loop: Header=BB4_124 Depth=2
	s_or_b64 exec, exec, s[58:59]
                                        ; implicit-def: $vgpr2
.LBB4_1330:                             ;   in Loop: Header=BB4_124 Depth=2
	s_andn2_saveexec_b64 s[22:23], s[56:57]
; %bb.1331:                             ;   in Loop: Header=BB4_124 Depth=2
	v_or_b32_sdwa v2, v2, s75 dst_sel:DWORD dst_unused:UNUSED_PAD src0_sel:BYTE_3 src1_sel:DWORD
	v_cmp_eq_u64_e32 vcc, 0, v[38:39]
	v_cndmask_b32_e32 v34, v2, v34, vcc
; %bb.1332:                             ;   in Loop: Header=BB4_124 Depth=2
	s_or_b64 exec, exec, s[22:23]
	v_cmp_ne_u16_sdwa vcc, v58, v39 src0_sel:BYTE_0 src1_sel:DWORD
	v_mov_b32_e32 v3, 0
	v_mov_b32_e32 v10, 0
	s_and_saveexec_b64 s[22:23], vcc
	s_cbranch_execz .LBB4_1338
; %bb.1333:                             ;   in Loop: Header=BB4_124 Depth=2
	v_cmp_ne_u16_sdwa vcc, v58, s76 src0_sel:BYTE_0 src1_sel:DWORD
	v_bfrev_b32_e32 v10, 1
	s_and_saveexec_b64 s[56:57], vcc
	s_cbranch_execz .LBB4_1337
; %bb.1334:                             ;   in Loop: Header=BB4_124 Depth=2
	v_and_b32_e32 v2, 0x7f, v58
	v_cmp_ne_u32_e32 vcc, s75, v2
	v_mov_b32_e32 v10, 0x7f800001
	s_and_saveexec_b64 s[58:59], vcc
	s_cbranch_execz .LBB4_1336
; %bb.1335:                             ;   in Loop: Header=BB4_124 Depth=2
	v_and_b32_e32 v10, 7, v58
	v_ffbh_u32_e32 v35, v10
	v_min_u32_e32 v35, 32, v35
	v_subrev_u32_e32 v36, 28, v35
	v_lshlrev_b64 v[36:37], v36, v[58:59]
	v_lshrrev_b32_e32 v20, 3, v2
	v_sub_u32_e32 v35, 29, v35
	v_and_b32_e32 v36, 7, v36
	v_cmp_gt_u32_e32 vcc, 8, v2
	v_cndmask_b32_e32 v2, v20, v35, vcc
	v_cndmask_b32_e32 v10, v10, v36, vcc
	v_lshlrev_b32_e32 v20, 24, v58
	v_bfrev_b32_e32 v35, 60
	v_lshlrev_b32_e32 v10, 20, v10
	v_and_b32_e32 v20, 0x80000000, v20
	v_lshl_add_u32 v2, v2, 23, v35
	v_or3_b32 v10, v20, v2, v10
.LBB4_1336:                             ;   in Loop: Header=BB4_124 Depth=2
	s_or_b64 exec, exec, s[58:59]
.LBB4_1337:                             ;   in Loop: Header=BB4_124 Depth=2
	s_or_b64 exec, exec, s[56:57]
.LBB4_1338:                             ;   in Loop: Header=BB4_124 Depth=2
	s_or_b64 exec, exec, s[22:23]
	v_lshrrev_b32_e32 v2, 16, v12
	v_cmp_ne_u16_sdwa vcc, v2, v39 src0_sel:BYTE_0 src1_sel:DWORD
	s_and_saveexec_b64 s[22:23], vcc
	s_cbranch_execz .LBB4_1344
; %bb.1339:                             ;   in Loop: Header=BB4_124 Depth=2
	v_cmp_ne_u16_sdwa vcc, v2, s76 src0_sel:BYTE_0 src1_sel:DWORD
	v_bfrev_b32_e32 v3, 1
	s_and_saveexec_b64 s[56:57], vcc
	s_cbranch_execz .LBB4_1343
; %bb.1340:                             ;   in Loop: Header=BB4_124 Depth=2
	v_bfe_u32 v35, v12, 16, 7
	v_cmp_ne_u32_e32 vcc, s75, v35
	v_mov_b32_e32 v3, 0x7f800001
	s_and_saveexec_b64 s[58:59], vcc
	s_cbranch_execz .LBB4_1342
; %bb.1341:                             ;   in Loop: Header=BB4_124 Depth=2
	v_and_b32_e32 v20, 7, v2
	v_ffbh_u32_e32 v3, v20
	v_min_u32_e32 v37, 32, v3
	v_subrev_u32_e32 v3, 28, v37
	v_lshlrev_b64 v[2:3], v3, v[2:3]
	v_lshrrev_b32_e32 v36, 3, v35
	v_sub_u32_e32 v3, 29, v37
	v_and_b32_e32 v2, 7, v2
	v_cmp_gt_u32_e32 vcc, 8, v35
	v_cndmask_b32_e32 v3, v36, v3, vcc
	v_cndmask_b32_e32 v2, v20, v2, vcc
	v_lshlrev_b32_e32 v20, 8, v12
	v_bfrev_b32_e32 v35, 60
	v_lshlrev_b32_e32 v2, 20, v2
	v_and_b32_e32 v20, 0x80000000, v20
	v_lshl_add_u32 v3, v3, 23, v35
	v_or3_b32 v3, v20, v3, v2
.LBB4_1342:                             ;   in Loop: Header=BB4_124 Depth=2
	s_or_b64 exec, exec, s[58:59]
.LBB4_1343:                             ;   in Loop: Header=BB4_124 Depth=2
	s_or_b64 exec, exec, s[56:57]
.LBB4_1344:                             ;   in Loop: Header=BB4_124 Depth=2
	s_or_b64 exec, exec, s[22:23]
	v_add_f32_e32 v2, v10, v3
	v_and_b32_sdwa v10, v2, s76 dst_sel:DWORD dst_unused:UNUSED_PAD src0_sel:BYTE_3 src1_sel:DWORD
	v_and_b32_e32 v36, 0x7f800000, v2
	v_mov_b32_e32 v37, v39
	v_and_b32_e32 v38, 0x7fffff, v2
	v_or_b32_e32 v35, 0x7e, v10
	v_cmp_ne_u64_e32 vcc, s[42:43], v[36:37]
	s_and_saveexec_b64 s[22:23], vcc
	s_xor_b64 s[56:57], exec, s[22:23]
	s_cbranch_execz .LBB4_1354
; %bb.1345:                             ;   in Loop: Header=BB4_124 Depth=2
	v_and_b32_e32 v36, 0x7fffffff, v2
	v_mov_b32_e32 v37, v39
	v_cmp_gt_u64_e32 vcc, s[44:45], v[36:37]
	s_and_saveexec_b64 s[58:59], vcc
	s_cbranch_execz .LBB4_1353
; %bb.1346:                             ;   in Loop: Header=BB4_124 Depth=2
	v_cmp_ne_u32_e32 vcc, 0, v2
	v_mov_b32_e32 v35, 0
	s_and_saveexec_b64 s[60:61], vcc
	s_cbranch_execz .LBB4_1352
; %bb.1347:                             ;   in Loop: Header=BB4_124 Depth=2
	v_bfe_u32 v2, v2, 23, 8
	v_sub_u32_e32 v20, 0x79, v2
	v_cmp_gt_u32_e32 vcc, s77, v2
	v_add_u32_e32 v3, 0xffffff81, v2
	v_cndmask_b32_e32 v20, 0, v20, vcc
	v_cmp_eq_u32_e32 vcc, 0, v2
	v_mov_b32_e32 v2, 0xffffff82
	v_cndmask_b32_e32 v36, v3, v2, vcc
	v_mov_b32_e32 v2, 0x78
	v_or_b32_e32 v35, 0x800000, v38
	v_cndmask_b32_e32 v20, v20, v2, vcc
	v_cndmask_b32_e32 v38, v35, v38, vcc
	v_add_u32_e32 v2, 20, v20
	v_lshlrev_b64 v[2:3], v2, -1
	v_add_u32_e32 v35, 19, v20
	v_lshrrev_b64 v[50:51], v20, v[38:39]
	v_not_b32_e32 v3, v3
	v_not_b32_e32 v2, v2
	v_lshlrev_b64 v[48:49], v35, 1
	v_lshrrev_b32_e32 v35, 23, v50
	v_and_b32_e32 v3, 0, v3
	v_and_b32_e32 v2, v38, v2
	v_add3_u32 v37, v20, v36, v35
	v_bfe_u32 v20, v50, 20, 1
	v_add_u32_e32 v20, -1, v20
	v_cmp_eq_u64_e32 vcc, v[2:3], v[48:49]
	v_cndmask_b32_e32 v2, 0, v20, vcc
	v_add_u32_e32 v2, v2, v50
	v_and_b32_e32 v2, 0xfffff, v2
	v_add_co_u32_e32 v2, vcc, v2, v50
	v_add_u32_e32 v36, 6, v37
	v_addc_co_u32_e32 v3, vcc, 0, v51, vcc
	v_cmp_ne_u32_e32 vcc, 0, v36
                                        ; implicit-def: $vgpr35
	s_and_saveexec_b64 s[22:23], vcc
	s_xor_b64 s[22:23], exec, s[22:23]
; %bb.1348:                             ;   in Loop: Header=BB4_124 Depth=2
	v_add_u32_e32 v20, 7, v37
	v_cmp_lt_u64_e32 vcc, s[48:49], v[2:3]
	v_cndmask_b32_e32 v35, v36, v20, vcc
	v_cndmask_b32_e64 v20, 0, 1, vcc
	v_lshrrev_b64 v[2:3], v20, v[2:3]
; %bb.1349:                             ;   in Loop: Header=BB4_124 Depth=2
	s_andn2_saveexec_b64 s[22:23], s[22:23]
; %bb.1350:                             ;   in Loop: Header=BB4_124 Depth=2
	v_bfe_u32 v35, v2, 23, 1
; %bb.1351:                             ;   in Loop: Header=BB4_124 Depth=2
	s_or_b64 exec, exec, s[22:23]
	v_lshrrev_b64 v[2:3], 20, v[2:3]
	v_cmp_gt_i32_e32 vcc, 16, v35
	v_cndmask_b32_e32 v3, 0, v3, vcc
	v_cndmask_b32_e32 v2, 7, v2, vcc
	v_cmp_eq_u64_e64 s[22:23], 0, v[2:3]
	v_min_i32_e32 v3, 15, v35
	v_cmp_eq_u32_e32 vcc, 0, v35
	v_lshlrev_b32_e32 v3, 3, v3
	v_and_or_b32 v2, v2, 7, v3
	s_and_b64 s[22:23], vcc, s[22:23]
	v_cndmask_b32_e64 v2, v2, 0, s[22:23]
	v_or_b32_e32 v35, v2, v10
.LBB4_1352:                             ;   in Loop: Header=BB4_124 Depth=2
	s_or_b64 exec, exec, s[60:61]
.LBB4_1353:                             ;   in Loop: Header=BB4_124 Depth=2
	s_or_b64 exec, exec, s[58:59]
                                        ; implicit-def: $vgpr2
.LBB4_1354:                             ;   in Loop: Header=BB4_124 Depth=2
	s_andn2_saveexec_b64 s[22:23], s[56:57]
; %bb.1355:                             ;   in Loop: Header=BB4_124 Depth=2
	v_or_b32_sdwa v2, v2, s75 dst_sel:DWORD dst_unused:UNUSED_PAD src0_sel:BYTE_3 src1_sel:DWORD
	v_cmp_eq_u64_e32 vcc, 0, v[38:39]
	v_cndmask_b32_e32 v35, v2, v35, vcc
; %bb.1356:                             ;   in Loop: Header=BB4_124 Depth=2
	s_or_b64 exec, exec, s[22:23]
	v_lshlrev_b32_e32 v0, 8, v0
	v_and_b32_e32 v2, 0xff00, v0
	v_cmp_ne_u32_e32 vcc, 0, v2
	v_mov_b32_e32 v0, 0
	v_mov_b32_e32 v3, 0
	s_and_saveexec_b64 s[22:23], vcc
	s_cbranch_execz .LBB4_1362
; %bb.1357:                             ;   in Loop: Header=BB4_124 Depth=2
	v_cmp_ne_u32_e32 vcc, s79, v2
	v_bfrev_b32_e32 v3, 1
	s_and_saveexec_b64 s[56:57], vcc
	s_cbranch_execz .LBB4_1361
; %bb.1358:                             ;   in Loop: Header=BB4_124 Depth=2
	v_bfe_u32 v10, v2, 8, 7
	v_cmp_ne_u32_e32 vcc, s75, v10
	v_mov_b32_e32 v3, 0x7f800001
	s_and_saveexec_b64 s[58:59], vcc
	s_cbranch_execz .LBB4_1360
; %bb.1359:                             ;   in Loop: Header=BB4_124 Depth=2
	v_lshrrev_b32_e32 v20, 8, v2
	v_and_b32_e32 v3, 7, v20
	v_ffbh_u32_e32 v36, v3
	v_min_u32_e32 v48, 32, v36
	v_subrev_u32_e32 v36, 28, v48
	v_lshlrev_b64 v[36:37], v36, v[20:21]
	v_lshrrev_b32_e32 v38, 3, v10
	v_sub_u32_e32 v20, 29, v48
	v_and_b32_e32 v36, 7, v36
	v_cmp_gt_u32_e32 vcc, 8, v10
	v_cndmask_b32_e32 v10, v38, v20, vcc
	v_cndmask_b32_e32 v3, v3, v36, vcc
	v_lshlrev_b32_e32 v2, 16, v2
	v_bfrev_b32_e32 v20, 60
	v_lshlrev_b32_e32 v3, 20, v3
	v_and_b32_e32 v2, 0x80000000, v2
	v_lshl_add_u32 v10, v10, 23, v20
	v_or3_b32 v3, v2, v10, v3
.LBB4_1360:                             ;   in Loop: Header=BB4_124 Depth=2
	s_or_b64 exec, exec, s[58:59]
.LBB4_1361:                             ;   in Loop: Header=BB4_124 Depth=2
	s_or_b64 exec, exec, s[56:57]
.LBB4_1362:                             ;   in Loop: Header=BB4_124 Depth=2
	s_or_b64 exec, exec, s[22:23]
	v_cmp_lt_u32_e32 vcc, s47, v12
	s_and_saveexec_b64 s[22:23], vcc
	s_cbranch_execz .LBB4_1368
; %bb.1363:                             ;   in Loop: Header=BB4_124 Depth=2
	v_lshrrev_b32_e32 v2, 24, v12
	v_cmp_ne_u32_e32 vcc, s76, v2
	v_bfrev_b32_e32 v0, 1
	s_and_saveexec_b64 s[56:57], vcc
	s_cbranch_execz .LBB4_1367
; %bb.1364:                             ;   in Loop: Header=BB4_124 Depth=2
	v_bfe_u32 v10, v12, 24, 7
	v_cmp_ne_u32_e32 vcc, s75, v10
	v_mov_b32_e32 v0, 0x7f800001
	s_and_saveexec_b64 s[58:59], vcc
	s_cbranch_execz .LBB4_1366
; %bb.1365:                             ;   in Loop: Header=BB4_124 Depth=2
	v_and_b32_e32 v0, 7, v2
	v_ffbh_u32_e32 v36, v0
	v_min_u32_e32 v38, 32, v36
	v_subrev_u32_e32 v36, 28, v38
	v_lshlrev_b64 v[36:37], v36, v[2:3]
	v_lshrrev_b32_e32 v20, 3, v10
	v_sub_u32_e32 v37, 29, v38
	v_and_b32_e32 v36, 7, v36
	v_cmp_gt_u32_e32 vcc, 8, v10
	v_cndmask_b32_e32 v10, v20, v37, vcc
	v_cndmask_b32_e32 v0, v0, v36, vcc
	v_lshlrev_b32_e32 v2, 24, v2
	v_bfrev_b32_e32 v20, 60
	v_lshlrev_b32_e32 v0, 20, v0
	v_and_b32_e32 v2, 0x80000000, v2
	v_lshl_add_u32 v10, v10, 23, v20
	v_or3_b32 v0, v2, v10, v0
.LBB4_1366:                             ;   in Loop: Header=BB4_124 Depth=2
	s_or_b64 exec, exec, s[58:59]
.LBB4_1367:                             ;   in Loop: Header=BB4_124 Depth=2
	s_or_b64 exec, exec, s[56:57]
.LBB4_1368:                             ;   in Loop: Header=BB4_124 Depth=2
	s_or_b64 exec, exec, s[22:23]
	v_add_f32_e32 v2, v3, v0
	v_and_b32_sdwa v10, v2, s76 dst_sel:DWORD dst_unused:UNUSED_PAD src0_sel:BYTE_3 src1_sel:DWORD
	v_and_b32_e32 v36, 0x7f800000, v2
	v_mov_b32_e32 v37, v39
	v_and_b32_e32 v38, 0x7fffff, v2
	v_or_b32_e32 v0, 0x7e, v10
	v_cmp_ne_u64_e32 vcc, s[42:43], v[36:37]
	s_and_saveexec_b64 s[22:23], vcc
	s_xor_b64 s[56:57], exec, s[22:23]
	s_cbranch_execz .LBB4_1378
; %bb.1369:                             ;   in Loop: Header=BB4_124 Depth=2
	v_and_b32_e32 v36, 0x7fffffff, v2
	v_mov_b32_e32 v37, v39
	v_cmp_gt_u64_e32 vcc, s[44:45], v[36:37]
	s_and_saveexec_b64 s[58:59], vcc
	s_cbranch_execz .LBB4_1377
; %bb.1370:                             ;   in Loop: Header=BB4_124 Depth=2
	v_cmp_ne_u32_e32 vcc, 0, v2
	v_mov_b32_e32 v0, 0
	s_and_saveexec_b64 s[60:61], vcc
	s_cbranch_execz .LBB4_1376
; %bb.1371:                             ;   in Loop: Header=BB4_124 Depth=2
	v_bfe_u32 v0, v2, 23, 8
	v_sub_u32_e32 v3, 0x79, v0
	v_cmp_gt_u32_e32 vcc, s77, v0
	v_add_u32_e32 v2, 0xffffff81, v0
	v_cndmask_b32_e32 v3, 0, v3, vcc
	v_cmp_eq_u32_e32 vcc, 0, v0
	v_mov_b32_e32 v0, 0xffffff82
	v_cndmask_b32_e32 v0, v2, v0, vcc
	v_mov_b32_e32 v2, 0x78
	v_or_b32_e32 v20, 0x800000, v38
	v_cndmask_b32_e32 v36, v3, v2, vcc
	v_cndmask_b32_e32 v38, v20, v38, vcc
	v_add_u32_e32 v2, 20, v36
	v_lshlrev_b64 v[2:3], v2, -1
	v_add_u32_e32 v20, 19, v36
	v_lshrrev_b64 v[50:51], v36, v[38:39]
	v_not_b32_e32 v3, v3
	v_not_b32_e32 v2, v2
	v_lshlrev_b64 v[48:49], v20, 1
	v_lshrrev_b32_e32 v20, 23, v50
	v_and_b32_e32 v3, 0, v3
	v_and_b32_e32 v2, v38, v2
	v_add3_u32 v37, v36, v0, v20
	v_bfe_u32 v0, v50, 20, 1
	v_add_u32_e32 v0, -1, v0
	v_cmp_eq_u64_e32 vcc, v[2:3], v[48:49]
	v_cndmask_b32_e32 v0, 0, v0, vcc
	v_add_u32_e32 v0, v0, v50
	v_and_b32_e32 v0, 0xfffff, v0
	v_add_co_u32_e32 v2, vcc, v0, v50
	v_add_u32_e32 v36, 6, v37
	v_addc_co_u32_e32 v3, vcc, 0, v51, vcc
	v_cmp_ne_u32_e32 vcc, 0, v36
                                        ; implicit-def: $vgpr0
	s_and_saveexec_b64 s[22:23], vcc
	s_xor_b64 s[22:23], exec, s[22:23]
; %bb.1372:                             ;   in Loop: Header=BB4_124 Depth=2
	v_cmp_lt_u64_e32 vcc, s[48:49], v[2:3]
	v_add_u32_e32 v0, 7, v37
	v_cndmask_b32_e64 v20, 0, 1, vcc
	v_cndmask_b32_e32 v0, v36, v0, vcc
	v_lshrrev_b64 v[2:3], v20, v[2:3]
; %bb.1373:                             ;   in Loop: Header=BB4_124 Depth=2
	s_andn2_saveexec_b64 s[22:23], s[22:23]
; %bb.1374:                             ;   in Loop: Header=BB4_124 Depth=2
	v_bfe_u32 v0, v2, 23, 1
; %bb.1375:                             ;   in Loop: Header=BB4_124 Depth=2
	s_or_b64 exec, exec, s[22:23]
	v_lshrrev_b64 v[2:3], 20, v[2:3]
	v_cmp_gt_i32_e32 vcc, 16, v0
	v_cndmask_b32_e32 v3, 0, v3, vcc
	v_cndmask_b32_e32 v2, 7, v2, vcc
	v_cmp_eq_u32_e32 vcc, 0, v0
	v_min_i32_e32 v0, 15, v0
	v_cmp_eq_u64_e64 s[22:23], 0, v[2:3]
	v_lshlrev_b32_e32 v0, 3, v0
	v_and_or_b32 v0, v2, 7, v0
	s_and_b64 s[22:23], vcc, s[22:23]
	v_cndmask_b32_e64 v0, v0, 0, s[22:23]
	v_or_b32_e32 v0, v0, v10
.LBB4_1376:                             ;   in Loop: Header=BB4_124 Depth=2
	s_or_b64 exec, exec, s[60:61]
.LBB4_1377:                             ;   in Loop: Header=BB4_124 Depth=2
	s_or_b64 exec, exec, s[58:59]
                                        ; implicit-def: $vgpr2
.LBB4_1378:                             ;   in Loop: Header=BB4_124 Depth=2
	s_andn2_saveexec_b64 s[22:23], s[56:57]
; %bb.1379:                             ;   in Loop: Header=BB4_124 Depth=2
	v_or_b32_sdwa v2, v2, s75 dst_sel:DWORD dst_unused:UNUSED_PAD src0_sel:BYTE_3 src1_sel:DWORD
	v_cmp_eq_u64_e32 vcc, 0, v[38:39]
	v_cndmask_b32_e32 v0, v2, v0, vcc
; %bb.1380:                             ;   in Loop: Header=BB4_124 Depth=2
	s_or_b64 exec, exec, s[22:23]
	v_lshlrev_b32_e32 v10, 8, v26
	v_lshlrev_b32_e32 v2, 24, v54
	v_perm_b32 v3, v18, v19, s80
	v_or3_b32 v38, v3, v2, v10
	v_cmp_ne_u16_sdwa vcc, v19, v39 src0_sel:BYTE_0 src1_sel:DWORD
	v_mov_b32_e32 v3, 0
	v_mov_b32_e32 v2, 0
	s_and_saveexec_b64 s[22:23], vcc
	s_cbranch_execz .LBB4_1386
; %bb.1381:                             ;   in Loop: Header=BB4_124 Depth=2
	v_cmp_ne_u16_sdwa vcc, v19, s76 src0_sel:BYTE_0 src1_sel:DWORD
	v_bfrev_b32_e32 v2, 1
	s_and_saveexec_b64 s[56:57], vcc
	s_cbranch_execz .LBB4_1385
; %bb.1382:                             ;   in Loop: Header=BB4_124 Depth=2
	v_and_b32_e32 v26, 0x7f, v19
	v_cmp_ne_u32_e32 vcc, s75, v26
	v_mov_b32_e32 v2, 0x7f800001
	s_and_saveexec_b64 s[58:59], vcc
	s_cbranch_execz .LBB4_1384
; %bb.1383:                             ;   in Loop: Header=BB4_124 Depth=2
	v_and_b32_e32 v2, 7, v19
	v_ffbh_u32_e32 v2, v2
	v_min_u32_e32 v2, 32, v2
	v_lshrrev_b32_e32 v18, 3, v26
	v_subrev_u32_e32 v19, 28, v2
	v_sub_u32_e32 v2, 29, v2
	v_cmp_gt_u32_e32 vcc, 8, v26
	v_cndmask_b32_e32 v2, v18, v2, vcc
	v_cndmask_b32_e32 v18, 0, v19, vcc
	v_lshlrev_b64 v[18:19], v18, v[38:39]
	v_lshlrev_b32_e32 v18, 20, v18
	v_lshlrev_b32_e32 v19, 24, v38
	v_bfrev_b32_e32 v20, 60
	v_and_b32_e32 v18, 0x700000, v18
	v_and_b32_e32 v19, 0x80000000, v19
	v_lshl_add_u32 v2, v2, 23, v20
	v_or3_b32 v2, v19, v2, v18
.LBB4_1384:                             ;   in Loop: Header=BB4_124 Depth=2
	s_or_b64 exec, exec, s[58:59]
.LBB4_1385:                             ;   in Loop: Header=BB4_124 Depth=2
	s_or_b64 exec, exec, s[56:57]
.LBB4_1386:                             ;   in Loop: Header=BB4_124 Depth=2
	s_or_b64 exec, exec, s[22:23]
	v_cmp_ne_u16_sdwa vcc, v13, v39 src0_sel:BYTE_0 src1_sel:DWORD
	s_and_saveexec_b64 s[22:23], vcc
	s_cbranch_execz .LBB4_1392
; %bb.1387:                             ;   in Loop: Header=BB4_124 Depth=2
	v_cmp_ne_u16_sdwa vcc, v13, s76 src0_sel:BYTE_0 src1_sel:DWORD
	v_bfrev_b32_e32 v3, 1
	s_and_saveexec_b64 s[56:57], vcc
	s_cbranch_execz .LBB4_1391
; %bb.1388:                             ;   in Loop: Header=BB4_124 Depth=2
	v_and_b32_e32 v19, 0x7f, v13
	v_cmp_ne_u32_e32 vcc, s75, v19
	v_mov_b32_e32 v3, 0x7f800001
	s_and_saveexec_b64 s[58:59], vcc
	s_cbranch_execz .LBB4_1390
; %bb.1389:                             ;   in Loop: Header=BB4_124 Depth=2
	v_and_b32_e32 v3, 7, v13
	v_ffbh_u32_e32 v3, v3
	v_min_u32_e32 v3, 32, v3
	v_lshrrev_b32_e32 v18, 3, v19
	v_subrev_u32_e32 v20, 28, v3
	v_sub_u32_e32 v3, 29, v3
	v_cmp_gt_u32_e32 vcc, 8, v19
	v_mov_b32_e32 v36, v13
	v_mov_b32_e32 v37, v39
	v_cndmask_b32_e32 v3, v18, v3, vcc
	v_cndmask_b32_e32 v18, 0, v20, vcc
	v_lshlrev_b64 v[18:19], v18, v[36:37]
	v_lshlrev_b32_e32 v18, 20, v18
	v_lshlrev_b32_e32 v19, 24, v36
	v_bfrev_b32_e32 v20, 60
	v_and_b32_e32 v18, 0x700000, v18
	v_and_b32_e32 v19, 0x80000000, v19
	v_lshl_add_u32 v3, v3, 23, v20
	v_or3_b32 v3, v19, v3, v18
.LBB4_1390:                             ;   in Loop: Header=BB4_124 Depth=2
	s_or_b64 exec, exec, s[58:59]
.LBB4_1391:                             ;   in Loop: Header=BB4_124 Depth=2
	s_or_b64 exec, exec, s[56:57]
.LBB4_1392:                             ;   in Loop: Header=BB4_124 Depth=2
	s_or_b64 exec, exec, s[22:23]
	v_add_f32_e32 v36, v2, v3
	v_and_b32_sdwa v26, v36, s76 dst_sel:DWORD dst_unused:UNUSED_PAD src0_sel:BYTE_3 src1_sel:DWORD
	v_and_b32_e32 v48, 0x7f800000, v36
	v_mov_b32_e32 v49, v39
	v_and_b32_e32 v2, 0x7fffff, v36
	v_mov_b32_e32 v3, v39
	v_or_b32_e32 v19, 0x7e, v26
	v_cmp_ne_u64_e32 vcc, s[42:43], v[48:49]
	s_and_saveexec_b64 s[22:23], vcc
	s_xor_b64 s[56:57], exec, s[22:23]
	s_cbranch_execz .LBB4_1402
; %bb.1393:                             ;   in Loop: Header=BB4_124 Depth=2
	v_and_b32_e32 v48, 0x7fffffff, v36
	v_mov_b32_e32 v49, v39
	v_cmp_gt_u64_e32 vcc, s[44:45], v[48:49]
	s_and_saveexec_b64 s[58:59], vcc
	s_cbranch_execz .LBB4_1401
; %bb.1394:                             ;   in Loop: Header=BB4_124 Depth=2
	v_cmp_ne_u32_e32 vcc, 0, v36
	v_mov_b32_e32 v19, 0
	s_and_saveexec_b64 s[60:61], vcc
	s_cbranch_execz .LBB4_1400
; %bb.1395:                             ;   in Loop: Header=BB4_124 Depth=2
	v_bfe_u32 v18, v36, 23, 8
	v_sub_u32_e32 v20, 0x79, v18
	v_cmp_gt_u32_e32 vcc, s77, v18
	v_add_u32_e32 v19, 0xffffff81, v18
	v_cndmask_b32_e32 v20, 0, v20, vcc
	v_cmp_eq_u32_e32 vcc, 0, v18
	v_mov_b32_e32 v18, 0xffffff82
	v_cndmask_b32_e32 v37, v19, v18, vcc
	v_mov_b32_e32 v18, 0x78
	v_cndmask_b32_e32 v20, v20, v18, vcc
	v_add_u32_e32 v18, 20, v20
	v_or_b32_e32 v36, 0x800000, v2
	v_lshlrev_b64 v[18:19], v18, -1
	v_cndmask_b32_e32 v2, v36, v2, vcc
	v_not_b32_e32 v18, v18
	v_and_b32_e32 v18, v2, v18
	v_add_u32_e32 v36, 19, v20
	v_lshrrev_b64 v[2:3], v20, v[2:3]
	v_not_b32_e32 v19, v19
	v_lshlrev_b64 v[48:49], v36, 1
	v_lshrrev_b32_e32 v36, 23, v2
	v_and_b32_e32 v19, 0, v19
	v_add3_u32 v37, v20, v37, v36
	v_bfe_u32 v20, v2, 20, 1
	v_add_u32_e32 v20, -1, v20
	v_cmp_eq_u64_e32 vcc, v[18:19], v[48:49]
	v_cndmask_b32_e32 v18, 0, v20, vcc
	v_add_u32_e32 v18, v18, v2
	v_and_b32_e32 v18, 0xfffff, v18
	v_add_co_u32_e32 v2, vcc, v18, v2
	v_add_u32_e32 v36, 6, v37
	v_addc_co_u32_e32 v3, vcc, 0, v3, vcc
	v_cmp_ne_u32_e32 vcc, 0, v36
                                        ; implicit-def: $vgpr19
	s_and_saveexec_b64 s[22:23], vcc
	s_xor_b64 s[22:23], exec, s[22:23]
; %bb.1396:                             ;   in Loop: Header=BB4_124 Depth=2
	v_add_u32_e32 v18, 7, v37
	v_cmp_lt_u64_e32 vcc, s[48:49], v[2:3]
	v_cndmask_b32_e32 v19, v36, v18, vcc
	v_cndmask_b32_e64 v18, 0, 1, vcc
	v_lshrrev_b64 v[2:3], v18, v[2:3]
; %bb.1397:                             ;   in Loop: Header=BB4_124 Depth=2
	s_andn2_saveexec_b64 s[22:23], s[22:23]
; %bb.1398:                             ;   in Loop: Header=BB4_124 Depth=2
	v_bfe_u32 v19, v2, 23, 1
; %bb.1399:                             ;   in Loop: Header=BB4_124 Depth=2
	s_or_b64 exec, exec, s[22:23]
	v_lshrrev_b64 v[2:3], 20, v[2:3]
	v_cmp_gt_i32_e32 vcc, 16, v19
	v_cndmask_b32_e32 v3, 0, v3, vcc
	v_cndmask_b32_e32 v2, 7, v2, vcc
	v_cmp_eq_u64_e64 s[22:23], 0, v[2:3]
	v_min_i32_e32 v3, 15, v19
	v_cmp_eq_u32_e32 vcc, 0, v19
	v_lshlrev_b32_e32 v3, 3, v3
	v_and_or_b32 v2, v2, 7, v3
	s_and_b64 s[22:23], vcc, s[22:23]
	v_cndmask_b32_e64 v2, v2, 0, s[22:23]
	v_or_b32_e32 v19, v2, v26
.LBB4_1400:                             ;   in Loop: Header=BB4_124 Depth=2
	s_or_b64 exec, exec, s[60:61]
.LBB4_1401:                             ;   in Loop: Header=BB4_124 Depth=2
	s_or_b64 exec, exec, s[58:59]
                                        ; implicit-def: $vgpr36
                                        ; implicit-def: $vgpr2_vgpr3
.LBB4_1402:                             ;   in Loop: Header=BB4_124 Depth=2
	s_andn2_saveexec_b64 s[22:23], s[56:57]
; %bb.1403:                             ;   in Loop: Header=BB4_124 Depth=2
	v_or_b32_sdwa v18, v36, s75 dst_sel:DWORD dst_unused:UNUSED_PAD src0_sel:BYTE_3 src1_sel:DWORD
	v_cmp_eq_u64_e32 vcc, 0, v[2:3]
	v_cndmask_b32_e32 v19, v18, v19, vcc
; %bb.1404:                             ;   in Loop: Header=BB4_124 Depth=2
	s_or_b64 exec, exec, s[22:23]
	v_lshrrev_b16_e32 v2, 8, v10
	v_cmp_ne_u16_e32 vcc, 0, v2
	v_mov_b32_e32 v3, 0
	v_mov_b32_e32 v26, 0
	s_and_saveexec_b64 s[22:23], vcc
	s_cbranch_execz .LBB4_1410
; %bb.1405:                             ;   in Loop: Header=BB4_124 Depth=2
	v_cmp_ne_u16_e32 vcc, s76, v2
	v_bfrev_b32_e32 v26, 1
	s_and_saveexec_b64 s[56:57], vcc
	s_cbranch_execz .LBB4_1409
; %bb.1406:                             ;   in Loop: Header=BB4_124 Depth=2
	v_and_b32_e32 v36, 0x7f, v2
	v_cmp_ne_u32_e32 vcc, s75, v36
	v_mov_b32_e32 v26, 0x7f800001
	s_and_saveexec_b64 s[58:59], vcc
	s_cbranch_execz .LBB4_1408
; %bb.1407:                             ;   in Loop: Header=BB4_124 Depth=2
	v_and_b32_e32 v18, 7, v2
	v_ffbh_u32_e32 v26, v18
	v_min_u32_e32 v26, 32, v26
	v_subrev_u32_e32 v37, 28, v26
	v_lshlrev_b64 v[48:49], v37, v[2:3]
	v_lshrrev_b32_e32 v20, 3, v36
	v_sub_u32_e32 v2, 29, v26
	v_and_b32_e32 v26, 7, v48
	v_cmp_gt_u32_e32 vcc, 8, v36
	v_cndmask_b32_e32 v2, v20, v2, vcc
	v_cndmask_b32_e32 v18, v18, v26, vcc
	v_lshlrev_b32_e32 v10, 16, v10
	v_bfrev_b32_e32 v20, 60
	v_lshlrev_b32_e32 v18, 20, v18
	v_and_b32_e32 v10, 0x80000000, v10
	v_lshl_add_u32 v2, v2, 23, v20
	v_or3_b32 v26, v10, v2, v18
.LBB4_1408:                             ;   in Loop: Header=BB4_124 Depth=2
	s_or_b64 exec, exec, s[58:59]
.LBB4_1409:                             ;   in Loop: Header=BB4_124 Depth=2
	s_or_b64 exec, exec, s[56:57]
.LBB4_1410:                             ;   in Loop: Header=BB4_124 Depth=2
	s_or_b64 exec, exec, s[22:23]
	v_mov_b32_e32 v2, v13
	v_lshrrev_b16_e32 v10, 8, v2
	v_cmp_ne_u16_e32 vcc, 0, v10
	s_and_saveexec_b64 s[22:23], vcc
	s_cbranch_execz .LBB4_1416
; %bb.1411:                             ;   in Loop: Header=BB4_124 Depth=2
	v_cmp_ne_u16_e32 vcc, s76, v10
	v_bfrev_b32_e32 v3, 1
	s_and_saveexec_b64 s[56:57], vcc
	s_cbranch_execz .LBB4_1415
; %bb.1412:                             ;   in Loop: Header=BB4_124 Depth=2
	v_and_b32_e32 v36, 0x7f, v10
	v_cmp_ne_u32_e32 vcc, s75, v36
	v_mov_b32_e32 v3, 0x7f800001
	s_and_saveexec_b64 s[58:59], vcc
	s_cbranch_execz .LBB4_1414
; %bb.1413:                             ;   in Loop: Header=BB4_124 Depth=2
	v_and_b32_e32 v3, 7, v10
	v_ffbh_u32_e32 v20, v3
	v_min_u32_e32 v20, 32, v20
	v_subrev_u32_e32 v37, 28, v20
	v_lshlrev_b64 v[48:49], v37, v[10:11]
	v_lshrrev_b32_e32 v18, 3, v36
	v_sub_u32_e32 v10, 29, v20
	v_and_b32_e32 v20, 7, v48
	v_cmp_gt_u32_e32 vcc, 8, v36
	v_cndmask_b32_e32 v10, v18, v10, vcc
	v_cndmask_b32_e32 v3, v3, v20, vcc
	v_lshlrev_b32_e32 v2, 16, v2
	v_bfrev_b32_e32 v18, 60
	v_lshlrev_b32_e32 v3, 20, v3
	v_and_b32_e32 v2, 0x80000000, v2
	v_lshl_add_u32 v10, v10, 23, v18
	v_or3_b32 v3, v2, v10, v3
.LBB4_1414:                             ;   in Loop: Header=BB4_124 Depth=2
	s_or_b64 exec, exec, s[58:59]
.LBB4_1415:                             ;   in Loop: Header=BB4_124 Depth=2
	s_or_b64 exec, exec, s[56:57]
.LBB4_1416:                             ;   in Loop: Header=BB4_124 Depth=2
	s_or_b64 exec, exec, s[22:23]
	v_add_f32_e32 v36, v26, v3
	v_and_b32_sdwa v26, v36, s76 dst_sel:DWORD dst_unused:UNUSED_PAD src0_sel:BYTE_3 src1_sel:DWORD
	v_and_b32_e32 v48, 0x7f800000, v36
	v_mov_b32_e32 v49, v39
	v_and_b32_e32 v2, 0x7fffff, v36
	v_mov_b32_e32 v3, v39
	v_or_b32_e32 v10, 0x7e, v26
	v_cmp_ne_u64_e32 vcc, s[42:43], v[48:49]
	s_and_saveexec_b64 s[22:23], vcc
	s_xor_b64 s[56:57], exec, s[22:23]
	s_cbranch_execz .LBB4_1426
; %bb.1417:                             ;   in Loop: Header=BB4_124 Depth=2
	v_and_b32_e32 v48, 0x7fffffff, v36
	v_mov_b32_e32 v49, v39
	v_cmp_gt_u64_e32 vcc, s[44:45], v[48:49]
	s_and_saveexec_b64 s[58:59], vcc
	s_cbranch_execz .LBB4_1425
; %bb.1418:                             ;   in Loop: Header=BB4_124 Depth=2
	v_cmp_ne_u32_e32 vcc, 0, v36
	v_mov_b32_e32 v10, 0
	s_and_saveexec_b64 s[60:61], vcc
	s_cbranch_execz .LBB4_1424
; %bb.1419:                             ;   in Loop: Header=BB4_124 Depth=2
	v_bfe_u32 v10, v36, 23, 8
	v_sub_u32_e32 v20, 0x79, v10
	v_cmp_gt_u32_e32 vcc, s77, v10
	v_add_u32_e32 v18, 0xffffff81, v10
	v_cndmask_b32_e32 v20, 0, v20, vcc
	v_cmp_eq_u32_e32 vcc, 0, v10
	v_mov_b32_e32 v10, 0xffffff82
	v_cndmask_b32_e32 v10, v18, v10, vcc
	v_mov_b32_e32 v18, 0x78
	v_cndmask_b32_e32 v18, v20, v18, vcc
	v_or_b32_e32 v36, 0x800000, v2
	v_add_u32_e32 v20, 20, v18
	v_cndmask_b32_e32 v2, v36, v2, vcc
	v_lshlrev_b64 v[36:37], v20, -1
	v_not_b32_e32 v20, v37
	v_not_b32_e32 v36, v36
	v_and_b32_e32 v49, 0, v20
	v_and_b32_e32 v48, v2, v36
	v_add_u32_e32 v20, 19, v18
	v_lshrrev_b64 v[2:3], v18, v[2:3]
	v_lshlrev_b64 v[50:51], v20, 1
	v_lshrrev_b32_e32 v20, 23, v2
	v_add3_u32 v37, v18, v10, v20
	v_bfe_u32 v10, v2, 20, 1
	v_add_u32_e32 v10, -1, v10
	v_cmp_eq_u64_e32 vcc, v[48:49], v[50:51]
	v_cndmask_b32_e32 v10, 0, v10, vcc
	v_add_u32_e32 v10, v10, v2
	v_and_b32_e32 v10, 0xfffff, v10
	v_add_co_u32_e32 v2, vcc, v10, v2
	v_add_u32_e32 v36, 6, v37
	v_addc_co_u32_e32 v3, vcc, 0, v3, vcc
	v_cmp_ne_u32_e32 vcc, 0, v36
                                        ; implicit-def: $vgpr10
	s_and_saveexec_b64 s[22:23], vcc
	s_xor_b64 s[22:23], exec, s[22:23]
; %bb.1420:                             ;   in Loop: Header=BB4_124 Depth=2
	v_cmp_lt_u64_e32 vcc, s[48:49], v[2:3]
	v_add_u32_e32 v10, 7, v37
	v_cndmask_b32_e64 v18, 0, 1, vcc
	v_cndmask_b32_e32 v10, v36, v10, vcc
	v_lshrrev_b64 v[2:3], v18, v[2:3]
; %bb.1421:                             ;   in Loop: Header=BB4_124 Depth=2
	s_andn2_saveexec_b64 s[22:23], s[22:23]
; %bb.1422:                             ;   in Loop: Header=BB4_124 Depth=2
	v_bfe_u32 v10, v2, 23, 1
; %bb.1423:                             ;   in Loop: Header=BB4_124 Depth=2
	s_or_b64 exec, exec, s[22:23]
	v_lshrrev_b64 v[2:3], 20, v[2:3]
	v_cmp_gt_i32_e32 vcc, 16, v10
	v_cndmask_b32_e32 v3, 0, v3, vcc
	v_cndmask_b32_e32 v2, 7, v2, vcc
	v_cmp_eq_u64_e64 s[22:23], 0, v[2:3]
	v_min_i32_e32 v3, 15, v10
	v_cmp_eq_u32_e32 vcc, 0, v10
	v_lshlrev_b32_e32 v3, 3, v3
	v_and_or_b32 v2, v2, 7, v3
	s_and_b64 s[22:23], vcc, s[22:23]
	v_cndmask_b32_e64 v2, v2, 0, s[22:23]
	v_or_b32_e32 v10, v2, v26
.LBB4_1424:                             ;   in Loop: Header=BB4_124 Depth=2
	s_or_b64 exec, exec, s[60:61]
.LBB4_1425:                             ;   in Loop: Header=BB4_124 Depth=2
	s_or_b64 exec, exec, s[58:59]
                                        ; implicit-def: $vgpr36
                                        ; implicit-def: $vgpr2_vgpr3
.LBB4_1426:                             ;   in Loop: Header=BB4_124 Depth=2
	s_andn2_saveexec_b64 s[22:23], s[56:57]
; %bb.1427:                             ;   in Loop: Header=BB4_124 Depth=2
	v_or_b32_sdwa v18, v36, s75 dst_sel:DWORD dst_unused:UNUSED_PAD src0_sel:BYTE_3 src1_sel:DWORD
	v_cmp_eq_u64_e32 vcc, 0, v[2:3]
	v_cndmask_b32_e32 v10, v18, v10, vcc
; %bb.1428:                             ;   in Loop: Header=BB4_124 Depth=2
	s_or_b64 exec, exec, s[22:23]
	v_lshrrev_b32_e32 v2, 16, v38
	v_cmp_ne_u16_sdwa vcc, v2, v39 src0_sel:BYTE_0 src1_sel:DWORD
	v_mov_b32_e32 v3, 0
	v_mov_b32_e32 v26, 0
	s_and_saveexec_b64 s[22:23], vcc
	s_cbranch_execz .LBB4_1434
; %bb.1429:                             ;   in Loop: Header=BB4_124 Depth=2
	v_cmp_ne_u16_sdwa vcc, v2, s76 src0_sel:BYTE_0 src1_sel:DWORD
	v_bfrev_b32_e32 v26, 1
	s_and_saveexec_b64 s[56:57], vcc
	s_cbranch_execz .LBB4_1433
; %bb.1430:                             ;   in Loop: Header=BB4_124 Depth=2
	v_bfe_u32 v36, v38, 16, 7
	v_cmp_ne_u32_e32 vcc, s75, v36
	v_mov_b32_e32 v26, 0x7f800001
	s_and_saveexec_b64 s[58:59], vcc
	s_cbranch_execz .LBB4_1432
; %bb.1431:                             ;   in Loop: Header=BB4_124 Depth=2
	v_and_b32_e32 v18, 7, v2
	v_ffbh_u32_e32 v26, v18
	v_min_u32_e32 v26, 32, v26
	v_subrev_u32_e32 v37, 28, v26
	v_lshlrev_b64 v[48:49], v37, v[2:3]
	v_lshrrev_b32_e32 v20, 3, v36
	v_sub_u32_e32 v26, 29, v26
	v_and_b32_e32 v37, 7, v48
	v_cmp_gt_u32_e32 vcc, 8, v36
	v_cndmask_b32_e32 v20, v20, v26, vcc
	v_cndmask_b32_e32 v18, v18, v37, vcc
	v_lshlrev_b32_e32 v2, 24, v2
	v_bfrev_b32_e32 v26, 60
	v_lshlrev_b32_e32 v18, 20, v18
	v_and_b32_e32 v2, 0x80000000, v2
	v_lshl_add_u32 v20, v20, 23, v26
	v_or3_b32 v26, v2, v20, v18
.LBB4_1432:                             ;   in Loop: Header=BB4_124 Depth=2
	s_or_b64 exec, exec, s[58:59]
.LBB4_1433:                             ;   in Loop: Header=BB4_124 Depth=2
	s_or_b64 exec, exec, s[56:57]
.LBB4_1434:                             ;   in Loop: Header=BB4_124 Depth=2
	s_or_b64 exec, exec, s[22:23]
	v_lshrrev_b32_e32 v2, 16, v13
	v_cmp_ne_u16_sdwa vcc, v2, v39 src0_sel:BYTE_0 src1_sel:DWORD
	s_and_saveexec_b64 s[22:23], vcc
	s_cbranch_execz .LBB4_1440
; %bb.1435:                             ;   in Loop: Header=BB4_124 Depth=2
	v_cmp_ne_u16_sdwa vcc, v2, s76 src0_sel:BYTE_0 src1_sel:DWORD
	v_bfrev_b32_e32 v3, 1
	s_and_saveexec_b64 s[56:57], vcc
	s_cbranch_execz .LBB4_1439
; %bb.1436:                             ;   in Loop: Header=BB4_124 Depth=2
	v_bfe_u32 v36, v13, 16, 7
	v_cmp_ne_u32_e32 vcc, s75, v36
	v_mov_b32_e32 v3, 0x7f800001
	s_and_saveexec_b64 s[58:59], vcc
	s_cbranch_execz .LBB4_1438
; %bb.1437:                             ;   in Loop: Header=BB4_124 Depth=2
	v_and_b32_e32 v18, 7, v2
	v_ffbh_u32_e32 v3, v18
	v_min_u32_e32 v37, 32, v3
	v_subrev_u32_e32 v3, 28, v37
	v_lshlrev_b64 v[2:3], v3, v[2:3]
	v_lshrrev_b32_e32 v20, 3, v36
	v_sub_u32_e32 v3, 29, v37
	v_and_b32_e32 v2, 7, v2
	v_cmp_gt_u32_e32 vcc, 8, v36
	v_cndmask_b32_e32 v3, v20, v3, vcc
	v_cndmask_b32_e32 v2, v18, v2, vcc
	v_lshlrev_b32_e32 v18, 8, v13
	v_bfrev_b32_e32 v20, 60
	v_lshlrev_b32_e32 v2, 20, v2
	v_and_b32_e32 v18, 0x80000000, v18
	v_lshl_add_u32 v3, v3, 23, v20
	v_or3_b32 v3, v18, v3, v2
.LBB4_1438:                             ;   in Loop: Header=BB4_124 Depth=2
	s_or_b64 exec, exec, s[58:59]
.LBB4_1439:                             ;   in Loop: Header=BB4_124 Depth=2
	s_or_b64 exec, exec, s[56:57]
.LBB4_1440:                             ;   in Loop: Header=BB4_124 Depth=2
	s_or_b64 exec, exec, s[22:23]
	v_add_f32_e32 v37, v26, v3
	v_and_b32_sdwa v36, v37, s76 dst_sel:DWORD dst_unused:UNUSED_PAD src0_sel:BYTE_3 src1_sel:DWORD
	v_and_b32_e32 v48, 0x7f800000, v37
	v_mov_b32_e32 v49, v39
	v_and_b32_e32 v2, 0x7fffff, v37
	v_mov_b32_e32 v3, v39
	v_or_b32_e32 v26, 0x7e, v36
	v_cmp_ne_u64_e32 vcc, s[42:43], v[48:49]
	s_and_saveexec_b64 s[22:23], vcc
	s_xor_b64 s[56:57], exec, s[22:23]
	s_cbranch_execz .LBB4_1450
; %bb.1441:                             ;   in Loop: Header=BB4_124 Depth=2
	v_and_b32_e32 v48, 0x7fffffff, v37
	v_mov_b32_e32 v49, v39
	v_cmp_gt_u64_e32 vcc, s[44:45], v[48:49]
	s_and_saveexec_b64 s[58:59], vcc
	s_cbranch_execz .LBB4_1449
; %bb.1442:                             ;   in Loop: Header=BB4_124 Depth=2
	v_cmp_ne_u32_e32 vcc, 0, v37
	v_mov_b32_e32 v26, 0
	s_and_saveexec_b64 s[60:61], vcc
	s_cbranch_execz .LBB4_1448
; %bb.1443:                             ;   in Loop: Header=BB4_124 Depth=2
	v_bfe_u32 v18, v37, 23, 8
	v_sub_u32_e32 v26, 0x79, v18
	v_cmp_gt_u32_e32 vcc, s77, v18
	v_add_u32_e32 v20, 0xffffff81, v18
	v_cndmask_b32_e32 v26, 0, v26, vcc
	v_cmp_eq_u32_e32 vcc, 0, v18
	v_mov_b32_e32 v18, 0xffffff82
	v_cndmask_b32_e32 v18, v20, v18, vcc
	v_mov_b32_e32 v20, 0x78
	v_cndmask_b32_e32 v20, v26, v20, vcc
	v_add_u32_e32 v26, 20, v20
	v_or_b32_e32 v37, 0x800000, v2
	v_lshlrev_b64 v[48:49], v26, -1
	v_cndmask_b32_e32 v2, v37, v2, vcc
	v_not_b32_e32 v26, v49
	v_not_b32_e32 v37, v48
	v_and_b32_e32 v51, 0, v26
	v_and_b32_e32 v50, v2, v37
	v_add_u32_e32 v26, 19, v20
	v_lshrrev_b64 v[2:3], v20, v[2:3]
	v_lshlrev_b64 v[52:53], v26, 1
	v_lshrrev_b32_e32 v26, 23, v2
	v_add3_u32 v48, v20, v18, v26
	v_bfe_u32 v18, v2, 20, 1
	v_add_u32_e32 v18, -1, v18
	v_cmp_eq_u64_e32 vcc, v[50:51], v[52:53]
	v_cndmask_b32_e32 v18, 0, v18, vcc
	v_add_u32_e32 v18, v18, v2
	v_and_b32_e32 v18, 0xfffff, v18
	v_add_co_u32_e32 v2, vcc, v18, v2
	v_add_u32_e32 v37, 6, v48
	v_addc_co_u32_e32 v3, vcc, 0, v3, vcc
	v_cmp_ne_u32_e32 vcc, 0, v37
                                        ; implicit-def: $vgpr26
	s_and_saveexec_b64 s[22:23], vcc
	s_xor_b64 s[22:23], exec, s[22:23]
; %bb.1444:                             ;   in Loop: Header=BB4_124 Depth=2
	v_add_u32_e32 v18, 7, v48
	v_cmp_lt_u64_e32 vcc, s[48:49], v[2:3]
	v_cndmask_b32_e32 v26, v37, v18, vcc
	v_cndmask_b32_e64 v18, 0, 1, vcc
	v_lshrrev_b64 v[2:3], v18, v[2:3]
; %bb.1445:                             ;   in Loop: Header=BB4_124 Depth=2
	s_andn2_saveexec_b64 s[22:23], s[22:23]
; %bb.1446:                             ;   in Loop: Header=BB4_124 Depth=2
	v_bfe_u32 v26, v2, 23, 1
; %bb.1447:                             ;   in Loop: Header=BB4_124 Depth=2
	s_or_b64 exec, exec, s[22:23]
	v_lshrrev_b64 v[2:3], 20, v[2:3]
	v_cmp_gt_i32_e32 vcc, 16, v26
	v_cndmask_b32_e32 v3, 0, v3, vcc
	v_cndmask_b32_e32 v2, 7, v2, vcc
	v_cmp_eq_u64_e64 s[22:23], 0, v[2:3]
	v_min_i32_e32 v3, 15, v26
	v_lshlrev_b32_e32 v3, 3, v3
	v_cmp_eq_u32_e32 vcc, 0, v26
	v_and_b32_e32 v3, 0xf8, v3
	v_and_or_b32 v2, v2, 7, v3
	s_and_b64 s[22:23], vcc, s[22:23]
	v_cndmask_b32_e64 v2, v2, 0, s[22:23]
	v_or_b32_e32 v26, v2, v36
	v_accvgpr_read_b32 v52, a48
.LBB4_1448:                             ;   in Loop: Header=BB4_124 Depth=2
	s_or_b64 exec, exec, s[60:61]
.LBB4_1449:                             ;   in Loop: Header=BB4_124 Depth=2
	s_or_b64 exec, exec, s[58:59]
                                        ; implicit-def: $vgpr37
                                        ; implicit-def: $vgpr2_vgpr3
.LBB4_1450:                             ;   in Loop: Header=BB4_124 Depth=2
	s_andn2_saveexec_b64 s[22:23], s[56:57]
; %bb.1451:                             ;   in Loop: Header=BB4_124 Depth=2
	v_or_b32_sdwa v18, v37, s75 dst_sel:DWORD dst_unused:UNUSED_PAD src0_sel:BYTE_3 src1_sel:DWORD
	v_cmp_eq_u64_e32 vcc, 0, v[2:3]
	v_cndmask_b32_e32 v26, v18, v26, vcc
; %bb.1452:                             ;   in Loop: Header=BB4_124 Depth=2
	s_or_b64 exec, exec, s[22:23]
	v_cmp_lt_u32_e32 vcc, s47, v38
	v_mov_b32_e32 v3, 0
	v_mov_b32_e32 v36, 0
	s_and_saveexec_b64 s[22:23], vcc
	s_cbranch_execz .LBB4_1458
; %bb.1453:                             ;   in Loop: Header=BB4_124 Depth=2
	v_lshrrev_b32_e32 v2, 24, v38
	v_cmp_ne_u32_sdwa vcc, v38, s76 src0_sel:BYTE_3 src1_sel:DWORD
	v_bfrev_b32_e32 v36, 1
	s_and_saveexec_b64 s[56:57], vcc
	s_cbranch_execz .LBB4_1457
; %bb.1454:                             ;   in Loop: Header=BB4_124 Depth=2
	v_bfe_u32 v37, v38, 24, 7
	v_cmp_ne_u32_e32 vcc, s75, v37
	v_mov_b32_e32 v36, 0x7f800001
	s_and_saveexec_b64 s[58:59], vcc
	s_cbranch_execz .LBB4_1456
; %bb.1455:                             ;   in Loop: Header=BB4_124 Depth=2
	v_and_b32_e32 v18, 7, v2
	v_ffbh_u32_e32 v36, v18
	v_min_u32_e32 v36, 32, v36
	v_subrev_u32_e32 v48, 28, v36
	v_lshrrev_b32_e32 v20, 3, v37
	v_lshlrev_b64 v[48:49], v48, v[2:3]
	v_sub_u32_e32 v2, 29, v36
	v_cmp_gt_u32_e32 vcc, 8, v37
	v_and_b32_e32 v36, 7, v48
	v_cndmask_b32_e32 v2, v20, v2, vcc
	v_mov_b32_e32 v20, 24
	v_cndmask_b32_e32 v18, v18, v36, vcc
	v_lshlrev_b32_sdwa v20, v20, v38 dst_sel:DWORD dst_unused:UNUSED_PAD src0_sel:DWORD src1_sel:BYTE_3
	v_bfrev_b32_e32 v36, 60
	v_lshlrev_b32_e32 v18, 20, v18
	v_and_b32_e32 v20, 0x80000000, v20
	v_lshl_add_u32 v2, v2, 23, v36
	v_or3_b32 v36, v20, v2, v18
.LBB4_1456:                             ;   in Loop: Header=BB4_124 Depth=2
	s_or_b64 exec, exec, s[58:59]
.LBB4_1457:                             ;   in Loop: Header=BB4_124 Depth=2
	s_or_b64 exec, exec, s[56:57]
.LBB4_1458:                             ;   in Loop: Header=BB4_124 Depth=2
	s_or_b64 exec, exec, s[22:23]
	v_cmp_lt_u64_e32 vcc, s[46:47], v[12:13]
	s_and_saveexec_b64 s[22:23], vcc
	s_cbranch_execz .LBB4_1464
; %bb.1459:                             ;   in Loop: Header=BB4_124 Depth=2
	v_lshrrev_b32_e32 v2, 24, v13
	v_cmp_ne_u32_e32 vcc, s76, v2
	v_bfrev_b32_e32 v3, 1
	s_and_saveexec_b64 s[56:57], vcc
	s_cbranch_execz .LBB4_1463
; %bb.1460:                             ;   in Loop: Header=BB4_124 Depth=2
	v_bfe_u32 v12, v13, 24, 7
	v_cmp_ne_u32_e32 vcc, s75, v12
	v_mov_b32_e32 v3, 0x7f800001
	s_and_saveexec_b64 s[58:59], vcc
	s_cbranch_execz .LBB4_1462
; %bb.1461:                             ;   in Loop: Header=BB4_124 Depth=2
	v_and_b32_e32 v3, 7, v2
	v_ffbh_u32_e32 v18, v3
	v_min_u32_e32 v18, 32, v18
	v_subrev_u32_e32 v20, 28, v18
	v_lshlrev_b64 v[48:49], v20, v[2:3]
	v_lshrrev_b32_e32 v13, 3, v12
	v_sub_u32_e32 v18, 29, v18
	v_and_b32_e32 v20, 7, v48
	v_cmp_gt_u32_e32 vcc, 8, v12
	v_cndmask_b32_e32 v12, v13, v18, vcc
	v_cndmask_b32_e32 v3, v3, v20, vcc
	v_lshlrev_b32_e32 v2, 24, v2
	v_bfrev_b32_e32 v13, 60
	v_lshlrev_b32_e32 v3, 20, v3
	v_and_b32_e32 v2, 0x80000000, v2
	v_lshl_add_u32 v12, v12, 23, v13
	v_or3_b32 v3, v2, v12, v3
.LBB4_1462:                             ;   in Loop: Header=BB4_124 Depth=2
	s_or_b64 exec, exec, s[58:59]
.LBB4_1463:                             ;   in Loop: Header=BB4_124 Depth=2
	s_or_b64 exec, exec, s[56:57]
.LBB4_1464:                             ;   in Loop: Header=BB4_124 Depth=2
	s_or_b64 exec, exec, s[22:23]
	v_add_f32_e32 v3, v36, v3
	v_and_b32_sdwa v12, v3, s76 dst_sel:DWORD dst_unused:UNUSED_PAD src0_sel:BYTE_3 src1_sel:DWORD
	v_and_b32_e32 v36, 0x7f800000, v3
	v_mov_b32_e32 v37, v39
	v_and_b32_e32 v38, 0x7fffff, v3
	v_or_b32_e32 v2, 0x7e, v12
	v_cmp_ne_u64_e32 vcc, s[42:43], v[36:37]
	s_and_saveexec_b64 s[22:23], vcc
	s_xor_b64 s[56:57], exec, s[22:23]
	s_cbranch_execz .LBB4_1474
; %bb.1465:                             ;   in Loop: Header=BB4_124 Depth=2
	v_and_b32_e32 v36, 0x7fffffff, v3
	v_mov_b32_e32 v37, v39
	v_cmp_gt_u64_e32 vcc, s[44:45], v[36:37]
	s_and_saveexec_b64 s[58:59], vcc
	s_cbranch_execz .LBB4_1473
; %bb.1466:                             ;   in Loop: Header=BB4_124 Depth=2
	v_cmp_ne_u32_e32 vcc, 0, v3
	v_mov_b32_e32 v2, 0
	s_and_saveexec_b64 s[60:61], vcc
	s_cbranch_execz .LBB4_1472
; %bb.1467:                             ;   in Loop: Header=BB4_124 Depth=2
	v_bfe_u32 v2, v3, 23, 8
	v_sub_u32_e32 v13, 0x79, v2
	v_cmp_gt_u32_e32 vcc, s77, v2
	v_add_u32_e32 v3, 0xffffff81, v2
	v_cndmask_b32_e32 v13, 0, v13, vcc
	v_cmp_eq_u32_e32 vcc, 0, v2
	v_mov_b32_e32 v2, 0xffffff82
	v_cndmask_b32_e32 v20, v3, v2, vcc
	v_mov_b32_e32 v2, 0x78
	v_or_b32_e32 v18, 0x800000, v38
	v_cndmask_b32_e32 v13, v13, v2, vcc
	v_cndmask_b32_e32 v38, v18, v38, vcc
	v_add_u32_e32 v2, 20, v13
	v_lshlrev_b64 v[2:3], v2, -1
	v_add_u32_e32 v18, 19, v13
	v_lshrrev_b64 v[50:51], v13, v[38:39]
	v_not_b32_e32 v3, v3
	v_not_b32_e32 v2, v2
	v_lshlrev_b64 v[48:49], v18, 1
	v_lshrrev_b32_e32 v18, 23, v50
	v_and_b32_e32 v3, 0, v3
	v_and_b32_e32 v2, v38, v2
	v_add3_u32 v37, v13, v20, v18
	v_bfe_u32 v13, v50, 20, 1
	v_add_u32_e32 v13, -1, v13
	v_cmp_eq_u64_e32 vcc, v[2:3], v[48:49]
	v_cndmask_b32_e32 v2, 0, v13, vcc
	v_add_u32_e32 v2, v2, v50
	v_and_b32_e32 v2, 0xfffff, v2
	v_add_co_u32_e32 v2, vcc, v2, v50
	v_add_u32_e32 v36, 6, v37
	v_addc_co_u32_e32 v3, vcc, 0, v51, vcc
	v_cmp_ne_u32_e32 vcc, 0, v36
                                        ; implicit-def: $vgpr13
	s_and_saveexec_b64 s[22:23], vcc
	s_xor_b64 s[22:23], exec, s[22:23]
; %bb.1468:                             ;   in Loop: Header=BB4_124 Depth=2
	v_cmp_lt_u64_e32 vcc, s[48:49], v[2:3]
	v_add_u32_e32 v13, 7, v37
	v_cndmask_b32_e64 v18, 0, 1, vcc
	v_cndmask_b32_e32 v13, v36, v13, vcc
	v_lshrrev_b64 v[2:3], v18, v[2:3]
; %bb.1469:                             ;   in Loop: Header=BB4_124 Depth=2
	s_andn2_saveexec_b64 s[22:23], s[22:23]
; %bb.1470:                             ;   in Loop: Header=BB4_124 Depth=2
	v_bfe_u32 v13, v2, 23, 1
; %bb.1471:                             ;   in Loop: Header=BB4_124 Depth=2
	s_or_b64 exec, exec, s[22:23]
	v_lshrrev_b64 v[2:3], 20, v[2:3]
	v_cmp_gt_i32_e32 vcc, 16, v13
	v_cndmask_b32_e32 v3, 0, v3, vcc
	v_cndmask_b32_e32 v2, 7, v2, vcc
	v_cmp_eq_u64_e64 s[22:23], 0, v[2:3]
	v_min_i32_e32 v3, 15, v13
	v_lshlrev_b32_e32 v3, 3, v3
	v_cmp_eq_u32_e32 vcc, 0, v13
	v_and_b32_e32 v3, 0xf8, v3
	v_and_or_b32 v2, v2, 7, v3
	s_and_b64 s[22:23], vcc, s[22:23]
	v_cndmask_b32_e64 v2, v2, 0, s[22:23]
	v_or_b32_e32 v2, v2, v12
.LBB4_1472:                             ;   in Loop: Header=BB4_124 Depth=2
	s_or_b64 exec, exec, s[60:61]
.LBB4_1473:                             ;   in Loop: Header=BB4_124 Depth=2
	s_or_b64 exec, exec, s[58:59]
                                        ; implicit-def: $vgpr3
.LBB4_1474:                             ;   in Loop: Header=BB4_124 Depth=2
	s_andn2_saveexec_b64 s[22:23], s[56:57]
	s_cbranch_execz .LBB4_123
; %bb.1475:                             ;   in Loop: Header=BB4_124 Depth=2
	v_or_b32_sdwa v3, v3, s75 dst_sel:DWORD dst_unused:UNUSED_PAD src0_sel:BYTE_3 src1_sel:DWORD
	v_cmp_eq_u64_e32 vcc, 0, v[38:39]
	v_cndmask_b32_e32 v2, v3, v2, vcc
	s_branch .LBB4_123
.LBB4_1476:                             ;   in Loop: Header=BB4_49 Depth=1
	s_or_b64 exec, exec, s[54:55]
	v_accvgpr_read_b32 v61, a43
	v_accvgpr_read_b32 v53, a19
	;; [unrolled: 1-line block ×12, first 2 shown]
	v_mov_b32_e32 v43, 1
	v_accvgpr_read_b32 v44, a44
	v_accvgpr_read_b32 v45, a45
.LBB4_1477:                             ;   in Loop: Header=BB4_49 Depth=1
	s_or_b64 exec, exec, s[24:25]
	v_and_b32_e32 v3, 0x3ffff800, v45
	v_cmp_ne_u32_e32 vcc, v3, v45
	s_mov_b64 s[22:23], 0
	v_mov_b32_e32 v4, 0
                                        ; implicit-def: $vgpr5
                                        ; implicit-def: $vgpr6
                                        ; implicit-def: $vgpr2
	s_and_saveexec_b64 s[54:55], vcc
	s_cbranch_execz .LBB4_2165
; %bb.1478:                             ;   in Loop: Header=BB4_49 Depth=1
	v_lshlrev_b32_e32 v0, 6, v41
	v_accvgpr_read_b32 v2, a29
	v_sub_u32_e32 v0, v2, v0
	v_ashrrev_i32_e32 v2, 31, v0
	v_lshrrev_b32_e32 v2, 26, v2
	v_add_u32_e32 v2, v0, v2
	v_ashrrev_i32_e32 v4, 6, v2
	v_and_b32_e32 v2, 0xffffffc0, v2
	v_and_b32_e32 v1, 0x7ff, v45
	v_sub_u32_e32 v0, v0, v2
	v_and_b32_e32 v6, 0x400, v45
	v_lshlrev_b32_e32 v2, 4, v0
	v_sub_u32_e32 v19, v1, v6
	v_lshl_add_u32 v2, v4, 10, v2
	v_bfe_u32 v5, v45, 10, 1
	v_cmp_lt_i32_e64 s[22:23], 15, v19
	v_sub_u32_e32 v26, v1, v2
	v_addc_co_u32_e64 v1, vcc, 0, v5, s[22:23]
	v_sub_u32_e32 v1, v1, v4
	v_cmp_lt_i32_e32 vcc, 15, v26
	s_and_saveexec_b64 s[56:57], vcc
	s_cbranch_execz .LBB4_2162
; %bb.1479:                             ;   in Loop: Header=BB4_49 Depth=1
	s_trap 2
	ds_read_b128 v[4:7], v0
	ds_read_b64 v[14:15], v0
	v_add_u32_e32 v2, v2, v3
	v_ashrrev_i32_e32 v3, 31, v2
	v_accvgpr_write_b32 a28, v42
	s_waitcnt lgkmcnt(0)
	v_add_co_u32_e32 v16, vcc, v4, v2
	v_addc_co_u32_e32 v17, vcc, v5, v3, vcc
	v_add_co_u32_e32 v42, vcc, v6, v2
	v_readfirstlane_b32 s24, v14
	v_addc_co_u32_e32 v43, vcc, v7, v3, vcc
	s_and_b32 s25, s24, 7
	v_accvgpr_write_b32 a30, v44
	v_add_co_u32_e32 v44, vcc, v14, v2
	s_flbit_i32_b32 s25, s25
	v_mov_b32_e32 v58, v45
	v_addc_co_u32_e32 v45, vcc, v15, v3, vcc
	s_min_u32 s25, s25, 32
	s_and_b32 vcc_lo, s24, 0x7f
	s_bfe_u32 vcc_hi, s24, 0x40003
	s_sub_i32 s58, s25, 28
	s_sub_i32 s25, 29, s25
	s_cmp_lt_u32 vcc_lo, 8
	s_cselect_b32 s25, s25, vcc_hi
	s_cselect_b32 vcc_hi, s58, 0
	s_lshl_b32 s24, s24, 24
	s_lshl_b32 s25, s25, 23
	v_lshlrev_b64 v[2:3], vcc_hi, v[14:15]
	s_and_b32 s24, s24, 0x80000000
	s_add_i32 s25, s25, 0x3c000000
	v_lshlrev_b32_e32 v2, 20, v2
	s_or_b32 s24, s24, s25
	v_and_b32_e32 v2, 0x700000, v2
	s_cmpk_lg_i32 vcc_lo, 0x7f
	v_or_b32_e32 v2, s24, v2
	s_cselect_b64 vcc, -1, 0
	v_mov_b32_e32 v3, 0x7f800001
	v_mov_b32_e32 v41, v51
	v_accvgpr_write_b32 a19, v50
	v_cndmask_b32_e32 v15, v3, v2, vcc
	s_mov_b64 s[58:59], 0
	s_branch .LBB4_1481
.LBB4_1480:                             ;   in Loop: Header=BB4_1481 Depth=2
	s_or_b64 exec, exec, s[24:25]
	v_lshlrev_b32_e32 v3, 8, v32
	v_perm_b32 v3, v3, v22, s78
	v_lshl_or_b32 v3, v25, 16, v3
	v_lshl_or_b32 v23, v24, 24, v3
	v_and_b32_e32 v3, 0xff, v21
	v_lshlrev_b32_e32 v7, 8, v7
	v_lshlrev_b32_e32 v12, 24, v30
	;; [unrolled: 1-line block ×3, first 2 shown]
	v_perm_b32 v4, v7, v4, s78
	v_or3_b32 v22, v12, v3, v4
	v_and_b32_e32 v3, 0xff, v27
	v_lshlrev_b32_e32 v4, 24, v6
	v_lshlrev_b32_e32 v6, 8, v11
	;; [unrolled: 1-line block ×3, first 2 shown]
	v_perm_b32 v6, v6, v8, s78
	v_or3_b32 v24, v4, v3, v6
	v_lshlrev_b32_e32 v3, 8, v9
	v_add_co_u32_e32 v16, vcc, v16, v40
	v_perm_b32 v3, v3, v5, s78
	v_addc_co_u32_e32 v17, vcc, v17, v56, vcc
	v_lshl_or_b32 v3, v10, 16, v3
	v_add_co_u32_e32 v42, vcc, v42, v40
	v_lshl_or_b32 v25, v2, 24, v3
	v_addc_co_u32_e32 v43, vcc, v43, v56, vcc
	global_store_dwordx4 v[44:45], v[22:25], off glc slc
	v_add_co_u32_e32 v44, vcc, v44, v40
	v_addc_co_u32_e32 v45, vcc, v45, v56, vcc
	v_sub_u32_e32 v26, v26, v55
	v_cmp_gt_i32_e32 vcc, 16, v26
	s_or_b64 s[58:59], vcc, s[58:59]
	v_sub_u32_e32 v1, v1, v52
	s_andn2_b64 exec, exec, s[58:59]
	s_cbranch_execz .LBB4_2161
.LBB4_1481:                             ;   Parent Loop BB4_49 Depth=1
                                        ; =>  This Inner Loop Header: Depth=2
	v_cmp_lt_i16_sdwa s[24:25], v14, s76 src0_sel:BYTE_0 src1_sel:DWORD
	s_and_b64 vcc, exec, s[24:25]
	s_cbranch_vccnz .LBB4_1485
; %bb.1482:                             ;   in Loop: Header=BB4_1481 Depth=2
	v_cmp_eq_u16_sdwa vcc, v14, s76 src0_sel:BYTE_0 src1_sel:DWORD
	s_mov_b64 s[24:25], -1
	s_and_b64 vcc, exec, vcc
                                        ; implicit-def: $sgpr60
	s_cbranch_vccz .LBB4_1484
; %bb.1483:                             ;   in Loop: Header=BB4_1481 Depth=2
	s_mov_b64 s[24:25], 0
	s_brev_b32 s60, 1
.LBB4_1484:                             ;   in Loop: Header=BB4_1481 Depth=2
	s_branch .LBB4_1487
.LBB4_1485:                             ;   in Loop: Header=BB4_1481 Depth=2
	s_mov_b64 s[24:25], 0
                                        ; implicit-def: $sgpr60
	s_cbranch_execz .LBB4_1487
; %bb.1486:                             ;   in Loop: Header=BB4_1481 Depth=2
	v_cmp_ne_u16_sdwa s[24:25], v14, v39 src0_sel:BYTE_0 src1_sel:DWORD
	s_mov_b32 s60, 0
.LBB4_1487:                             ;   in Loop: Header=BB4_1481 Depth=2
	s_andn2_b64 vcc, exec, s[24:25]
	v_mov_b32_e32 v7, s60
	s_cbranch_vccnz .LBB4_1489
; %bb.1488:                             ;   in Loop: Header=BB4_1481 Depth=2
	v_mov_b32_e32 v7, v15
.LBB4_1489:                             ;   in Loop: Header=BB4_1481 Depth=2
	global_load_dwordx4 v[10:13], v[16:17], off glc slc
	v_mov_b32_e32 v2, 0
	s_waitcnt vmcnt(0)
	v_cmp_ne_u16_sdwa vcc, v10, v39 src0_sel:BYTE_0 src1_sel:DWORD
	s_and_saveexec_b64 s[24:25], vcc
	s_cbranch_execz .LBB4_1495
; %bb.1490:                             ;   in Loop: Header=BB4_1481 Depth=2
	v_cmp_ne_u16_sdwa vcc, v10, s76 src0_sel:BYTE_0 src1_sel:DWORD
	v_bfrev_b32_e32 v2, 1
	s_and_saveexec_b64 s[60:61], vcc
	s_cbranch_execz .LBB4_1494
; %bb.1491:                             ;   in Loop: Header=BB4_1481 Depth=2
	v_and_b32_e32 v3, 0x7f, v10
	v_cmp_ne_u32_e32 vcc, s75, v3
	v_mov_b32_e32 v2, 0x7f800001
	s_and_saveexec_b64 s[62:63], vcc
	s_cbranch_execz .LBB4_1493
; %bb.1492:                             ;   in Loop: Header=BB4_1481 Depth=2
	v_and_b32_e32 v2, 7, v10
	v_ffbh_u32_e32 v2, v2
	v_min_u32_e32 v2, 32, v2
	v_lshrrev_b32_e32 v4, 3, v3
	v_subrev_u32_e32 v5, 28, v2
	v_sub_u32_e32 v2, 29, v2
	v_cmp_gt_u32_e32 vcc, 8, v3
	v_cndmask_b32_e32 v4, v4, v2, vcc
	v_cndmask_b32_e32 v2, 0, v5, vcc
	v_lshlrev_b64 v[2:3], v2, v[10:11]
	v_lshlrev_b32_e32 v2, 20, v2
	v_lshlrev_b32_e32 v3, 24, v10
	v_bfrev_b32_e32 v5, 60
	v_and_b32_e32 v2, 0x700000, v2
	v_and_b32_e32 v3, 0x80000000, v3
	v_lshl_add_u32 v4, v4, 23, v5
	v_or3_b32 v2, v3, v4, v2
.LBB4_1493:                             ;   in Loop: Header=BB4_1481 Depth=2
	s_or_b64 exec, exec, s[62:63]
.LBB4_1494:                             ;   in Loop: Header=BB4_1481 Depth=2
	s_or_b64 exec, exec, s[60:61]
.LBB4_1495:                             ;   in Loop: Header=BB4_1481 Depth=2
	s_or_b64 exec, exec, s[24:25]
	v_mul_f32_e32 v2, v7, v2
	v_and_b32_sdwa v5, v2, s76 dst_sel:DWORD dst_unused:UNUSED_PAD src0_sel:BYTE_3 src1_sel:DWORD
	v_and_b32_e32 v8, 0x7f800000, v2
	v_mov_b32_e32 v9, v39
	v_and_b32_e32 v38, 0x7fffff, v2
	v_or_b32_e32 v4, 0x7e, v5
	v_cmp_ne_u64_e32 vcc, s[42:43], v[8:9]
	s_and_saveexec_b64 s[24:25], vcc
	s_xor_b64 s[60:61], exec, s[24:25]
	s_cbranch_execz .LBB4_1505
; %bb.1496:                             ;   in Loop: Header=BB4_1481 Depth=2
	v_and_b32_e32 v8, 0x7fffffff, v2
	v_mov_b32_e32 v9, v39
	v_cmp_gt_u64_e32 vcc, s[44:45], v[8:9]
	s_and_saveexec_b64 s[62:63], vcc
	s_cbranch_execz .LBB4_1504
; %bb.1497:                             ;   in Loop: Header=BB4_1481 Depth=2
	v_cmp_ne_u32_e32 vcc, 0, v2
	v_mov_b32_e32 v4, 0
	s_and_saveexec_b64 s[64:65], vcc
	s_cbranch_execz .LBB4_1503
; %bb.1498:                             ;   in Loop: Header=BB4_1481 Depth=2
	v_bfe_u32 v2, v2, 23, 8
	v_sub_u32_e32 v4, 0x79, v2
	v_cmp_gt_u32_e32 vcc, s77, v2
	v_add_u32_e32 v3, 0xffffff81, v2
	v_cndmask_b32_e32 v4, 0, v4, vcc
	v_cmp_eq_u32_e32 vcc, 0, v2
	v_mov_b32_e32 v2, 0xffffff82
	v_cndmask_b32_e32 v8, v3, v2, vcc
	v_mov_b32_e32 v2, 0x78
	v_or_b32_e32 v6, 0x800000, v38
	v_cndmask_b32_e32 v4, v4, v2, vcc
	v_cndmask_b32_e32 v38, v6, v38, vcc
	v_add_u32_e32 v2, 20, v4
	v_lshlrev_b64 v[2:3], v2, -1
	v_add_u32_e32 v6, 19, v4
	v_lshrrev_b64 v[22:23], v4, v[38:39]
	v_not_b32_e32 v3, v3
	v_not_b32_e32 v2, v2
	v_lshlrev_b64 v[20:21], v6, 1
	v_lshrrev_b32_e32 v6, 23, v22
	v_and_b32_e32 v3, 0, v3
	v_and_b32_e32 v2, v38, v2
	v_add3_u32 v8, v4, v8, v6
	v_bfe_u32 v4, v22, 20, 1
	v_add_u32_e32 v4, -1, v4
	v_cmp_eq_u64_e32 vcc, v[2:3], v[20:21]
	v_cndmask_b32_e32 v2, 0, v4, vcc
	v_add_u32_e32 v2, v2, v22
	v_and_b32_e32 v2, 0xfffff, v2
	v_add_co_u32_e32 v2, vcc, v2, v22
	v_add_u32_e32 v6, 6, v8
	v_addc_co_u32_e32 v3, vcc, 0, v23, vcc
	v_cmp_ne_u32_e32 vcc, 0, v6
                                        ; implicit-def: $vgpr4
	s_and_saveexec_b64 s[24:25], vcc
	s_xor_b64 s[24:25], exec, s[24:25]
; %bb.1499:                             ;   in Loop: Header=BB4_1481 Depth=2
	v_add_u32_e32 v4, 7, v8
	v_cmp_lt_u64_e32 vcc, s[48:49], v[2:3]
	v_cndmask_b32_e32 v4, v6, v4, vcc
	v_cndmask_b32_e64 v6, 0, 1, vcc
	v_lshrrev_b64 v[2:3], v6, v[2:3]
; %bb.1500:                             ;   in Loop: Header=BB4_1481 Depth=2
	s_andn2_saveexec_b64 s[24:25], s[24:25]
; %bb.1501:                             ;   in Loop: Header=BB4_1481 Depth=2
	v_bfe_u32 v4, v2, 23, 1
; %bb.1502:                             ;   in Loop: Header=BB4_1481 Depth=2
	s_or_b64 exec, exec, s[24:25]
	v_lshrrev_b64 v[2:3], 20, v[2:3]
	v_cmp_gt_i32_e32 vcc, 16, v4
	v_cndmask_b32_e32 v3, 0, v3, vcc
	v_cndmask_b32_e32 v2, 7, v2, vcc
	v_cmp_eq_u64_e64 s[24:25], 0, v[2:3]
	v_min_i32_e32 v3, 15, v4
	v_cmp_eq_u32_e32 vcc, 0, v4
	v_lshlrev_b32_e32 v3, 3, v3
	v_and_or_b32 v2, v2, 7, v3
	s_and_b64 s[24:25], vcc, s[24:25]
	v_cndmask_b32_e64 v2, v2, 0, s[24:25]
	v_or_b32_e32 v4, v2, v5
.LBB4_1503:                             ;   in Loop: Header=BB4_1481 Depth=2
	s_or_b64 exec, exec, s[64:65]
.LBB4_1504:                             ;   in Loop: Header=BB4_1481 Depth=2
	s_or_b64 exec, exec, s[62:63]
                                        ; implicit-def: $vgpr2
.LBB4_1505:                             ;   in Loop: Header=BB4_1481 Depth=2
	s_andn2_saveexec_b64 s[24:25], s[60:61]
; %bb.1506:                             ;   in Loop: Header=BB4_1481 Depth=2
	v_or_b32_sdwa v2, v2, s75 dst_sel:DWORD dst_unused:UNUSED_PAD src0_sel:BYTE_3 src1_sel:DWORD
	v_cmp_eq_u64_e32 vcc, 0, v[38:39]
	v_cndmask_b32_e32 v4, v2, v4, vcc
; %bb.1507:                             ;   in Loop: Header=BB4_1481 Depth=2
	s_or_b64 exec, exec, s[24:25]
	v_lshrrev_b16_e32 v2, 8, v10
	v_cmp_ne_u16_e32 vcc, 0, v2
	v_mov_b32_e32 v3, 0
	s_and_saveexec_b64 s[24:25], vcc
	s_cbranch_execz .LBB4_1513
; %bb.1508:                             ;   in Loop: Header=BB4_1481 Depth=2
	v_cmp_ne_u16_e32 vcc, s76, v2
	v_bfrev_b32_e32 v3, 1
	s_and_saveexec_b64 s[60:61], vcc
	s_cbranch_execz .LBB4_1512
; %bb.1509:                             ;   in Loop: Header=BB4_1481 Depth=2
	v_and_b32_e32 v5, 0x7f, v2
	v_cmp_ne_u32_e32 vcc, s75, v5
	v_mov_b32_e32 v3, 0x7f800001
	s_and_saveexec_b64 s[62:63], vcc
	s_cbranch_execz .LBB4_1511
; %bb.1510:                             ;   in Loop: Header=BB4_1481 Depth=2
	v_and_b32_e32 v6, 7, v2
	v_ffbh_u32_e32 v3, v6
	v_min_u32_e32 v9, 32, v3
	v_subrev_u32_e32 v3, 28, v9
	v_lshlrev_b64 v[2:3], v3, v[2:3]
	v_lshrrev_b32_e32 v8, 3, v5
	v_sub_u32_e32 v3, 29, v9
	v_and_b32_e32 v2, 7, v2
	v_cmp_gt_u32_e32 vcc, 8, v5
	v_cndmask_b32_e32 v3, v8, v3, vcc
	v_cndmask_b32_e32 v2, v6, v2, vcc
	v_lshlrev_b32_e32 v5, 16, v10
	v_bfrev_b32_e32 v6, 60
	v_lshlrev_b32_e32 v2, 20, v2
	v_and_b32_e32 v5, 0x80000000, v5
	v_lshl_add_u32 v3, v3, 23, v6
	v_or3_b32 v3, v5, v3, v2
.LBB4_1511:                             ;   in Loop: Header=BB4_1481 Depth=2
	s_or_b64 exec, exec, s[62:63]
.LBB4_1512:                             ;   in Loop: Header=BB4_1481 Depth=2
	s_or_b64 exec, exec, s[60:61]
.LBB4_1513:                             ;   in Loop: Header=BB4_1481 Depth=2
	s_or_b64 exec, exec, s[24:25]
	v_mul_f32_e32 v2, v7, v3
	v_and_b32_sdwa v5, v2, s76 dst_sel:DWORD dst_unused:UNUSED_PAD src0_sel:BYTE_3 src1_sel:DWORD
	v_and_b32_e32 v8, 0x7f800000, v2
	v_mov_b32_e32 v9, v39
	v_and_b32_e32 v38, 0x7fffff, v2
	v_or_b32_e32 v21, 0x7e, v5
	v_cmp_ne_u64_e32 vcc, s[42:43], v[8:9]
	s_and_saveexec_b64 s[24:25], vcc
	s_xor_b64 s[60:61], exec, s[24:25]
	s_cbranch_execz .LBB4_1523
; %bb.1514:                             ;   in Loop: Header=BB4_1481 Depth=2
	v_and_b32_e32 v8, 0x7fffffff, v2
	v_mov_b32_e32 v9, v39
	v_cmp_gt_u64_e32 vcc, s[44:45], v[8:9]
	s_and_saveexec_b64 s[62:63], vcc
	s_cbranch_execz .LBB4_1522
; %bb.1515:                             ;   in Loop: Header=BB4_1481 Depth=2
	v_cmp_ne_u32_e32 vcc, 0, v2
	v_mov_b32_e32 v21, 0
	s_and_saveexec_b64 s[64:65], vcc
	s_cbranch_execz .LBB4_1521
; %bb.1516:                             ;   in Loop: Header=BB4_1481 Depth=2
	v_bfe_u32 v2, v2, 23, 8
	v_sub_u32_e32 v6, 0x79, v2
	v_cmp_gt_u32_e32 vcc, s77, v2
	v_add_u32_e32 v3, 0xffffff81, v2
	v_cndmask_b32_e32 v6, 0, v6, vcc
	v_cmp_eq_u32_e32 vcc, 0, v2
	v_mov_b32_e32 v2, 0xffffff82
	v_cndmask_b32_e32 v9, v3, v2, vcc
	v_mov_b32_e32 v2, 0x78
	v_or_b32_e32 v8, 0x800000, v38
	v_cndmask_b32_e32 v6, v6, v2, vcc
	v_cndmask_b32_e32 v38, v8, v38, vcc
	v_add_u32_e32 v2, 20, v6
	v_lshlrev_b64 v[2:3], v2, -1
	v_add_u32_e32 v8, 19, v6
	v_lshrrev_b64 v[22:23], v6, v[38:39]
	v_not_b32_e32 v3, v3
	v_not_b32_e32 v2, v2
	v_lshlrev_b64 v[20:21], v8, 1
	v_lshrrev_b32_e32 v8, 23, v22
	v_and_b32_e32 v3, 0, v3
	v_and_b32_e32 v2, v38, v2
	v_add3_u32 v9, v6, v9, v8
	v_bfe_u32 v6, v22, 20, 1
	v_add_u32_e32 v6, -1, v6
	v_cmp_eq_u64_e32 vcc, v[2:3], v[20:21]
	v_cndmask_b32_e32 v2, 0, v6, vcc
	v_add_u32_e32 v2, v2, v22
	v_and_b32_e32 v2, 0xfffff, v2
	v_add_co_u32_e32 v2, vcc, v2, v22
	v_add_u32_e32 v8, 6, v9
	v_addc_co_u32_e32 v3, vcc, 0, v23, vcc
	v_cmp_ne_u32_e32 vcc, 0, v8
                                        ; implicit-def: $vgpr6
	s_and_saveexec_b64 s[24:25], vcc
	s_xor_b64 s[24:25], exec, s[24:25]
; %bb.1517:                             ;   in Loop: Header=BB4_1481 Depth=2
	v_add_u32_e32 v6, 7, v9
	v_cmp_lt_u64_e32 vcc, s[48:49], v[2:3]
	v_cndmask_b32_e32 v6, v8, v6, vcc
	v_cndmask_b32_e64 v8, 0, 1, vcc
	v_lshrrev_b64 v[2:3], v8, v[2:3]
; %bb.1518:                             ;   in Loop: Header=BB4_1481 Depth=2
	s_andn2_saveexec_b64 s[24:25], s[24:25]
; %bb.1519:                             ;   in Loop: Header=BB4_1481 Depth=2
	v_bfe_u32 v6, v2, 23, 1
; %bb.1520:                             ;   in Loop: Header=BB4_1481 Depth=2
	s_or_b64 exec, exec, s[24:25]
	v_lshrrev_b64 v[2:3], 20, v[2:3]
	v_cmp_gt_i32_e32 vcc, 16, v6
	v_cndmask_b32_e32 v3, 0, v3, vcc
	v_cndmask_b32_e32 v2, 7, v2, vcc
	v_cmp_eq_u64_e64 s[24:25], 0, v[2:3]
	v_min_i32_e32 v3, 15, v6
	v_cmp_eq_u32_e32 vcc, 0, v6
	v_lshlrev_b32_e32 v3, 3, v3
	v_and_or_b32 v2, v2, 7, v3
	s_and_b64 s[24:25], vcc, s[24:25]
	v_cndmask_b32_e64 v2, v2, 0, s[24:25]
	v_or_b32_e32 v21, v2, v5
.LBB4_1521:                             ;   in Loop: Header=BB4_1481 Depth=2
	s_or_b64 exec, exec, s[64:65]
.LBB4_1522:                             ;   in Loop: Header=BB4_1481 Depth=2
	s_or_b64 exec, exec, s[62:63]
                                        ; implicit-def: $vgpr2
.LBB4_1523:                             ;   in Loop: Header=BB4_1481 Depth=2
	s_andn2_saveexec_b64 s[24:25], s[60:61]
; %bb.1524:                             ;   in Loop: Header=BB4_1481 Depth=2
	v_or_b32_sdwa v2, v2, s75 dst_sel:DWORD dst_unused:UNUSED_PAD src0_sel:BYTE_3 src1_sel:DWORD
	v_cmp_eq_u64_e32 vcc, 0, v[38:39]
	v_cndmask_b32_e32 v21, v2, v21, vcc
; %bb.1525:                             ;   in Loop: Header=BB4_1481 Depth=2
	s_or_b64 exec, exec, s[24:25]
	v_lshrrev_b32_e32 v2, 16, v10
	v_cmp_ne_u16_sdwa vcc, v2, v39 src0_sel:BYTE_0 src1_sel:DWORD
	v_mov_b32_e32 v3, 0
	s_and_saveexec_b64 s[24:25], vcc
	s_cbranch_execz .LBB4_1531
; %bb.1526:                             ;   in Loop: Header=BB4_1481 Depth=2
	v_cmp_ne_u16_sdwa vcc, v2, s76 src0_sel:BYTE_0 src1_sel:DWORD
	v_bfrev_b32_e32 v3, 1
	s_and_saveexec_b64 s[60:61], vcc
	s_cbranch_execz .LBB4_1530
; %bb.1527:                             ;   in Loop: Header=BB4_1481 Depth=2
	v_bfe_u32 v5, v10, 16, 7
	v_cmp_ne_u32_e32 vcc, s75, v5
	v_mov_b32_e32 v3, 0x7f800001
	s_and_saveexec_b64 s[62:63], vcc
	s_cbranch_execz .LBB4_1529
; %bb.1528:                             ;   in Loop: Header=BB4_1481 Depth=2
	v_and_b32_e32 v3, 7, v2
	v_ffbh_u32_e32 v8, v3
	v_min_u32_e32 v18, 32, v8
	v_subrev_u32_e32 v8, 28, v18
	v_lshlrev_b64 v[8:9], v8, v[2:3]
	v_lshrrev_b32_e32 v6, 3, v5
	v_sub_u32_e32 v9, 29, v18
	v_and_b32_e32 v8, 7, v8
	v_cmp_gt_u32_e32 vcc, 8, v5
	v_cndmask_b32_e32 v5, v6, v9, vcc
	v_cndmask_b32_e32 v3, v3, v8, vcc
	v_lshlrev_b32_e32 v2, 24, v2
	v_bfrev_b32_e32 v6, 60
	v_lshlrev_b32_e32 v3, 20, v3
	v_and_b32_e32 v2, 0x80000000, v2
	v_lshl_add_u32 v5, v5, 23, v6
	v_or3_b32 v3, v2, v5, v3
.LBB4_1529:                             ;   in Loop: Header=BB4_1481 Depth=2
	s_or_b64 exec, exec, s[62:63]
.LBB4_1530:                             ;   in Loop: Header=BB4_1481 Depth=2
	s_or_b64 exec, exec, s[60:61]
.LBB4_1531:                             ;   in Loop: Header=BB4_1481 Depth=2
	s_or_b64 exec, exec, s[24:25]
	v_mul_f32_e32 v2, v7, v3
	v_and_b32_sdwa v5, v2, s76 dst_sel:DWORD dst_unused:UNUSED_PAD src0_sel:BYTE_3 src1_sel:DWORD
	v_and_b32_e32 v8, 0x7f800000, v2
	v_mov_b32_e32 v9, v39
	v_and_b32_e32 v38, 0x7fffff, v2
	v_or_b32_e32 v48, 0x7e, v5
	v_cmp_ne_u64_e32 vcc, s[42:43], v[8:9]
	s_and_saveexec_b64 s[24:25], vcc
	s_xor_b64 s[60:61], exec, s[24:25]
	s_cbranch_execz .LBB4_1541
; %bb.1532:                             ;   in Loop: Header=BB4_1481 Depth=2
	v_and_b32_e32 v8, 0x7fffffff, v2
	v_mov_b32_e32 v9, v39
	v_cmp_gt_u64_e32 vcc, s[44:45], v[8:9]
	s_and_saveexec_b64 s[62:63], vcc
	s_cbranch_execz .LBB4_1540
; %bb.1533:                             ;   in Loop: Header=BB4_1481 Depth=2
	v_cmp_ne_u32_e32 vcc, 0, v2
	v_mov_b32_e32 v48, 0
	s_and_saveexec_b64 s[64:65], vcc
	s_cbranch_execz .LBB4_1539
; %bb.1534:                             ;   in Loop: Header=BB4_1481 Depth=2
	v_bfe_u32 v2, v2, 23, 8
	v_sub_u32_e32 v6, 0x79, v2
	v_cmp_gt_u32_e32 vcc, s77, v2
	v_add_u32_e32 v3, 0xffffff81, v2
	v_cndmask_b32_e32 v6, 0, v6, vcc
	v_cmp_eq_u32_e32 vcc, 0, v2
	v_mov_b32_e32 v2, 0xffffff82
	v_cndmask_b32_e32 v9, v3, v2, vcc
	v_mov_b32_e32 v2, 0x78
	v_or_b32_e32 v8, 0x800000, v38
	v_cndmask_b32_e32 v6, v6, v2, vcc
	v_cndmask_b32_e32 v38, v8, v38, vcc
	v_add_u32_e32 v2, 20, v6
	v_lshlrev_b64 v[2:3], v2, -1
	v_add_u32_e32 v8, 19, v6
	v_lshrrev_b64 v[24:25], v6, v[38:39]
	v_not_b32_e32 v3, v3
	v_not_b32_e32 v2, v2
	v_lshlrev_b64 v[22:23], v8, 1
	v_lshrrev_b32_e32 v8, 23, v24
	v_and_b32_e32 v3, 0, v3
	v_and_b32_e32 v2, v38, v2
	v_add3_u32 v9, v6, v9, v8
	v_bfe_u32 v6, v24, 20, 1
	v_add_u32_e32 v6, -1, v6
	v_cmp_eq_u64_e32 vcc, v[2:3], v[22:23]
	v_cndmask_b32_e32 v2, 0, v6, vcc
	v_add_u32_e32 v2, v2, v24
	v_and_b32_e32 v2, 0xfffff, v2
	v_add_co_u32_e32 v2, vcc, v2, v24
	v_add_u32_e32 v8, 6, v9
	v_addc_co_u32_e32 v3, vcc, 0, v25, vcc
	v_cmp_ne_u32_e32 vcc, 0, v8
                                        ; implicit-def: $vgpr6
	s_and_saveexec_b64 s[24:25], vcc
	s_xor_b64 s[24:25], exec, s[24:25]
; %bb.1535:                             ;   in Loop: Header=BB4_1481 Depth=2
	v_add_u32_e32 v6, 7, v9
	v_cmp_lt_u64_e32 vcc, s[48:49], v[2:3]
	v_cndmask_b32_e32 v6, v8, v6, vcc
	v_cndmask_b32_e64 v8, 0, 1, vcc
	v_lshrrev_b64 v[2:3], v8, v[2:3]
; %bb.1536:                             ;   in Loop: Header=BB4_1481 Depth=2
	s_andn2_saveexec_b64 s[24:25], s[24:25]
; %bb.1537:                             ;   in Loop: Header=BB4_1481 Depth=2
	v_bfe_u32 v6, v2, 23, 1
; %bb.1538:                             ;   in Loop: Header=BB4_1481 Depth=2
	s_or_b64 exec, exec, s[24:25]
	v_lshrrev_b64 v[2:3], 20, v[2:3]
	v_cmp_gt_i32_e32 vcc, 16, v6
	v_cndmask_b32_e32 v3, 0, v3, vcc
	v_cndmask_b32_e32 v2, 7, v2, vcc
	v_cmp_eq_u64_e64 s[24:25], 0, v[2:3]
	v_min_i32_e32 v3, 15, v6
	v_cmp_eq_u32_e32 vcc, 0, v6
	v_lshlrev_b32_e32 v3, 3, v3
	v_and_or_b32 v2, v2, 7, v3
	s_and_b64 s[24:25], vcc, s[24:25]
	v_cndmask_b32_e64 v2, v2, 0, s[24:25]
	v_or_b32_e32 v48, v2, v5
.LBB4_1539:                             ;   in Loop: Header=BB4_1481 Depth=2
	s_or_b64 exec, exec, s[64:65]
.LBB4_1540:                             ;   in Loop: Header=BB4_1481 Depth=2
	s_or_b64 exec, exec, s[62:63]
                                        ; implicit-def: $vgpr2
.LBB4_1541:                             ;   in Loop: Header=BB4_1481 Depth=2
	s_andn2_saveexec_b64 s[24:25], s[60:61]
; %bb.1542:                             ;   in Loop: Header=BB4_1481 Depth=2
	v_or_b32_sdwa v2, v2, s75 dst_sel:DWORD dst_unused:UNUSED_PAD src0_sel:BYTE_3 src1_sel:DWORD
	v_cmp_eq_u64_e32 vcc, 0, v[38:39]
	v_cndmask_b32_e32 v48, v2, v48, vcc
; %bb.1543:                             ;   in Loop: Header=BB4_1481 Depth=2
	s_or_b64 exec, exec, s[24:25]
	v_cmp_lt_u32_e32 vcc, s47, v10
	v_mov_b32_e32 v3, 0
	s_and_saveexec_b64 s[24:25], vcc
	s_cbranch_execz .LBB4_1549
; %bb.1544:                             ;   in Loop: Header=BB4_1481 Depth=2
	v_lshrrev_b32_e32 v2, 24, v10
	v_cmp_ne_u32_e32 vcc, s76, v2
	v_bfrev_b32_e32 v3, 1
	s_and_saveexec_b64 s[60:61], vcc
	s_cbranch_execz .LBB4_1548
; %bb.1545:                             ;   in Loop: Header=BB4_1481 Depth=2
	v_bfe_u32 v5, v10, 24, 7
	v_cmp_ne_u32_e32 vcc, s75, v5
	v_mov_b32_e32 v3, 0x7f800001
	s_and_saveexec_b64 s[62:63], vcc
	s_cbranch_execz .LBB4_1547
; %bb.1546:                             ;   in Loop: Header=BB4_1481 Depth=2
	v_and_b32_e32 v3, 7, v2
	v_ffbh_u32_e32 v8, v3
	v_min_u32_e32 v18, 32, v8
	v_subrev_u32_e32 v8, 28, v18
	v_lshlrev_b64 v[8:9], v8, v[2:3]
	v_lshrrev_b32_e32 v6, 3, v5
	v_sub_u32_e32 v9, 29, v18
	v_and_b32_e32 v8, 7, v8
	v_cmp_gt_u32_e32 vcc, 8, v5
	v_cndmask_b32_e32 v5, v6, v9, vcc
	v_cndmask_b32_e32 v3, v3, v8, vcc
	v_lshlrev_b32_e32 v2, 24, v2
	v_bfrev_b32_e32 v6, 60
	v_lshlrev_b32_e32 v3, 20, v3
	v_and_b32_e32 v2, 0x80000000, v2
	v_lshl_add_u32 v5, v5, 23, v6
	v_or3_b32 v3, v2, v5, v3
.LBB4_1547:                             ;   in Loop: Header=BB4_1481 Depth=2
	s_or_b64 exec, exec, s[62:63]
.LBB4_1548:                             ;   in Loop: Header=BB4_1481 Depth=2
	s_or_b64 exec, exec, s[60:61]
.LBB4_1549:                             ;   in Loop: Header=BB4_1481 Depth=2
	s_or_b64 exec, exec, s[24:25]
	v_mul_f32_e32 v2, v7, v3
	v_and_b32_sdwa v5, v2, s76 dst_sel:DWORD dst_unused:UNUSED_PAD src0_sel:BYTE_3 src1_sel:DWORD
	v_and_b32_e32 v8, 0x7f800000, v2
	v_mov_b32_e32 v9, v39
	v_and_b32_e32 v38, 0x7fffff, v2
	v_or_b32_e32 v30, 0x7e, v5
	v_cmp_ne_u64_e32 vcc, s[42:43], v[8:9]
	s_and_saveexec_b64 s[24:25], vcc
	s_xor_b64 s[60:61], exec, s[24:25]
	s_cbranch_execz .LBB4_1559
; %bb.1550:                             ;   in Loop: Header=BB4_1481 Depth=2
	v_and_b32_e32 v8, 0x7fffffff, v2
	v_mov_b32_e32 v9, v39
	v_cmp_gt_u64_e32 vcc, s[44:45], v[8:9]
	s_and_saveexec_b64 s[62:63], vcc
	s_cbranch_execz .LBB4_1558
; %bb.1551:                             ;   in Loop: Header=BB4_1481 Depth=2
	v_cmp_ne_u32_e32 vcc, 0, v2
	v_mov_b32_e32 v30, 0
	s_and_saveexec_b64 s[64:65], vcc
	s_cbranch_execz .LBB4_1557
; %bb.1552:                             ;   in Loop: Header=BB4_1481 Depth=2
	v_bfe_u32 v2, v2, 23, 8
	v_sub_u32_e32 v6, 0x79, v2
	v_cmp_gt_u32_e32 vcc, s77, v2
	v_add_u32_e32 v3, 0xffffff81, v2
	v_cndmask_b32_e32 v6, 0, v6, vcc
	v_cmp_eq_u32_e32 vcc, 0, v2
	v_mov_b32_e32 v2, 0xffffff82
	v_cndmask_b32_e32 v9, v3, v2, vcc
	v_mov_b32_e32 v2, 0x78
	v_or_b32_e32 v8, 0x800000, v38
	v_cndmask_b32_e32 v6, v6, v2, vcc
	v_cndmask_b32_e32 v38, v8, v38, vcc
	v_add_u32_e32 v2, 20, v6
	v_lshlrev_b64 v[2:3], v2, -1
	v_add_u32_e32 v8, 19, v6
	v_lshrrev_b64 v[24:25], v6, v[38:39]
	v_not_b32_e32 v3, v3
	v_not_b32_e32 v2, v2
	v_lshlrev_b64 v[22:23], v8, 1
	v_lshrrev_b32_e32 v8, 23, v24
	v_and_b32_e32 v3, 0, v3
	v_and_b32_e32 v2, v38, v2
	v_add3_u32 v9, v6, v9, v8
	v_bfe_u32 v6, v24, 20, 1
	v_add_u32_e32 v6, -1, v6
	v_cmp_eq_u64_e32 vcc, v[2:3], v[22:23]
	v_cndmask_b32_e32 v2, 0, v6, vcc
	v_add_u32_e32 v2, v2, v24
	v_and_b32_e32 v2, 0xfffff, v2
	v_add_co_u32_e32 v2, vcc, v2, v24
	v_add_u32_e32 v8, 6, v9
	v_addc_co_u32_e32 v3, vcc, 0, v25, vcc
	v_cmp_ne_u32_e32 vcc, 0, v8
                                        ; implicit-def: $vgpr6
	s_and_saveexec_b64 s[24:25], vcc
	s_xor_b64 s[24:25], exec, s[24:25]
; %bb.1553:                             ;   in Loop: Header=BB4_1481 Depth=2
	v_add_u32_e32 v6, 7, v9
	v_cmp_lt_u64_e32 vcc, s[48:49], v[2:3]
	v_cndmask_b32_e32 v6, v8, v6, vcc
	v_cndmask_b32_e64 v8, 0, 1, vcc
	v_lshrrev_b64 v[2:3], v8, v[2:3]
; %bb.1554:                             ;   in Loop: Header=BB4_1481 Depth=2
	s_andn2_saveexec_b64 s[24:25], s[24:25]
; %bb.1555:                             ;   in Loop: Header=BB4_1481 Depth=2
	v_bfe_u32 v6, v2, 23, 1
; %bb.1556:                             ;   in Loop: Header=BB4_1481 Depth=2
	s_or_b64 exec, exec, s[24:25]
	v_lshrrev_b64 v[2:3], 20, v[2:3]
	v_cmp_gt_i32_e32 vcc, 16, v6
	v_cndmask_b32_e32 v3, 0, v3, vcc
	v_cndmask_b32_e32 v2, 7, v2, vcc
	v_cmp_eq_u64_e64 s[24:25], 0, v[2:3]
	v_min_i32_e32 v3, 15, v6
	v_cmp_eq_u32_e32 vcc, 0, v6
	v_lshlrev_b32_e32 v3, 3, v3
	v_and_or_b32 v2, v2, 7, v3
	s_and_b64 s[24:25], vcc, s[24:25]
	v_cndmask_b32_e64 v2, v2, 0, s[24:25]
	v_or_b32_e32 v30, v2, v5
.LBB4_1557:                             ;   in Loop: Header=BB4_1481 Depth=2
	s_or_b64 exec, exec, s[64:65]
.LBB4_1558:                             ;   in Loop: Header=BB4_1481 Depth=2
	s_or_b64 exec, exec, s[62:63]
                                        ; implicit-def: $vgpr2
.LBB4_1559:                             ;   in Loop: Header=BB4_1481 Depth=2
	s_andn2_saveexec_b64 s[24:25], s[60:61]
; %bb.1560:                             ;   in Loop: Header=BB4_1481 Depth=2
	v_or_b32_sdwa v2, v2, s75 dst_sel:DWORD dst_unused:UNUSED_PAD src0_sel:BYTE_3 src1_sel:DWORD
	v_cmp_eq_u64_e32 vcc, 0, v[38:39]
	v_cndmask_b32_e32 v30, v2, v30, vcc
; %bb.1561:                             ;   in Loop: Header=BB4_1481 Depth=2
	s_or_b64 exec, exec, s[24:25]
	v_mov_b32_e32 v38, v11
	v_cmp_ne_u16_sdwa vcc, v11, v39 src0_sel:BYTE_0 src1_sel:DWORD
	v_mov_b32_e32 v2, 0
	s_and_saveexec_b64 s[24:25], vcc
	s_cbranch_execz .LBB4_1567
; %bb.1562:                             ;   in Loop: Header=BB4_1481 Depth=2
	v_cmp_ne_u16_sdwa vcc, v11, s76 src0_sel:BYTE_0 src1_sel:DWORD
	v_bfrev_b32_e32 v2, 1
	s_and_saveexec_b64 s[60:61], vcc
	s_cbranch_execz .LBB4_1566
; %bb.1563:                             ;   in Loop: Header=BB4_1481 Depth=2
	v_and_b32_e32 v3, 0x7f, v11
	v_cmp_ne_u32_e32 vcc, s75, v3
	v_mov_b32_e32 v2, 0x7f800001
	s_and_saveexec_b64 s[62:63], vcc
	s_cbranch_execz .LBB4_1565
; %bb.1564:                             ;   in Loop: Header=BB4_1481 Depth=2
	v_and_b32_e32 v2, 7, v11
	v_ffbh_u32_e32 v2, v2
	v_min_u32_e32 v2, 32, v2
	v_lshrrev_b32_e32 v5, 3, v3
	v_subrev_u32_e32 v6, 28, v2
	v_sub_u32_e32 v2, 29, v2
	v_cmp_gt_u32_e32 vcc, 8, v3
	v_cndmask_b32_e32 v5, v5, v2, vcc
	v_cndmask_b32_e32 v2, 0, v6, vcc
	v_lshlrev_b64 v[2:3], v2, v[38:39]
	v_lshlrev_b32_e32 v2, 20, v2
	v_lshlrev_b32_e32 v3, 24, v38
	v_bfrev_b32_e32 v6, 60
	v_and_b32_e32 v2, 0x700000, v2
	v_and_b32_e32 v3, 0x80000000, v3
	v_lshl_add_u32 v5, v5, 23, v6
	v_or3_b32 v2, v3, v5, v2
.LBB4_1565:                             ;   in Loop: Header=BB4_1481 Depth=2
	s_or_b64 exec, exec, s[62:63]
.LBB4_1566:                             ;   in Loop: Header=BB4_1481 Depth=2
	s_or_b64 exec, exec, s[60:61]
.LBB4_1567:                             ;   in Loop: Header=BB4_1481 Depth=2
	s_or_b64 exec, exec, s[24:25]
	v_mul_f32_e32 v6, v7, v2
	v_and_b32_sdwa v5, v6, s76 dst_sel:DWORD dst_unused:UNUSED_PAD src0_sel:BYTE_3 src1_sel:DWORD
	v_and_b32_e32 v8, 0x7f800000, v6
	v_mov_b32_e32 v9, v39
	v_and_b32_e32 v2, 0x7fffff, v6
	v_mov_b32_e32 v3, v39
	v_or_b32_e32 v22, 0x7e, v5
	v_cmp_ne_u64_e32 vcc, s[42:43], v[8:9]
	s_and_saveexec_b64 s[24:25], vcc
	s_xor_b64 s[60:61], exec, s[24:25]
	s_cbranch_execz .LBB4_1577
; %bb.1568:                             ;   in Loop: Header=BB4_1481 Depth=2
	v_and_b32_e32 v8, 0x7fffffff, v6
	v_mov_b32_e32 v9, v39
	v_cmp_gt_u64_e32 vcc, s[44:45], v[8:9]
	s_and_saveexec_b64 s[62:63], vcc
	s_cbranch_execz .LBB4_1576
; %bb.1569:                             ;   in Loop: Header=BB4_1481 Depth=2
	v_cmp_ne_u32_e32 vcc, 0, v6
	v_mov_b32_e32 v22, 0
	s_and_saveexec_b64 s[64:65], vcc
	s_cbranch_execz .LBB4_1575
; %bb.1570:                             ;   in Loop: Header=BB4_1481 Depth=2
	v_bfe_u32 v6, v6, 23, 8
	v_sub_u32_e32 v9, 0x79, v6
	v_cmp_gt_u32_e32 vcc, s77, v6
	v_add_u32_e32 v8, 0xffffff81, v6
	v_cndmask_b32_e32 v9, 0, v9, vcc
	v_cmp_eq_u32_e32 vcc, 0, v6
	v_mov_b32_e32 v6, 0xffffff82
	v_cndmask_b32_e32 v6, v8, v6, vcc
	v_mov_b32_e32 v8, 0x78
	v_cndmask_b32_e32 v20, v9, v8, vcc
	v_add_u32_e32 v8, 20, v20
	v_or_b32_e32 v18, 0x800000, v2
	v_lshlrev_b64 v[8:9], v8, -1
	v_cndmask_b32_e32 v2, v18, v2, vcc
	v_not_b32_e32 v8, v8
	v_and_b32_e32 v22, v2, v8
	v_add_u32_e32 v8, 19, v20
	v_lshrrev_b64 v[2:3], v20, v[2:3]
	v_not_b32_e32 v9, v9
	v_lshlrev_b64 v[24:25], v8, 1
	v_lshrrev_b32_e32 v8, 23, v2
	v_and_b32_e32 v23, 0, v9
	v_add3_u32 v9, v20, v6, v8
	v_bfe_u32 v6, v2, 20, 1
	v_add_u32_e32 v6, -1, v6
	v_cmp_eq_u64_e32 vcc, v[22:23], v[24:25]
	v_cndmask_b32_e32 v6, 0, v6, vcc
	v_add_u32_e32 v6, v6, v2
	v_and_b32_e32 v6, 0xfffff, v6
	v_add_co_u32_e32 v2, vcc, v6, v2
	v_add_u32_e32 v8, 6, v9
	v_addc_co_u32_e32 v3, vcc, 0, v3, vcc
	v_cmp_ne_u32_e32 vcc, 0, v8
                                        ; implicit-def: $vgpr6
	s_and_saveexec_b64 s[24:25], vcc
	s_xor_b64 s[24:25], exec, s[24:25]
; %bb.1571:                             ;   in Loop: Header=BB4_1481 Depth=2
	v_add_u32_e32 v6, 7, v9
	v_cmp_lt_u64_e32 vcc, s[48:49], v[2:3]
	v_cndmask_b32_e32 v6, v8, v6, vcc
	v_cndmask_b32_e64 v8, 0, 1, vcc
	v_lshrrev_b64 v[2:3], v8, v[2:3]
; %bb.1572:                             ;   in Loop: Header=BB4_1481 Depth=2
	s_andn2_saveexec_b64 s[24:25], s[24:25]
; %bb.1573:                             ;   in Loop: Header=BB4_1481 Depth=2
	v_bfe_u32 v6, v2, 23, 1
; %bb.1574:                             ;   in Loop: Header=BB4_1481 Depth=2
	s_or_b64 exec, exec, s[24:25]
	v_lshrrev_b64 v[2:3], 20, v[2:3]
	v_cmp_gt_i32_e32 vcc, 16, v6
	v_cndmask_b32_e32 v3, 0, v3, vcc
	v_cndmask_b32_e32 v2, 7, v2, vcc
	v_cmp_eq_u64_e64 s[24:25], 0, v[2:3]
	v_min_i32_e32 v3, 15, v6
	v_cmp_eq_u32_e32 vcc, 0, v6
	v_lshlrev_b32_e32 v3, 3, v3
	v_and_or_b32 v2, v2, 7, v3
	s_and_b64 s[24:25], vcc, s[24:25]
	v_cndmask_b32_e64 v2, v2, 0, s[24:25]
	v_or_b32_e32 v22, v2, v5
.LBB4_1575:                             ;   in Loop: Header=BB4_1481 Depth=2
	s_or_b64 exec, exec, s[64:65]
.LBB4_1576:                             ;   in Loop: Header=BB4_1481 Depth=2
	s_or_b64 exec, exec, s[62:63]
                                        ; implicit-def: $vgpr6
                                        ; implicit-def: $vgpr2_vgpr3
.LBB4_1577:                             ;   in Loop: Header=BB4_1481 Depth=2
	s_andn2_saveexec_b64 s[24:25], s[60:61]
; %bb.1578:                             ;   in Loop: Header=BB4_1481 Depth=2
	v_or_b32_sdwa v5, v6, s75 dst_sel:DWORD dst_unused:UNUSED_PAD src0_sel:BYTE_3 src1_sel:DWORD
	v_cmp_eq_u64_e32 vcc, 0, v[2:3]
	v_cndmask_b32_e32 v22, v5, v22, vcc
; %bb.1579:                             ;   in Loop: Header=BB4_1481 Depth=2
	s_or_b64 exec, exec, s[24:25]
	v_lshrrev_b16_e32 v2, 8, v38
	v_cmp_ne_u16_e32 vcc, 0, v2
	v_mov_b32_e32 v3, 0
	s_and_saveexec_b64 s[24:25], vcc
	s_cbranch_execz .LBB4_1585
; %bb.1580:                             ;   in Loop: Header=BB4_1481 Depth=2
	v_cmp_ne_u16_e32 vcc, s76, v2
	v_bfrev_b32_e32 v3, 1
	s_and_saveexec_b64 s[60:61], vcc
	s_cbranch_execz .LBB4_1584
; %bb.1581:                             ;   in Loop: Header=BB4_1481 Depth=2
	v_and_b32_e32 v5, 0x7f, v2
	v_cmp_ne_u32_e32 vcc, s75, v5
	v_mov_b32_e32 v3, 0x7f800001
	s_and_saveexec_b64 s[62:63], vcc
	s_cbranch_execz .LBB4_1583
; %bb.1582:                             ;   in Loop: Header=BB4_1481 Depth=2
	v_and_b32_e32 v6, 7, v2
	v_ffbh_u32_e32 v3, v6
	v_min_u32_e32 v9, 32, v3
	v_subrev_u32_e32 v3, 28, v9
	v_lshlrev_b64 v[2:3], v3, v[2:3]
	v_lshrrev_b32_e32 v8, 3, v5
	v_sub_u32_e32 v3, 29, v9
	v_and_b32_e32 v2, 7, v2
	v_cmp_gt_u32_e32 vcc, 8, v5
	v_cndmask_b32_e32 v3, v8, v3, vcc
	v_cndmask_b32_e32 v2, v6, v2, vcc
	v_lshlrev_b32_e32 v5, 16, v38
	v_bfrev_b32_e32 v6, 60
	v_lshlrev_b32_e32 v2, 20, v2
	v_and_b32_e32 v5, 0x80000000, v5
	v_lshl_add_u32 v3, v3, 23, v6
	v_or3_b32 v3, v5, v3, v2
.LBB4_1583:                             ;   in Loop: Header=BB4_1481 Depth=2
	s_or_b64 exec, exec, s[62:63]
.LBB4_1584:                             ;   in Loop: Header=BB4_1481 Depth=2
	s_or_b64 exec, exec, s[60:61]
.LBB4_1585:                             ;   in Loop: Header=BB4_1481 Depth=2
	s_or_b64 exec, exec, s[24:25]
	v_mul_f32_e32 v2, v7, v3
	v_and_b32_sdwa v5, v2, s76 dst_sel:DWORD dst_unused:UNUSED_PAD src0_sel:BYTE_3 src1_sel:DWORD
	v_and_b32_e32 v8, 0x7f800000, v2
	v_mov_b32_e32 v9, v39
	v_and_b32_e32 v38, 0x7fffff, v2
	v_or_b32_e32 v32, 0x7e, v5
	v_cmp_ne_u64_e32 vcc, s[42:43], v[8:9]
	s_and_saveexec_b64 s[24:25], vcc
	s_xor_b64 s[60:61], exec, s[24:25]
	s_cbranch_execz .LBB4_1595
; %bb.1586:                             ;   in Loop: Header=BB4_1481 Depth=2
	v_and_b32_e32 v8, 0x7fffffff, v2
	v_mov_b32_e32 v9, v39
	v_cmp_gt_u64_e32 vcc, s[44:45], v[8:9]
	s_and_saveexec_b64 s[62:63], vcc
	s_cbranch_execz .LBB4_1594
; %bb.1587:                             ;   in Loop: Header=BB4_1481 Depth=2
	v_cmp_ne_u32_e32 vcc, 0, v2
	v_mov_b32_e32 v32, 0
	s_and_saveexec_b64 s[64:65], vcc
	s_cbranch_execz .LBB4_1593
; %bb.1588:                             ;   in Loop: Header=BB4_1481 Depth=2
	v_bfe_u32 v2, v2, 23, 8
	v_sub_u32_e32 v6, 0x79, v2
	v_cmp_gt_u32_e32 vcc, s77, v2
	v_add_u32_e32 v3, 0xffffff81, v2
	v_cndmask_b32_e32 v6, 0, v6, vcc
	v_cmp_eq_u32_e32 vcc, 0, v2
	v_mov_b32_e32 v2, 0xffffff82
	v_cndmask_b32_e32 v9, v3, v2, vcc
	v_mov_b32_e32 v2, 0x78
	v_or_b32_e32 v8, 0x800000, v38
	v_cndmask_b32_e32 v6, v6, v2, vcc
	v_cndmask_b32_e32 v38, v8, v38, vcc
	v_add_u32_e32 v2, 20, v6
	v_lshlrev_b64 v[2:3], v2, -1
	v_add_u32_e32 v8, 19, v6
	v_lshrrev_b64 v[32:33], v6, v[38:39]
	v_not_b32_e32 v3, v3
	v_not_b32_e32 v2, v2
	v_lshlrev_b64 v[24:25], v8, 1
	v_lshrrev_b32_e32 v8, 23, v32
	v_and_b32_e32 v3, 0, v3
	v_and_b32_e32 v2, v38, v2
	v_add3_u32 v9, v6, v9, v8
	v_bfe_u32 v6, v32, 20, 1
	v_add_u32_e32 v6, -1, v6
	v_cmp_eq_u64_e32 vcc, v[2:3], v[24:25]
	v_cndmask_b32_e32 v2, 0, v6, vcc
	v_add_u32_e32 v2, v2, v32
	v_and_b32_e32 v2, 0xfffff, v2
	v_add_co_u32_e32 v2, vcc, v2, v32
	v_add_u32_e32 v8, 6, v9
	v_addc_co_u32_e32 v3, vcc, 0, v33, vcc
	v_cmp_ne_u32_e32 vcc, 0, v8
                                        ; implicit-def: $vgpr6
	s_and_saveexec_b64 s[24:25], vcc
	s_xor_b64 s[24:25], exec, s[24:25]
; %bb.1589:                             ;   in Loop: Header=BB4_1481 Depth=2
	v_add_u32_e32 v6, 7, v9
	v_cmp_lt_u64_e32 vcc, s[48:49], v[2:3]
	v_cndmask_b32_e32 v6, v8, v6, vcc
	v_cndmask_b32_e64 v8, 0, 1, vcc
	v_lshrrev_b64 v[2:3], v8, v[2:3]
; %bb.1590:                             ;   in Loop: Header=BB4_1481 Depth=2
	s_andn2_saveexec_b64 s[24:25], s[24:25]
; %bb.1591:                             ;   in Loop: Header=BB4_1481 Depth=2
	v_bfe_u32 v6, v2, 23, 1
; %bb.1592:                             ;   in Loop: Header=BB4_1481 Depth=2
	s_or_b64 exec, exec, s[24:25]
	v_lshrrev_b64 v[2:3], 20, v[2:3]
	v_cmp_gt_i32_e32 vcc, 16, v6
	v_cndmask_b32_e32 v3, 0, v3, vcc
	v_cndmask_b32_e32 v2, 7, v2, vcc
	v_cmp_eq_u64_e64 s[24:25], 0, v[2:3]
	v_min_i32_e32 v3, 15, v6
	v_lshlrev_b32_e32 v3, 3, v3
	v_cmp_eq_u32_e32 vcc, 0, v6
	v_and_b32_e32 v3, 0xf8, v3
	v_and_or_b32 v2, v2, 7, v3
	s_and_b64 s[24:25], vcc, s[24:25]
	v_cndmask_b32_e64 v2, v2, 0, s[24:25]
	v_or_b32_e32 v32, v2, v5
.LBB4_1593:                             ;   in Loop: Header=BB4_1481 Depth=2
	s_or_b64 exec, exec, s[64:65]
.LBB4_1594:                             ;   in Loop: Header=BB4_1481 Depth=2
	s_or_b64 exec, exec, s[62:63]
                                        ; implicit-def: $vgpr2
.LBB4_1595:                             ;   in Loop: Header=BB4_1481 Depth=2
	s_andn2_saveexec_b64 s[24:25], s[60:61]
; %bb.1596:                             ;   in Loop: Header=BB4_1481 Depth=2
	v_or_b32_sdwa v2, v2, s75 dst_sel:DWORD dst_unused:UNUSED_PAD src0_sel:BYTE_3 src1_sel:DWORD
	v_cmp_eq_u64_e32 vcc, 0, v[38:39]
	v_cndmask_b32_e32 v32, v2, v32, vcc
; %bb.1597:                             ;   in Loop: Header=BB4_1481 Depth=2
	s_or_b64 exec, exec, s[24:25]
	v_lshrrev_b32_e32 v2, 16, v11
	v_cmp_ne_u16_sdwa vcc, v2, v39 src0_sel:BYTE_0 src1_sel:DWORD
	v_mov_b32_e32 v3, 0
	s_and_saveexec_b64 s[24:25], vcc
	s_cbranch_execz .LBB4_1603
; %bb.1598:                             ;   in Loop: Header=BB4_1481 Depth=2
	v_cmp_ne_u16_sdwa vcc, v2, s76 src0_sel:BYTE_0 src1_sel:DWORD
	v_bfrev_b32_e32 v3, 1
	s_and_saveexec_b64 s[60:61], vcc
	s_cbranch_execz .LBB4_1602
; %bb.1599:                             ;   in Loop: Header=BB4_1481 Depth=2
	v_bfe_u32 v5, v11, 16, 7
	v_cmp_ne_u32_e32 vcc, s75, v5
	v_mov_b32_e32 v3, 0x7f800001
	s_and_saveexec_b64 s[62:63], vcc
	s_cbranch_execz .LBB4_1601
; %bb.1600:                             ;   in Loop: Header=BB4_1481 Depth=2
	v_and_b32_e32 v3, 7, v2
	v_ffbh_u32_e32 v8, v3
	v_min_u32_e32 v18, 32, v8
	v_subrev_u32_e32 v8, 28, v18
	v_lshlrev_b64 v[8:9], v8, v[2:3]
	v_lshrrev_b32_e32 v6, 3, v5
	v_sub_u32_e32 v9, 29, v18
	v_and_b32_e32 v8, 7, v8
	v_cmp_gt_u32_e32 vcc, 8, v5
	v_cndmask_b32_e32 v5, v6, v9, vcc
	v_cndmask_b32_e32 v3, v3, v8, vcc
	v_lshlrev_b32_e32 v2, 24, v2
	v_bfrev_b32_e32 v6, 60
	v_lshlrev_b32_e32 v3, 20, v3
	v_and_b32_e32 v2, 0x80000000, v2
	v_lshl_add_u32 v5, v5, 23, v6
	v_or3_b32 v3, v2, v5, v3
.LBB4_1601:                             ;   in Loop: Header=BB4_1481 Depth=2
	s_or_b64 exec, exec, s[62:63]
.LBB4_1602:                             ;   in Loop: Header=BB4_1481 Depth=2
	s_or_b64 exec, exec, s[60:61]
.LBB4_1603:                             ;   in Loop: Header=BB4_1481 Depth=2
	s_or_b64 exec, exec, s[24:25]
	v_mul_f32_e32 v2, v7, v3
	v_and_b32_sdwa v5, v2, s76 dst_sel:DWORD dst_unused:UNUSED_PAD src0_sel:BYTE_3 src1_sel:DWORD
	v_and_b32_e32 v8, 0x7f800000, v2
	v_mov_b32_e32 v9, v39
	v_and_b32_e32 v38, 0x7fffff, v2
	v_or_b32_e32 v33, 0x7e, v5
	v_cmp_ne_u64_e32 vcc, s[42:43], v[8:9]
	s_and_saveexec_b64 s[24:25], vcc
	s_xor_b64 s[60:61], exec, s[24:25]
	s_cbranch_execz .LBB4_1613
; %bb.1604:                             ;   in Loop: Header=BB4_1481 Depth=2
	v_and_b32_e32 v8, 0x7fffffff, v2
	v_mov_b32_e32 v9, v39
	v_cmp_gt_u64_e32 vcc, s[44:45], v[8:9]
	s_and_saveexec_b64 s[62:63], vcc
	s_cbranch_execz .LBB4_1612
; %bb.1605:                             ;   in Loop: Header=BB4_1481 Depth=2
	v_cmp_ne_u32_e32 vcc, 0, v2
	v_mov_b32_e32 v33, 0
	s_and_saveexec_b64 s[64:65], vcc
	s_cbranch_execz .LBB4_1611
; %bb.1606:                             ;   in Loop: Header=BB4_1481 Depth=2
	v_bfe_u32 v2, v2, 23, 8
	v_sub_u32_e32 v6, 0x79, v2
	v_cmp_gt_u32_e32 vcc, s77, v2
	v_add_u32_e32 v3, 0xffffff81, v2
	v_cndmask_b32_e32 v6, 0, v6, vcc
	v_cmp_eq_u32_e32 vcc, 0, v2
	v_mov_b32_e32 v2, 0xffffff82
	v_cndmask_b32_e32 v9, v3, v2, vcc
	v_mov_b32_e32 v2, 0x78
	v_or_b32_e32 v8, 0x800000, v38
	v_cndmask_b32_e32 v6, v6, v2, vcc
	v_cndmask_b32_e32 v38, v8, v38, vcc
	v_add_u32_e32 v2, 20, v6
	v_lshlrev_b64 v[2:3], v2, -1
	v_add_u32_e32 v8, 19, v6
	v_lshrrev_b64 v[34:35], v6, v[38:39]
	v_not_b32_e32 v3, v3
	v_not_b32_e32 v2, v2
	v_lshlrev_b64 v[24:25], v8, 1
	v_lshrrev_b32_e32 v8, 23, v34
	v_and_b32_e32 v3, 0, v3
	v_and_b32_e32 v2, v38, v2
	v_add3_u32 v9, v6, v9, v8
	v_bfe_u32 v6, v34, 20, 1
	v_add_u32_e32 v6, -1, v6
	v_cmp_eq_u64_e32 vcc, v[2:3], v[24:25]
	v_cndmask_b32_e32 v2, 0, v6, vcc
	v_add_u32_e32 v2, v2, v34
	v_and_b32_e32 v2, 0xfffff, v2
	v_add_co_u32_e32 v2, vcc, v2, v34
	v_add_u32_e32 v8, 6, v9
	v_addc_co_u32_e32 v3, vcc, 0, v35, vcc
	v_cmp_ne_u32_e32 vcc, 0, v8
                                        ; implicit-def: $vgpr6
	s_and_saveexec_b64 s[24:25], vcc
	s_xor_b64 s[24:25], exec, s[24:25]
; %bb.1607:                             ;   in Loop: Header=BB4_1481 Depth=2
	v_add_u32_e32 v6, 7, v9
	v_cmp_lt_u64_e32 vcc, s[48:49], v[2:3]
	v_cndmask_b32_e32 v6, v8, v6, vcc
	v_cndmask_b32_e64 v8, 0, 1, vcc
	v_lshrrev_b64 v[2:3], v8, v[2:3]
; %bb.1608:                             ;   in Loop: Header=BB4_1481 Depth=2
	s_andn2_saveexec_b64 s[24:25], s[24:25]
; %bb.1609:                             ;   in Loop: Header=BB4_1481 Depth=2
	v_bfe_u32 v6, v2, 23, 1
; %bb.1610:                             ;   in Loop: Header=BB4_1481 Depth=2
	s_or_b64 exec, exec, s[24:25]
	v_lshrrev_b64 v[2:3], 20, v[2:3]
	v_cmp_gt_i32_e32 vcc, 16, v6
	v_cndmask_b32_e32 v3, 0, v3, vcc
	v_cndmask_b32_e32 v2, 7, v2, vcc
	v_cmp_eq_u64_e64 s[24:25], 0, v[2:3]
	v_min_i32_e32 v3, 15, v6
	v_lshlrev_b32_e32 v3, 3, v3
	v_cmp_eq_u32_e32 vcc, 0, v6
	v_and_b32_e32 v3, 0xf8, v3
	v_and_or_b32 v2, v2, 7, v3
	s_and_b64 s[24:25], vcc, s[24:25]
	v_cndmask_b32_e64 v2, v2, 0, s[24:25]
	v_or_b32_e32 v33, v2, v5
.LBB4_1611:                             ;   in Loop: Header=BB4_1481 Depth=2
	s_or_b64 exec, exec, s[64:65]
.LBB4_1612:                             ;   in Loop: Header=BB4_1481 Depth=2
	s_or_b64 exec, exec, s[62:63]
                                        ; implicit-def: $vgpr2
.LBB4_1613:                             ;   in Loop: Header=BB4_1481 Depth=2
	s_andn2_saveexec_b64 s[24:25], s[60:61]
; %bb.1614:                             ;   in Loop: Header=BB4_1481 Depth=2
	v_or_b32_sdwa v2, v2, s75 dst_sel:DWORD dst_unused:UNUSED_PAD src0_sel:BYTE_3 src1_sel:DWORD
	v_cmp_eq_u64_e32 vcc, 0, v[38:39]
	v_cndmask_b32_e32 v33, v2, v33, vcc
; %bb.1615:                             ;   in Loop: Header=BB4_1481 Depth=2
	s_or_b64 exec, exec, s[24:25]
	v_cmp_lt_u64_e32 vcc, s[46:47], v[10:11]
	v_mov_b32_e32 v3, 0
	s_and_saveexec_b64 s[24:25], vcc
	s_cbranch_execz .LBB4_1621
; %bb.1616:                             ;   in Loop: Header=BB4_1481 Depth=2
	v_lshrrev_b32_e32 v2, 24, v11
	v_cmp_ne_u32_e32 vcc, s76, v2
	v_bfrev_b32_e32 v3, 1
	s_and_saveexec_b64 s[60:61], vcc
	s_cbranch_execz .LBB4_1620
; %bb.1617:                             ;   in Loop: Header=BB4_1481 Depth=2
	v_bfe_u32 v5, v11, 24, 7
	v_cmp_ne_u32_e32 vcc, s75, v5
	v_mov_b32_e32 v3, 0x7f800001
	s_and_saveexec_b64 s[62:63], vcc
	s_cbranch_execz .LBB4_1619
; %bb.1618:                             ;   in Loop: Header=BB4_1481 Depth=2
	v_and_b32_e32 v3, 7, v2
	v_ffbh_u32_e32 v8, v3
	v_min_u32_e32 v10, 32, v8
	v_subrev_u32_e32 v8, 28, v10
	v_lshlrev_b64 v[8:9], v8, v[2:3]
	v_lshrrev_b32_e32 v6, 3, v5
	v_sub_u32_e32 v9, 29, v10
	v_and_b32_e32 v8, 7, v8
	v_cmp_gt_u32_e32 vcc, 8, v5
	v_cndmask_b32_e32 v5, v6, v9, vcc
	v_cndmask_b32_e32 v3, v3, v8, vcc
	v_lshlrev_b32_e32 v2, 24, v2
	v_bfrev_b32_e32 v6, 60
	v_lshlrev_b32_e32 v3, 20, v3
	v_and_b32_e32 v2, 0x80000000, v2
	v_lshl_add_u32 v5, v5, 23, v6
	v_or3_b32 v3, v2, v5, v3
.LBB4_1619:                             ;   in Loop: Header=BB4_1481 Depth=2
	s_or_b64 exec, exec, s[62:63]
.LBB4_1620:                             ;   in Loop: Header=BB4_1481 Depth=2
	s_or_b64 exec, exec, s[60:61]
.LBB4_1621:                             ;   in Loop: Header=BB4_1481 Depth=2
	s_or_b64 exec, exec, s[24:25]
	v_mul_f32_e32 v2, v7, v3
	v_and_b32_sdwa v5, v2, s76 dst_sel:DWORD dst_unused:UNUSED_PAD src0_sel:BYTE_3 src1_sel:DWORD
	v_and_b32_e32 v8, 0x7f800000, v2
	v_mov_b32_e32 v9, v39
	v_and_b32_e32 v38, 0x7fffff, v2
	v_or_b32_e32 v34, 0x7e, v5
	v_cmp_ne_u64_e32 vcc, s[42:43], v[8:9]
	s_and_saveexec_b64 s[24:25], vcc
	s_xor_b64 s[60:61], exec, s[24:25]
	s_cbranch_execz .LBB4_1631
; %bb.1622:                             ;   in Loop: Header=BB4_1481 Depth=2
	v_and_b32_e32 v8, 0x7fffffff, v2
	v_mov_b32_e32 v9, v39
	v_cmp_gt_u64_e32 vcc, s[44:45], v[8:9]
	s_and_saveexec_b64 s[62:63], vcc
	s_cbranch_execz .LBB4_1630
; %bb.1623:                             ;   in Loop: Header=BB4_1481 Depth=2
	v_cmp_ne_u32_e32 vcc, 0, v2
	v_mov_b32_e32 v34, 0
	s_and_saveexec_b64 s[64:65], vcc
	s_cbranch_execz .LBB4_1629
; %bb.1624:                             ;   in Loop: Header=BB4_1481 Depth=2
	v_bfe_u32 v2, v2, 23, 8
	v_sub_u32_e32 v6, 0x79, v2
	v_cmp_gt_u32_e32 vcc, s77, v2
	v_add_u32_e32 v3, 0xffffff81, v2
	v_cndmask_b32_e32 v6, 0, v6, vcc
	v_cmp_eq_u32_e32 vcc, 0, v2
	v_mov_b32_e32 v2, 0xffffff82
	v_cndmask_b32_e32 v9, v3, v2, vcc
	v_mov_b32_e32 v2, 0x78
	v_or_b32_e32 v8, 0x800000, v38
	v_cndmask_b32_e32 v6, v6, v2, vcc
	v_cndmask_b32_e32 v38, v8, v38, vcc
	v_add_u32_e32 v2, 20, v6
	v_lshlrev_b64 v[2:3], v2, -1
	v_add_u32_e32 v8, 19, v6
	v_lshrrev_b64 v[24:25], v6, v[38:39]
	v_not_b32_e32 v3, v3
	v_not_b32_e32 v2, v2
	v_lshlrev_b64 v[10:11], v8, 1
	v_lshrrev_b32_e32 v8, 23, v24
	v_and_b32_e32 v3, 0, v3
	v_and_b32_e32 v2, v38, v2
	v_add3_u32 v9, v6, v9, v8
	v_bfe_u32 v6, v24, 20, 1
	v_add_u32_e32 v6, -1, v6
	v_cmp_eq_u64_e32 vcc, v[2:3], v[10:11]
	v_cndmask_b32_e32 v2, 0, v6, vcc
	v_add_u32_e32 v2, v2, v24
	v_and_b32_e32 v2, 0xfffff, v2
	v_add_co_u32_e32 v2, vcc, v2, v24
	v_add_u32_e32 v8, 6, v9
	v_addc_co_u32_e32 v3, vcc, 0, v25, vcc
	v_cmp_ne_u32_e32 vcc, 0, v8
                                        ; implicit-def: $vgpr6
	s_and_saveexec_b64 s[24:25], vcc
	s_xor_b64 s[24:25], exec, s[24:25]
; %bb.1625:                             ;   in Loop: Header=BB4_1481 Depth=2
	v_add_u32_e32 v6, 7, v9
	v_cmp_lt_u64_e32 vcc, s[48:49], v[2:3]
	v_cndmask_b32_e32 v6, v8, v6, vcc
	v_cndmask_b32_e64 v8, 0, 1, vcc
	v_lshrrev_b64 v[2:3], v8, v[2:3]
; %bb.1626:                             ;   in Loop: Header=BB4_1481 Depth=2
	s_andn2_saveexec_b64 s[24:25], s[24:25]
; %bb.1627:                             ;   in Loop: Header=BB4_1481 Depth=2
	v_bfe_u32 v6, v2, 23, 1
; %bb.1628:                             ;   in Loop: Header=BB4_1481 Depth=2
	s_or_b64 exec, exec, s[24:25]
	v_lshrrev_b64 v[2:3], 20, v[2:3]
	v_cmp_gt_i32_e32 vcc, 16, v6
	v_cndmask_b32_e32 v3, 0, v3, vcc
	v_cndmask_b32_e32 v2, 7, v2, vcc
	v_cmp_eq_u64_e64 s[24:25], 0, v[2:3]
	v_min_i32_e32 v3, 15, v6
	v_lshlrev_b32_e32 v3, 3, v3
	v_cmp_eq_u32_e32 vcc, 0, v6
	v_and_b32_e32 v3, 0xf8, v3
	v_and_or_b32 v2, v2, 7, v3
	s_and_b64 s[24:25], vcc, s[24:25]
	v_cndmask_b32_e64 v2, v2, 0, s[24:25]
	v_or_b32_e32 v34, v2, v5
.LBB4_1629:                             ;   in Loop: Header=BB4_1481 Depth=2
	s_or_b64 exec, exec, s[64:65]
.LBB4_1630:                             ;   in Loop: Header=BB4_1481 Depth=2
	s_or_b64 exec, exec, s[62:63]
                                        ; implicit-def: $vgpr2
.LBB4_1631:                             ;   in Loop: Header=BB4_1481 Depth=2
	s_andn2_saveexec_b64 s[24:25], s[60:61]
; %bb.1632:                             ;   in Loop: Header=BB4_1481 Depth=2
	v_or_b32_sdwa v2, v2, s75 dst_sel:DWORD dst_unused:UNUSED_PAD src0_sel:BYTE_3 src1_sel:DWORD
	v_cmp_eq_u64_e32 vcc, 0, v[38:39]
	v_cndmask_b32_e32 v34, v2, v34, vcc
; %bb.1633:                             ;   in Loop: Header=BB4_1481 Depth=2
	s_or_b64 exec, exec, s[24:25]
	v_cmp_ne_u16_sdwa vcc, v12, v39 src0_sel:BYTE_0 src1_sel:DWORD
	v_mov_b32_e32 v2, 0
	s_and_saveexec_b64 s[24:25], vcc
	s_cbranch_execz .LBB4_1639
; %bb.1634:                             ;   in Loop: Header=BB4_1481 Depth=2
	v_cmp_ne_u16_sdwa vcc, v12, s76 src0_sel:BYTE_0 src1_sel:DWORD
	v_bfrev_b32_e32 v2, 1
	s_and_saveexec_b64 s[60:61], vcc
	s_cbranch_execz .LBB4_1638
; %bb.1635:                             ;   in Loop: Header=BB4_1481 Depth=2
	v_and_b32_e32 v3, 0x7f, v12
	v_cmp_ne_u32_e32 vcc, s75, v3
	v_mov_b32_e32 v2, 0x7f800001
	s_and_saveexec_b64 s[62:63], vcc
	s_cbranch_execz .LBB4_1637
; %bb.1636:                             ;   in Loop: Header=BB4_1481 Depth=2
	v_and_b32_e32 v2, 7, v12
	v_ffbh_u32_e32 v2, v2
	v_min_u32_e32 v2, 32, v2
	v_lshrrev_b32_e32 v5, 3, v3
	v_subrev_u32_e32 v6, 28, v2
	v_sub_u32_e32 v2, 29, v2
	v_cmp_gt_u32_e32 vcc, 8, v3
	v_cndmask_b32_e32 v5, v5, v2, vcc
	v_cndmask_b32_e32 v2, 0, v6, vcc
	v_lshlrev_b64 v[2:3], v2, v[12:13]
	v_lshlrev_b32_e32 v2, 20, v2
	v_lshlrev_b32_e32 v3, 24, v12
	v_bfrev_b32_e32 v6, 60
	v_and_b32_e32 v2, 0x700000, v2
	v_and_b32_e32 v3, 0x80000000, v3
	v_lshl_add_u32 v5, v5, 23, v6
	v_or3_b32 v2, v3, v5, v2
.LBB4_1637:                             ;   in Loop: Header=BB4_1481 Depth=2
	s_or_b64 exec, exec, s[62:63]
.LBB4_1638:                             ;   in Loop: Header=BB4_1481 Depth=2
	s_or_b64 exec, exec, s[60:61]
.LBB4_1639:                             ;   in Loop: Header=BB4_1481 Depth=2
	s_or_b64 exec, exec, s[24:25]
	v_mul_f32_e32 v2, v7, v2
	v_and_b32_sdwa v5, v2, s76 dst_sel:DWORD dst_unused:UNUSED_PAD src0_sel:BYTE_3 src1_sel:DWORD
	v_and_b32_e32 v10, 0x7f800000, v2
	v_mov_b32_e32 v11, v39
	v_and_b32_e32 v38, 0x7fffff, v2
	v_or_b32_e32 v8, 0x7e, v5
	v_cmp_ne_u64_e32 vcc, s[42:43], v[10:11]
	s_and_saveexec_b64 s[24:25], vcc
	s_xor_b64 s[60:61], exec, s[24:25]
	s_cbranch_execz .LBB4_1649
; %bb.1640:                             ;   in Loop: Header=BB4_1481 Depth=2
	v_and_b32_e32 v10, 0x7fffffff, v2
	v_mov_b32_e32 v11, v39
	v_cmp_gt_u64_e32 vcc, s[44:45], v[10:11]
	s_and_saveexec_b64 s[62:63], vcc
	s_cbranch_execz .LBB4_1648
; %bb.1641:                             ;   in Loop: Header=BB4_1481 Depth=2
	v_cmp_ne_u32_e32 vcc, 0, v2
	v_mov_b32_e32 v8, 0
	s_and_saveexec_b64 s[64:65], vcc
	s_cbranch_execz .LBB4_1647
; %bb.1642:                             ;   in Loop: Header=BB4_1481 Depth=2
	v_bfe_u32 v2, v2, 23, 8
	v_sub_u32_e32 v6, 0x79, v2
	v_cmp_gt_u32_e32 vcc, s77, v2
	v_add_u32_e32 v3, 0xffffff81, v2
	v_cndmask_b32_e32 v6, 0, v6, vcc
	v_cmp_eq_u32_e32 vcc, 0, v2
	v_mov_b32_e32 v2, 0xffffff82
	v_cndmask_b32_e32 v9, v3, v2, vcc
	v_mov_b32_e32 v2, 0x78
	v_or_b32_e32 v8, 0x800000, v38
	v_cndmask_b32_e32 v6, v6, v2, vcc
	v_cndmask_b32_e32 v38, v8, v38, vcc
	v_add_u32_e32 v2, 20, v6
	v_lshlrev_b64 v[2:3], v2, -1
	v_add_u32_e32 v8, 19, v6
	v_lshrrev_b64 v[24:25], v6, v[38:39]
	v_not_b32_e32 v3, v3
	v_not_b32_e32 v2, v2
	v_lshlrev_b64 v[10:11], v8, 1
	v_lshrrev_b32_e32 v8, 23, v24
	v_and_b32_e32 v3, 0, v3
	v_and_b32_e32 v2, v38, v2
	v_add3_u32 v9, v6, v9, v8
	v_bfe_u32 v6, v24, 20, 1
	v_add_u32_e32 v6, -1, v6
	v_cmp_eq_u64_e32 vcc, v[2:3], v[10:11]
	v_cndmask_b32_e32 v2, 0, v6, vcc
	v_add_u32_e32 v2, v2, v24
	v_and_b32_e32 v2, 0xfffff, v2
	v_add_co_u32_e32 v2, vcc, v2, v24
	v_add_u32_e32 v8, 6, v9
	v_addc_co_u32_e32 v3, vcc, 0, v25, vcc
	v_cmp_ne_u32_e32 vcc, 0, v8
                                        ; implicit-def: $vgpr6
	s_and_saveexec_b64 s[24:25], vcc
	s_xor_b64 s[24:25], exec, s[24:25]
; %bb.1643:                             ;   in Loop: Header=BB4_1481 Depth=2
	v_add_u32_e32 v6, 7, v9
	v_cmp_lt_u64_e32 vcc, s[48:49], v[2:3]
	v_cndmask_b32_e32 v6, v8, v6, vcc
	v_cndmask_b32_e64 v8, 0, 1, vcc
	v_lshrrev_b64 v[2:3], v8, v[2:3]
; %bb.1644:                             ;   in Loop: Header=BB4_1481 Depth=2
	s_andn2_saveexec_b64 s[24:25], s[24:25]
; %bb.1645:                             ;   in Loop: Header=BB4_1481 Depth=2
	v_bfe_u32 v6, v2, 23, 1
; %bb.1646:                             ;   in Loop: Header=BB4_1481 Depth=2
	s_or_b64 exec, exec, s[24:25]
	v_lshrrev_b64 v[2:3], 20, v[2:3]
	v_cmp_gt_i32_e32 vcc, 16, v6
	v_cndmask_b32_e32 v3, 0, v3, vcc
	v_cndmask_b32_e32 v2, 7, v2, vcc
	v_cmp_eq_u64_e64 s[24:25], 0, v[2:3]
	v_min_i32_e32 v3, 15, v6
	v_cmp_eq_u32_e32 vcc, 0, v6
	v_lshlrev_b32_e32 v3, 3, v3
	v_and_or_b32 v2, v2, 7, v3
	s_and_b64 s[24:25], vcc, s[24:25]
	v_cndmask_b32_e64 v2, v2, 0, s[24:25]
	v_or_b32_e32 v8, v2, v5
.LBB4_1647:                             ;   in Loop: Header=BB4_1481 Depth=2
	s_or_b64 exec, exec, s[64:65]
.LBB4_1648:                             ;   in Loop: Header=BB4_1481 Depth=2
	s_or_b64 exec, exec, s[62:63]
                                        ; implicit-def: $vgpr2
.LBB4_1649:                             ;   in Loop: Header=BB4_1481 Depth=2
	s_andn2_saveexec_b64 s[24:25], s[60:61]
; %bb.1650:                             ;   in Loop: Header=BB4_1481 Depth=2
	v_or_b32_sdwa v2, v2, s75 dst_sel:DWORD dst_unused:UNUSED_PAD src0_sel:BYTE_3 src1_sel:DWORD
	v_cmp_eq_u64_e32 vcc, 0, v[38:39]
	v_cndmask_b32_e32 v8, v2, v8, vcc
; %bb.1651:                             ;   in Loop: Header=BB4_1481 Depth=2
	s_or_b64 exec, exec, s[24:25]
	v_lshrrev_b16_e32 v2, 8, v12
	v_cmp_ne_u16_e32 vcc, 0, v2
	v_mov_b32_e32 v3, 0
	s_and_saveexec_b64 s[24:25], vcc
	s_cbranch_execz .LBB4_1657
; %bb.1652:                             ;   in Loop: Header=BB4_1481 Depth=2
	v_cmp_ne_u16_e32 vcc, s76, v2
	v_bfrev_b32_e32 v3, 1
	s_and_saveexec_b64 s[60:61], vcc
	s_cbranch_execz .LBB4_1656
; %bb.1653:                             ;   in Loop: Header=BB4_1481 Depth=2
	v_and_b32_e32 v5, 0x7f, v2
	v_cmp_ne_u32_e32 vcc, s75, v5
	v_mov_b32_e32 v3, 0x7f800001
	s_and_saveexec_b64 s[62:63], vcc
	s_cbranch_execz .LBB4_1655
; %bb.1654:                             ;   in Loop: Header=BB4_1481 Depth=2
	v_and_b32_e32 v6, 7, v2
	v_ffbh_u32_e32 v3, v6
	v_min_u32_e32 v10, 32, v3
	v_subrev_u32_e32 v3, 28, v10
	v_lshlrev_b64 v[2:3], v3, v[2:3]
	v_lshrrev_b32_e32 v9, 3, v5
	v_sub_u32_e32 v3, 29, v10
	v_and_b32_e32 v2, 7, v2
	v_cmp_gt_u32_e32 vcc, 8, v5
	v_cndmask_b32_e32 v3, v9, v3, vcc
	v_cndmask_b32_e32 v2, v6, v2, vcc
	v_lshlrev_b32_e32 v5, 16, v12
	v_bfrev_b32_e32 v6, 60
	v_lshlrev_b32_e32 v2, 20, v2
	v_and_b32_e32 v5, 0x80000000, v5
	v_lshl_add_u32 v3, v3, 23, v6
	v_or3_b32 v3, v5, v3, v2
.LBB4_1655:                             ;   in Loop: Header=BB4_1481 Depth=2
	s_or_b64 exec, exec, s[62:63]
.LBB4_1656:                             ;   in Loop: Header=BB4_1481 Depth=2
	s_or_b64 exec, exec, s[60:61]
.LBB4_1657:                             ;   in Loop: Header=BB4_1481 Depth=2
	s_or_b64 exec, exec, s[24:25]
	v_mul_f32_e32 v2, v7, v3
	v_and_b32_sdwa v5, v2, s76 dst_sel:DWORD dst_unused:UNUSED_PAD src0_sel:BYTE_3 src1_sel:DWORD
	v_and_b32_e32 v10, 0x7f800000, v2
	v_mov_b32_e32 v11, v39
	v_and_b32_e32 v38, 0x7fffff, v2
	v_or_b32_e32 v27, 0x7e, v5
	v_cmp_ne_u64_e32 vcc, s[42:43], v[10:11]
	s_and_saveexec_b64 s[24:25], vcc
	s_xor_b64 s[60:61], exec, s[24:25]
	s_cbranch_execz .LBB4_1667
; %bb.1658:                             ;   in Loop: Header=BB4_1481 Depth=2
	v_and_b32_e32 v10, 0x7fffffff, v2
	v_mov_b32_e32 v11, v39
	v_cmp_gt_u64_e32 vcc, s[44:45], v[10:11]
	s_and_saveexec_b64 s[62:63], vcc
	s_cbranch_execz .LBB4_1666
; %bb.1659:                             ;   in Loop: Header=BB4_1481 Depth=2
	v_cmp_ne_u32_e32 vcc, 0, v2
	v_mov_b32_e32 v27, 0
	s_and_saveexec_b64 s[64:65], vcc
	s_cbranch_execz .LBB4_1665
; %bb.1660:                             ;   in Loop: Header=BB4_1481 Depth=2
	v_bfe_u32 v2, v2, 23, 8
	v_sub_u32_e32 v6, 0x79, v2
	v_cmp_gt_u32_e32 vcc, s77, v2
	v_add_u32_e32 v3, 0xffffff81, v2
	v_cndmask_b32_e32 v6, 0, v6, vcc
	v_cmp_eq_u32_e32 vcc, 0, v2
	v_mov_b32_e32 v2, 0xffffff82
	v_cndmask_b32_e32 v10, v3, v2, vcc
	v_mov_b32_e32 v2, 0x78
	v_or_b32_e32 v9, 0x800000, v38
	v_cndmask_b32_e32 v6, v6, v2, vcc
	v_cndmask_b32_e32 v38, v9, v38, vcc
	v_add_u32_e32 v2, 20, v6
	v_lshlrev_b64 v[2:3], v2, -1
	v_add_u32_e32 v9, 19, v6
	v_lshrrev_b64 v[36:37], v6, v[38:39]
	v_not_b32_e32 v3, v3
	v_not_b32_e32 v2, v2
	v_lshlrev_b64 v[24:25], v9, 1
	v_lshrrev_b32_e32 v9, 23, v36
	v_and_b32_e32 v3, 0, v3
	v_and_b32_e32 v2, v38, v2
	v_add3_u32 v10, v6, v10, v9
	v_bfe_u32 v6, v36, 20, 1
	v_add_u32_e32 v6, -1, v6
	v_cmp_eq_u64_e32 vcc, v[2:3], v[24:25]
	v_cndmask_b32_e32 v2, 0, v6, vcc
	v_add_u32_e32 v2, v2, v36
	v_and_b32_e32 v2, 0xfffff, v2
	v_add_co_u32_e32 v2, vcc, v2, v36
	v_add_u32_e32 v9, 6, v10
	v_addc_co_u32_e32 v3, vcc, 0, v37, vcc
	v_cmp_ne_u32_e32 vcc, 0, v9
                                        ; implicit-def: $vgpr6
	s_and_saveexec_b64 s[24:25], vcc
	s_xor_b64 s[24:25], exec, s[24:25]
; %bb.1661:                             ;   in Loop: Header=BB4_1481 Depth=2
	v_add_u32_e32 v6, 7, v10
	v_cmp_lt_u64_e32 vcc, s[48:49], v[2:3]
	v_cndmask_b32_e32 v6, v9, v6, vcc
	v_cndmask_b32_e64 v9, 0, 1, vcc
	v_lshrrev_b64 v[2:3], v9, v[2:3]
; %bb.1662:                             ;   in Loop: Header=BB4_1481 Depth=2
	s_andn2_saveexec_b64 s[24:25], s[24:25]
; %bb.1663:                             ;   in Loop: Header=BB4_1481 Depth=2
	v_bfe_u32 v6, v2, 23, 1
; %bb.1664:                             ;   in Loop: Header=BB4_1481 Depth=2
	s_or_b64 exec, exec, s[24:25]
	v_lshrrev_b64 v[2:3], 20, v[2:3]
	v_cmp_gt_i32_e32 vcc, 16, v6
	v_cndmask_b32_e32 v3, 0, v3, vcc
	v_cndmask_b32_e32 v2, 7, v2, vcc
	v_cmp_eq_u64_e64 s[24:25], 0, v[2:3]
	v_min_i32_e32 v3, 15, v6
	v_cmp_eq_u32_e32 vcc, 0, v6
	v_lshlrev_b32_e32 v3, 3, v3
	v_and_or_b32 v2, v2, 7, v3
	s_and_b64 s[24:25], vcc, s[24:25]
	v_cndmask_b32_e64 v2, v2, 0, s[24:25]
	v_or_b32_e32 v27, v2, v5
.LBB4_1665:                             ;   in Loop: Header=BB4_1481 Depth=2
	s_or_b64 exec, exec, s[64:65]
.LBB4_1666:                             ;   in Loop: Header=BB4_1481 Depth=2
	s_or_b64 exec, exec, s[62:63]
                                        ; implicit-def: $vgpr2
.LBB4_1667:                             ;   in Loop: Header=BB4_1481 Depth=2
	s_andn2_saveexec_b64 s[24:25], s[60:61]
; %bb.1668:                             ;   in Loop: Header=BB4_1481 Depth=2
	v_or_b32_sdwa v2, v2, s75 dst_sel:DWORD dst_unused:UNUSED_PAD src0_sel:BYTE_3 src1_sel:DWORD
	v_cmp_eq_u64_e32 vcc, 0, v[38:39]
	v_cndmask_b32_e32 v27, v2, v27, vcc
; %bb.1669:                             ;   in Loop: Header=BB4_1481 Depth=2
	s_or_b64 exec, exec, s[24:25]
	v_lshrrev_b32_e32 v2, 16, v12
	v_cmp_ne_u16_sdwa vcc, v2, v39 src0_sel:BYTE_0 src1_sel:DWORD
	v_mov_b32_e32 v3, 0
	s_and_saveexec_b64 s[24:25], vcc
	s_cbranch_execz .LBB4_1675
; %bb.1670:                             ;   in Loop: Header=BB4_1481 Depth=2
	v_cmp_ne_u16_sdwa vcc, v2, s76 src0_sel:BYTE_0 src1_sel:DWORD
	v_bfrev_b32_e32 v3, 1
	s_and_saveexec_b64 s[60:61], vcc
	s_cbranch_execz .LBB4_1674
; %bb.1671:                             ;   in Loop: Header=BB4_1481 Depth=2
	v_bfe_u32 v5, v12, 16, 7
	v_cmp_ne_u32_e32 vcc, s75, v5
	v_mov_b32_e32 v3, 0x7f800001
	s_and_saveexec_b64 s[62:63], vcc
	s_cbranch_execz .LBB4_1673
; %bb.1672:                             ;   in Loop: Header=BB4_1481 Depth=2
	v_and_b32_e32 v3, 7, v2
	v_ffbh_u32_e32 v9, v3
	v_min_u32_e32 v9, 32, v9
	v_subrev_u32_e32 v10, 28, v9
	v_lshlrev_b64 v[10:11], v10, v[2:3]
	v_lshrrev_b32_e32 v6, 3, v5
	v_sub_u32_e32 v9, 29, v9
	v_and_b32_e32 v10, 7, v10
	v_cmp_gt_u32_e32 vcc, 8, v5
	v_cndmask_b32_e32 v5, v6, v9, vcc
	v_cndmask_b32_e32 v3, v3, v10, vcc
	v_lshlrev_b32_e32 v2, 24, v2
	v_bfrev_b32_e32 v6, 60
	v_lshlrev_b32_e32 v3, 20, v3
	v_and_b32_e32 v2, 0x80000000, v2
	v_lshl_add_u32 v5, v5, 23, v6
	v_or3_b32 v3, v2, v5, v3
.LBB4_1673:                             ;   in Loop: Header=BB4_1481 Depth=2
	s_or_b64 exec, exec, s[62:63]
.LBB4_1674:                             ;   in Loop: Header=BB4_1481 Depth=2
	s_or_b64 exec, exec, s[60:61]
.LBB4_1675:                             ;   in Loop: Header=BB4_1481 Depth=2
	s_or_b64 exec, exec, s[24:25]
	v_mul_f32_e32 v3, v7, v3
	v_and_b32_sdwa v5, v3, s76 dst_sel:DWORD dst_unused:UNUSED_PAD src0_sel:BYTE_3 src1_sel:DWORD
	v_and_b32_e32 v10, 0x7f800000, v3
	v_mov_b32_e32 v11, v39
	v_and_b32_e32 v38, 0x7fffff, v3
	v_or_b32_e32 v2, 0x7e, v5
	v_cmp_ne_u64_e32 vcc, s[42:43], v[10:11]
	s_and_saveexec_b64 s[24:25], vcc
	s_xor_b64 s[60:61], exec, s[24:25]
	s_cbranch_execz .LBB4_1685
; %bb.1676:                             ;   in Loop: Header=BB4_1481 Depth=2
	v_and_b32_e32 v10, 0x7fffffff, v3
	v_mov_b32_e32 v11, v39
	v_cmp_gt_u64_e32 vcc, s[44:45], v[10:11]
	s_and_saveexec_b64 s[62:63], vcc
	s_cbranch_execz .LBB4_1684
; %bb.1677:                             ;   in Loop: Header=BB4_1481 Depth=2
	v_cmp_ne_u32_e32 vcc, 0, v3
	v_mov_b32_e32 v2, 0
	s_and_saveexec_b64 s[64:65], vcc
	s_cbranch_execz .LBB4_1683
; %bb.1678:                             ;   in Loop: Header=BB4_1481 Depth=2
	v_bfe_u32 v2, v3, 23, 8
	v_sub_u32_e32 v6, 0x79, v2
	v_cmp_gt_u32_e32 vcc, s77, v2
	v_add_u32_e32 v3, 0xffffff81, v2
	v_cndmask_b32_e32 v6, 0, v6, vcc
	v_cmp_eq_u32_e32 vcc, 0, v2
	v_mov_b32_e32 v2, 0xffffff82
	v_cndmask_b32_e32 v10, v3, v2, vcc
	v_mov_b32_e32 v2, 0x78
	v_or_b32_e32 v9, 0x800000, v38
	v_cndmask_b32_e32 v6, v6, v2, vcc
	v_cndmask_b32_e32 v38, v9, v38, vcc
	v_add_u32_e32 v2, 20, v6
	v_lshlrev_b64 v[2:3], v2, -1
	v_add_u32_e32 v9, 19, v6
	v_lshrrev_b64 v[36:37], v6, v[38:39]
	v_not_b32_e32 v3, v3
	v_not_b32_e32 v2, v2
	v_lshlrev_b64 v[24:25], v9, 1
	v_lshrrev_b32_e32 v9, 23, v36
	v_and_b32_e32 v3, 0, v3
	v_and_b32_e32 v2, v38, v2
	v_add3_u32 v10, v6, v10, v9
	v_bfe_u32 v6, v36, 20, 1
	v_add_u32_e32 v6, -1, v6
	v_cmp_eq_u64_e32 vcc, v[2:3], v[24:25]
	v_cndmask_b32_e32 v2, 0, v6, vcc
	v_add_u32_e32 v2, v2, v36
	v_and_b32_e32 v2, 0xfffff, v2
	v_add_co_u32_e32 v2, vcc, v2, v36
	v_add_u32_e32 v9, 6, v10
	v_addc_co_u32_e32 v3, vcc, 0, v37, vcc
	v_cmp_ne_u32_e32 vcc, 0, v9
                                        ; implicit-def: $vgpr6
	s_and_saveexec_b64 s[24:25], vcc
	s_xor_b64 s[24:25], exec, s[24:25]
; %bb.1679:                             ;   in Loop: Header=BB4_1481 Depth=2
	v_add_u32_e32 v6, 7, v10
	v_cmp_lt_u64_e32 vcc, s[48:49], v[2:3]
	v_cndmask_b32_e32 v6, v9, v6, vcc
	v_cndmask_b32_e64 v9, 0, 1, vcc
	v_lshrrev_b64 v[2:3], v9, v[2:3]
; %bb.1680:                             ;   in Loop: Header=BB4_1481 Depth=2
	s_andn2_saveexec_b64 s[24:25], s[24:25]
; %bb.1681:                             ;   in Loop: Header=BB4_1481 Depth=2
	v_bfe_u32 v6, v2, 23, 1
; %bb.1682:                             ;   in Loop: Header=BB4_1481 Depth=2
	s_or_b64 exec, exec, s[24:25]
	v_lshrrev_b64 v[2:3], 20, v[2:3]
	v_cmp_gt_i32_e32 vcc, 16, v6
	v_cndmask_b32_e32 v3, 0, v3, vcc
	v_cndmask_b32_e32 v2, 7, v2, vcc
	v_cmp_eq_u64_e64 s[24:25], 0, v[2:3]
	v_min_i32_e32 v3, 15, v6
	v_cmp_eq_u32_e32 vcc, 0, v6
	v_lshlrev_b32_e32 v3, 3, v3
	v_and_or_b32 v2, v2, 7, v3
	s_and_b64 s[24:25], vcc, s[24:25]
	v_cndmask_b32_e64 v2, v2, 0, s[24:25]
	v_or_b32_e32 v2, v2, v5
.LBB4_1683:                             ;   in Loop: Header=BB4_1481 Depth=2
	s_or_b64 exec, exec, s[64:65]
.LBB4_1684:                             ;   in Loop: Header=BB4_1481 Depth=2
	s_or_b64 exec, exec, s[62:63]
                                        ; implicit-def: $vgpr3
.LBB4_1685:                             ;   in Loop: Header=BB4_1481 Depth=2
	s_andn2_saveexec_b64 s[24:25], s[60:61]
; %bb.1686:                             ;   in Loop: Header=BB4_1481 Depth=2
	v_or_b32_sdwa v3, v3, s75 dst_sel:DWORD dst_unused:UNUSED_PAD src0_sel:BYTE_3 src1_sel:DWORD
	v_cmp_eq_u64_e32 vcc, 0, v[38:39]
	v_cndmask_b32_e32 v2, v3, v2, vcc
; %bb.1687:                             ;   in Loop: Header=BB4_1481 Depth=2
	s_or_b64 exec, exec, s[24:25]
	v_cmp_lt_u32_e32 vcc, s47, v12
	v_mov_b32_e32 v3, 0
	s_and_saveexec_b64 s[24:25], vcc
	s_cbranch_execz .LBB4_1693
; %bb.1688:                             ;   in Loop: Header=BB4_1481 Depth=2
	v_lshrrev_b32_e32 v10, 24, v12
	v_cmp_ne_u32_e32 vcc, s76, v10
	v_bfrev_b32_e32 v3, 1
	s_and_saveexec_b64 s[60:61], vcc
	s_cbranch_execz .LBB4_1692
; %bb.1689:                             ;   in Loop: Header=BB4_1481 Depth=2
	v_bfe_u32 v5, v12, 24, 7
	v_cmp_ne_u32_e32 vcc, s75, v5
	v_mov_b32_e32 v3, 0x7f800001
	s_and_saveexec_b64 s[62:63], vcc
	s_cbranch_execz .LBB4_1691
; %bb.1690:                             ;   in Loop: Header=BB4_1481 Depth=2
	v_and_b32_e32 v3, 7, v10
	v_ffbh_u32_e32 v9, v3
	v_min_u32_e32 v9, 32, v9
	v_subrev_u32_e32 v11, 28, v9
	v_lshlrev_b64 v[24:25], v11, v[10:11]
	v_lshrrev_b32_e32 v6, 3, v5
	v_sub_u32_e32 v9, 29, v9
	v_and_b32_e32 v11, 7, v24
	v_cmp_gt_u32_e32 vcc, 8, v5
	v_cndmask_b32_e32 v5, v6, v9, vcc
	v_cndmask_b32_e32 v3, v3, v11, vcc
	v_lshlrev_b32_e32 v6, 24, v10
	v_bfrev_b32_e32 v9, 60
	v_lshlrev_b32_e32 v3, 20, v3
	v_and_b32_e32 v6, 0x80000000, v6
	v_lshl_add_u32 v5, v5, 23, v9
	v_or3_b32 v3, v6, v5, v3
.LBB4_1691:                             ;   in Loop: Header=BB4_1481 Depth=2
	s_or_b64 exec, exec, s[62:63]
.LBB4_1692:                             ;   in Loop: Header=BB4_1481 Depth=2
	s_or_b64 exec, exec, s[60:61]
.LBB4_1693:                             ;   in Loop: Header=BB4_1481 Depth=2
	s_or_b64 exec, exec, s[24:25]
	v_mul_f32_e32 v5, v7, v3
	v_and_b32_sdwa v3, v5, s76 dst_sel:DWORD dst_unused:UNUSED_PAD src0_sel:BYTE_3 src1_sel:DWORD
	v_and_b32_e32 v10, 0x7f800000, v5
	v_mov_b32_e32 v11, v39
	v_and_b32_e32 v38, 0x7fffff, v5
	v_or_b32_e32 v6, 0x7e, v3
	v_cmp_ne_u64_e32 vcc, s[42:43], v[10:11]
	s_and_saveexec_b64 s[24:25], vcc
	s_xor_b64 s[60:61], exec, s[24:25]
	s_cbranch_execz .LBB4_1703
; %bb.1694:                             ;   in Loop: Header=BB4_1481 Depth=2
	v_and_b32_e32 v10, 0x7fffffff, v5
	v_mov_b32_e32 v11, v39
	v_cmp_gt_u64_e32 vcc, s[44:45], v[10:11]
	s_and_saveexec_b64 s[62:63], vcc
	s_cbranch_execz .LBB4_1702
; %bb.1695:                             ;   in Loop: Header=BB4_1481 Depth=2
	v_cmp_ne_u32_e32 vcc, 0, v5
	v_mov_b32_e32 v6, 0
	s_and_saveexec_b64 s[64:65], vcc
	s_cbranch_execz .LBB4_1701
; %bb.1696:                             ;   in Loop: Header=BB4_1481 Depth=2
	v_bfe_u32 v5, v5, 23, 8
	v_sub_u32_e32 v9, 0x79, v5
	v_cmp_gt_u32_e32 vcc, s77, v5
	v_add_u32_e32 v6, 0xffffff81, v5
	v_cndmask_b32_e32 v9, 0, v9, vcc
	v_cmp_eq_u32_e32 vcc, 0, v5
	v_mov_b32_e32 v5, 0xffffff82
	v_cndmask_b32_e32 v5, v6, v5, vcc
	v_mov_b32_e32 v6, 0x78
	v_cndmask_b32_e32 v6, v9, v6, vcc
	v_or_b32_e32 v10, 0x800000, v38
	v_add_u32_e32 v9, 20, v6
	v_cndmask_b32_e32 v38, v10, v38, vcc
	v_lshlrev_b64 v[10:11], v9, -1
	v_not_b32_e32 v9, v11
	v_and_b32_e32 v11, 0, v9
	v_add_u32_e32 v9, 19, v6
	v_lshrrev_b64 v[36:37], v6, v[38:39]
	v_not_b32_e32 v10, v10
	v_lshlrev_b64 v[24:25], v9, 1
	v_lshrrev_b32_e32 v9, 23, v36
	v_and_b32_e32 v10, v38, v10
	v_add3_u32 v9, v6, v5, v9
	v_bfe_u32 v5, v36, 20, 1
	v_add_u32_e32 v5, -1, v5
	v_cmp_eq_u64_e32 vcc, v[10:11], v[24:25]
	v_cndmask_b32_e32 v5, 0, v5, vcc
	v_add_u32_e32 v5, v5, v36
	v_and_b32_e32 v5, 0xfffff, v5
	v_add_co_u32_e32 v10, vcc, v5, v36
	v_add_u32_e32 v6, 6, v9
	v_addc_co_u32_e32 v11, vcc, 0, v37, vcc
	v_cmp_ne_u32_e32 vcc, 0, v6
                                        ; implicit-def: $vgpr5
	s_and_saveexec_b64 s[24:25], vcc
	s_xor_b64 s[24:25], exec, s[24:25]
; %bb.1697:                             ;   in Loop: Header=BB4_1481 Depth=2
	v_add_u32_e32 v5, 7, v9
	v_cmp_lt_u64_e32 vcc, s[48:49], v[10:11]
	v_cndmask_b32_e32 v5, v6, v5, vcc
	v_cndmask_b32_e64 v6, 0, 1, vcc
	v_lshrrev_b64 v[10:11], v6, v[10:11]
; %bb.1698:                             ;   in Loop: Header=BB4_1481 Depth=2
	s_andn2_saveexec_b64 s[24:25], s[24:25]
; %bb.1699:                             ;   in Loop: Header=BB4_1481 Depth=2
	v_bfe_u32 v5, v10, 23, 1
; %bb.1700:                             ;   in Loop: Header=BB4_1481 Depth=2
	s_or_b64 exec, exec, s[24:25]
	v_lshrrev_b64 v[10:11], 20, v[10:11]
	v_cmp_gt_i32_e32 vcc, 16, v5
	v_cndmask_b32_e32 v11, 0, v11, vcc
	v_cndmask_b32_e32 v10, 7, v10, vcc
	v_cmp_eq_u32_e32 vcc, 0, v5
	v_min_i32_e32 v5, 15, v5
	v_cmp_eq_u64_e64 s[24:25], 0, v[10:11]
	v_lshlrev_b32_e32 v5, 3, v5
	v_and_or_b32 v5, v10, 7, v5
	s_and_b64 s[24:25], vcc, s[24:25]
	v_cndmask_b32_e64 v5, v5, 0, s[24:25]
	v_or_b32_e32 v6, v5, v3
.LBB4_1701:                             ;   in Loop: Header=BB4_1481 Depth=2
	s_or_b64 exec, exec, s[64:65]
.LBB4_1702:                             ;   in Loop: Header=BB4_1481 Depth=2
	s_or_b64 exec, exec, s[62:63]
                                        ; implicit-def: $vgpr5
.LBB4_1703:                             ;   in Loop: Header=BB4_1481 Depth=2
	s_andn2_saveexec_b64 s[24:25], s[60:61]
; %bb.1704:                             ;   in Loop: Header=BB4_1481 Depth=2
	v_or_b32_sdwa v3, v5, s75 dst_sel:DWORD dst_unused:UNUSED_PAD src0_sel:BYTE_3 src1_sel:DWORD
	v_cmp_eq_u64_e32 vcc, 0, v[38:39]
	v_cndmask_b32_e32 v6, v3, v6, vcc
; %bb.1705:                             ;   in Loop: Header=BB4_1481 Depth=2
	s_or_b64 exec, exec, s[24:25]
	v_mov_b32_e32 v38, v13
	v_cmp_ne_u16_sdwa vcc, v13, v39 src0_sel:BYTE_0 src1_sel:DWORD
	v_mov_b32_e32 v3, 0
	s_and_saveexec_b64 s[24:25], vcc
	s_cbranch_execz .LBB4_1711
; %bb.1706:                             ;   in Loop: Header=BB4_1481 Depth=2
	v_cmp_ne_u16_sdwa vcc, v13, s76 src0_sel:BYTE_0 src1_sel:DWORD
	v_bfrev_b32_e32 v3, 1
	s_and_saveexec_b64 s[60:61], vcc
	s_cbranch_execz .LBB4_1710
; %bb.1707:                             ;   in Loop: Header=BB4_1481 Depth=2
	v_and_b32_e32 v5, 0x7f, v13
	v_cmp_ne_u32_e32 vcc, s75, v5
	v_mov_b32_e32 v3, 0x7f800001
	s_and_saveexec_b64 s[62:63], vcc
	s_cbranch_execz .LBB4_1709
; %bb.1708:                             ;   in Loop: Header=BB4_1481 Depth=2
	v_and_b32_e32 v3, 7, v13
	v_ffbh_u32_e32 v3, v3
	v_min_u32_e32 v3, 32, v3
	v_subrev_u32_e32 v10, 28, v3
	v_cmp_gt_u32_e32 vcc, 8, v5
	v_lshrrev_b32_e32 v9, 3, v5
	v_cndmask_b32_e32 v5, 0, v10, vcc
	v_sub_u32_e32 v3, 29, v3
	v_lshlrev_b64 v[10:11], v5, v[38:39]
	v_cndmask_b32_e32 v3, v9, v3, vcc
	v_lshlrev_b32_e32 v5, 20, v10
	v_lshlrev_b32_e32 v9, 24, v38
	v_bfrev_b32_e32 v10, 60
	v_and_b32_e32 v5, 0x700000, v5
	v_and_b32_e32 v9, 0x80000000, v9
	v_lshl_add_u32 v3, v3, 23, v10
	v_or3_b32 v3, v9, v3, v5
.LBB4_1709:                             ;   in Loop: Header=BB4_1481 Depth=2
	s_or_b64 exec, exec, s[62:63]
.LBB4_1710:                             ;   in Loop: Header=BB4_1481 Depth=2
	s_or_b64 exec, exec, s[60:61]
.LBB4_1711:                             ;   in Loop: Header=BB4_1481 Depth=2
	s_or_b64 exec, exec, s[24:25]
	v_mul_f32_e32 v9, v7, v3
	v_and_b32_sdwa v3, v9, s76 dst_sel:DWORD dst_unused:UNUSED_PAD src0_sel:BYTE_3 src1_sel:DWORD
	v_and_b32_e32 v24, 0x7f800000, v9
	v_mov_b32_e32 v25, v39
	v_and_b32_e32 v10, 0x7fffff, v9
	v_mov_b32_e32 v11, v39
	v_or_b32_e32 v5, 0x7e, v3
	v_cmp_ne_u64_e32 vcc, s[42:43], v[24:25]
	s_and_saveexec_b64 s[24:25], vcc
	s_xor_b64 s[60:61], exec, s[24:25]
	s_cbranch_execz .LBB4_1721
; %bb.1712:                             ;   in Loop: Header=BB4_1481 Depth=2
	v_and_b32_e32 v24, 0x7fffffff, v9
	v_mov_b32_e32 v25, v39
	v_cmp_gt_u64_e32 vcc, s[44:45], v[24:25]
	s_and_saveexec_b64 s[62:63], vcc
	s_cbranch_execz .LBB4_1720
; %bb.1713:                             ;   in Loop: Header=BB4_1481 Depth=2
	v_cmp_ne_u32_e32 vcc, 0, v9
	v_mov_b32_e32 v5, 0
	s_and_saveexec_b64 s[64:65], vcc
	s_cbranch_execz .LBB4_1719
; %bb.1714:                             ;   in Loop: Header=BB4_1481 Depth=2
	v_bfe_u32 v5, v9, 23, 8
	v_sub_u32_e32 v18, 0x79, v5
	v_cmp_gt_u32_e32 vcc, s77, v5
	v_add_u32_e32 v9, 0xffffff81, v5
	v_cndmask_b32_e32 v18, 0, v18, vcc
	v_cmp_eq_u32_e32 vcc, 0, v5
	v_mov_b32_e32 v5, 0xffffff82
	v_cndmask_b32_e32 v5, v9, v5, vcc
	v_mov_b32_e32 v9, 0x78
	v_cndmask_b32_e32 v9, v18, v9, vcc
	v_add_u32_e32 v18, 20, v9
	v_or_b32_e32 v20, 0x800000, v10
	v_lshlrev_b64 v[24:25], v18, -1
	v_cndmask_b32_e32 v10, v20, v10, vcc
	v_not_b32_e32 v18, v25
	v_not_b32_e32 v20, v24
	v_and_b32_e32 v25, 0, v18
	v_and_b32_e32 v24, v10, v20
	v_add_u32_e32 v18, 19, v9
	v_lshrrev_b64 v[10:11], v9, v[10:11]
	v_lshlrev_b64 v[36:37], v18, 1
	v_lshrrev_b32_e32 v18, 23, v10
	v_add3_u32 v23, v9, v5, v18
	v_bfe_u32 v5, v10, 20, 1
	v_add_u32_e32 v5, -1, v5
	v_cmp_eq_u64_e32 vcc, v[24:25], v[36:37]
	v_cndmask_b32_e32 v5, 0, v5, vcc
	v_add_u32_e32 v5, v5, v10
	v_and_b32_e32 v5, 0xfffff, v5
	v_add_co_u32_e32 v10, vcc, v5, v10
	v_add_u32_e32 v9, 6, v23
	v_addc_co_u32_e32 v11, vcc, 0, v11, vcc
	v_cmp_ne_u32_e32 vcc, 0, v9
                                        ; implicit-def: $vgpr5
	s_and_saveexec_b64 s[24:25], vcc
	s_xor_b64 s[24:25], exec, s[24:25]
; %bb.1715:                             ;   in Loop: Header=BB4_1481 Depth=2
	v_add_u32_e32 v5, 7, v23
	v_cmp_lt_u64_e32 vcc, s[48:49], v[10:11]
	v_cndmask_b32_e32 v5, v9, v5, vcc
	v_cndmask_b32_e64 v9, 0, 1, vcc
	v_lshrrev_b64 v[10:11], v9, v[10:11]
; %bb.1716:                             ;   in Loop: Header=BB4_1481 Depth=2
	s_andn2_saveexec_b64 s[24:25], s[24:25]
; %bb.1717:                             ;   in Loop: Header=BB4_1481 Depth=2
	v_bfe_u32 v5, v10, 23, 1
; %bb.1718:                             ;   in Loop: Header=BB4_1481 Depth=2
	s_or_b64 exec, exec, s[24:25]
	v_lshrrev_b64 v[10:11], 20, v[10:11]
	v_cmp_gt_i32_e32 vcc, 16, v5
	v_cndmask_b32_e32 v11, 0, v11, vcc
	v_cndmask_b32_e32 v10, 7, v10, vcc
	v_cmp_eq_u32_e32 vcc, 0, v5
	v_min_i32_e32 v5, 15, v5
	v_cmp_eq_u64_e64 s[24:25], 0, v[10:11]
	v_lshlrev_b32_e32 v5, 3, v5
	v_and_or_b32 v5, v10, 7, v5
	s_and_b64 s[24:25], vcc, s[24:25]
	v_cndmask_b32_e64 v5, v5, 0, s[24:25]
	v_or_b32_e32 v5, v5, v3
.LBB4_1719:                             ;   in Loop: Header=BB4_1481 Depth=2
	s_or_b64 exec, exec, s[64:65]
.LBB4_1720:                             ;   in Loop: Header=BB4_1481 Depth=2
	s_or_b64 exec, exec, s[62:63]
                                        ; implicit-def: $vgpr9
                                        ; implicit-def: $vgpr10_vgpr11
.LBB4_1721:                             ;   in Loop: Header=BB4_1481 Depth=2
	s_andn2_saveexec_b64 s[24:25], s[60:61]
; %bb.1722:                             ;   in Loop: Header=BB4_1481 Depth=2
	v_or_b32_sdwa v3, v9, s75 dst_sel:DWORD dst_unused:UNUSED_PAD src0_sel:BYTE_3 src1_sel:DWORD
	v_cmp_eq_u64_e32 vcc, 0, v[10:11]
	v_cndmask_b32_e32 v5, v3, v5, vcc
; %bb.1723:                             ;   in Loop: Header=BB4_1481 Depth=2
	s_or_b64 exec, exec, s[24:25]
	v_lshrrev_b16_e32 v10, 8, v38
	v_cmp_ne_u16_e32 vcc, 0, v10
	v_mov_b32_e32 v3, 0
	s_and_saveexec_b64 s[24:25], vcc
	s_cbranch_execz .LBB4_1729
; %bb.1724:                             ;   in Loop: Header=BB4_1481 Depth=2
	v_cmp_ne_u16_e32 vcc, s76, v10
	v_bfrev_b32_e32 v3, 1
	s_and_saveexec_b64 s[60:61], vcc
	s_cbranch_execz .LBB4_1728
; %bb.1725:                             ;   in Loop: Header=BB4_1481 Depth=2
	v_and_b32_e32 v9, 0x7f, v10
	v_cmp_ne_u32_e32 vcc, s75, v9
	v_mov_b32_e32 v3, 0x7f800001
	s_and_saveexec_b64 s[62:63], vcc
	s_cbranch_execz .LBB4_1727
; %bb.1726:                             ;   in Loop: Header=BB4_1481 Depth=2
	v_and_b32_e32 v3, 7, v10
	v_ffbh_u32_e32 v11, v3
	v_min_u32_e32 v20, 32, v11
	v_subrev_u32_e32 v11, 28, v20
	v_lshlrev_b64 v[10:11], v11, v[10:11]
	v_lshrrev_b32_e32 v18, 3, v9
	v_sub_u32_e32 v11, 29, v20
	v_and_b32_e32 v10, 7, v10
	v_cmp_gt_u32_e32 vcc, 8, v9
	v_cndmask_b32_e32 v9, v18, v11, vcc
	v_cndmask_b32_e32 v3, v3, v10, vcc
	v_lshlrev_b32_e32 v10, 16, v38
	v_bfrev_b32_e32 v11, 60
	v_lshlrev_b32_e32 v3, 20, v3
	v_and_b32_e32 v10, 0x80000000, v10
	v_lshl_add_u32 v9, v9, 23, v11
	v_or3_b32 v3, v10, v9, v3
.LBB4_1727:                             ;   in Loop: Header=BB4_1481 Depth=2
	s_or_b64 exec, exec, s[62:63]
.LBB4_1728:                             ;   in Loop: Header=BB4_1481 Depth=2
	s_or_b64 exec, exec, s[60:61]
.LBB4_1729:                             ;   in Loop: Header=BB4_1481 Depth=2
	s_or_b64 exec, exec, s[24:25]
	v_mul_f32_e32 v10, v7, v3
	v_and_b32_sdwa v3, v10, s76 dst_sel:DWORD dst_unused:UNUSED_PAD src0_sel:BYTE_3 src1_sel:DWORD
	v_and_b32_e32 v24, 0x7f800000, v10
	v_mov_b32_e32 v25, v39
	v_and_b32_e32 v38, 0x7fffff, v10
	v_or_b32_e32 v9, 0x7e, v3
	v_cmp_ne_u64_e32 vcc, s[42:43], v[24:25]
	s_and_saveexec_b64 s[24:25], vcc
	s_xor_b64 s[60:61], exec, s[24:25]
	s_cbranch_execz .LBB4_1739
; %bb.1730:                             ;   in Loop: Header=BB4_1481 Depth=2
	v_and_b32_e32 v24, 0x7fffffff, v10
	v_mov_b32_e32 v25, v39
	v_cmp_gt_u64_e32 vcc, s[44:45], v[24:25]
	s_and_saveexec_b64 s[62:63], vcc
	s_cbranch_execz .LBB4_1738
; %bb.1731:                             ;   in Loop: Header=BB4_1481 Depth=2
	v_cmp_ne_u32_e32 vcc, 0, v10
	v_mov_b32_e32 v9, 0
	s_and_saveexec_b64 s[64:65], vcc
	s_cbranch_execz .LBB4_1737
; %bb.1732:                             ;   in Loop: Header=BB4_1481 Depth=2
	v_bfe_u32 v9, v10, 23, 8
	v_sub_u32_e32 v11, 0x79, v9
	v_cmp_gt_u32_e32 vcc, s77, v9
	v_add_u32_e32 v10, 0xffffff81, v9
	v_cndmask_b32_e32 v11, 0, v11, vcc
	v_cmp_eq_u32_e32 vcc, 0, v9
	v_mov_b32_e32 v9, 0xffffff82
	v_cndmask_b32_e32 v9, v10, v9, vcc
	v_mov_b32_e32 v10, 0x78
	v_or_b32_e32 v18, 0x800000, v38
	v_cndmask_b32_e32 v20, v11, v10, vcc
	v_cndmask_b32_e32 v38, v18, v38, vcc
	v_add_u32_e32 v10, 20, v20
	v_lshlrev_b64 v[10:11], v10, -1
	v_add_u32_e32 v18, 19, v20
	v_lshrrev_b64 v[50:51], v20, v[38:39]
	v_not_b32_e32 v11, v11
	v_not_b32_e32 v10, v10
	v_lshlrev_b64 v[36:37], v18, 1
	v_lshrrev_b32_e32 v18, 23, v50
	v_and_b32_e32 v11, 0, v11
	v_and_b32_e32 v10, v38, v10
	v_add3_u32 v24, v20, v9, v18
	v_bfe_u32 v9, v50, 20, 1
	v_add_u32_e32 v9, -1, v9
	v_cmp_eq_u64_e32 vcc, v[10:11], v[36:37]
	v_cndmask_b32_e32 v9, 0, v9, vcc
	v_add_u32_e32 v9, v9, v50
	v_and_b32_e32 v9, 0xfffff, v9
	v_add_co_u32_e32 v10, vcc, v9, v50
	v_add_u32_e32 v23, 6, v24
	v_addc_co_u32_e32 v11, vcc, 0, v51, vcc
	v_cmp_ne_u32_e32 vcc, 0, v23
                                        ; implicit-def: $vgpr9
	s_and_saveexec_b64 s[24:25], vcc
	s_xor_b64 s[24:25], exec, s[24:25]
; %bb.1733:                             ;   in Loop: Header=BB4_1481 Depth=2
	v_cmp_lt_u64_e32 vcc, s[48:49], v[10:11]
	v_add_u32_e32 v9, 7, v24
	v_cndmask_b32_e64 v18, 0, 1, vcc
	v_cndmask_b32_e32 v9, v23, v9, vcc
	v_lshrrev_b64 v[10:11], v18, v[10:11]
; %bb.1734:                             ;   in Loop: Header=BB4_1481 Depth=2
	s_andn2_saveexec_b64 s[24:25], s[24:25]
; %bb.1735:                             ;   in Loop: Header=BB4_1481 Depth=2
	v_bfe_u32 v9, v10, 23, 1
; %bb.1736:                             ;   in Loop: Header=BB4_1481 Depth=2
	s_or_b64 exec, exec, s[24:25]
	v_lshrrev_b64 v[10:11], 20, v[10:11]
	v_cmp_gt_i32_e32 vcc, 16, v9
	v_cndmask_b32_e32 v11, 0, v11, vcc
	v_cndmask_b32_e32 v10, 7, v10, vcc
	v_cmp_eq_u32_e32 vcc, 0, v9
	v_min_i32_e32 v9, 15, v9
	v_lshlrev_b32_e32 v9, 3, v9
	v_cmp_eq_u64_e64 s[24:25], 0, v[10:11]
	v_and_b32_e32 v9, 0xf8, v9
	v_and_or_b32 v9, v10, 7, v9
	s_and_b64 s[24:25], vcc, s[24:25]
	v_cndmask_b32_e64 v9, v9, 0, s[24:25]
	v_or_b32_e32 v9, v9, v3
.LBB4_1737:                             ;   in Loop: Header=BB4_1481 Depth=2
	s_or_b64 exec, exec, s[64:65]
.LBB4_1738:                             ;   in Loop: Header=BB4_1481 Depth=2
	s_or_b64 exec, exec, s[62:63]
                                        ; implicit-def: $vgpr10
.LBB4_1739:                             ;   in Loop: Header=BB4_1481 Depth=2
	s_andn2_saveexec_b64 s[24:25], s[60:61]
; %bb.1740:                             ;   in Loop: Header=BB4_1481 Depth=2
	v_or_b32_sdwa v3, v10, s75 dst_sel:DWORD dst_unused:UNUSED_PAD src0_sel:BYTE_3 src1_sel:DWORD
	v_cmp_eq_u64_e32 vcc, 0, v[38:39]
	v_cndmask_b32_e32 v9, v3, v9, vcc
; %bb.1741:                             ;   in Loop: Header=BB4_1481 Depth=2
	s_or_b64 exec, exec, s[24:25]
	v_lshrrev_b32_e32 v10, 16, v13
	v_cmp_ne_u16_sdwa vcc, v10, v39 src0_sel:BYTE_0 src1_sel:DWORD
	v_mov_b32_e32 v3, 0
	s_and_saveexec_b64 s[24:25], vcc
	s_cbranch_execz .LBB4_1747
; %bb.1742:                             ;   in Loop: Header=BB4_1481 Depth=2
	v_cmp_ne_u16_sdwa vcc, v10, s76 src0_sel:BYTE_0 src1_sel:DWORD
	v_bfrev_b32_e32 v3, 1
	s_and_saveexec_b64 s[60:61], vcc
	s_cbranch_execz .LBB4_1746
; %bb.1743:                             ;   in Loop: Header=BB4_1481 Depth=2
	v_bfe_u32 v11, v13, 16, 7
	v_cmp_ne_u32_e32 vcc, s75, v11
	v_mov_b32_e32 v3, 0x7f800001
	s_and_saveexec_b64 s[62:63], vcc
	s_cbranch_execz .LBB4_1745
; %bb.1744:                             ;   in Loop: Header=BB4_1481 Depth=2
	v_and_b32_e32 v3, 7, v10
	v_ffbh_u32_e32 v20, v3
	v_min_u32_e32 v20, 32, v20
	v_subrev_u32_e32 v23, 28, v20
	v_lshlrev_b64 v[24:25], v23, v[10:11]
	v_lshrrev_b32_e32 v18, 3, v11
	v_sub_u32_e32 v20, 29, v20
	v_and_b32_e32 v23, 7, v24
	v_cmp_gt_u32_e32 vcc, 8, v11
	v_cndmask_b32_e32 v11, v18, v20, vcc
	v_cndmask_b32_e32 v3, v3, v23, vcc
	v_lshlrev_b32_e32 v10, 24, v10
	v_bfrev_b32_e32 v18, 60
	v_lshlrev_b32_e32 v3, 20, v3
	v_and_b32_e32 v10, 0x80000000, v10
	v_lshl_add_u32 v11, v11, 23, v18
	v_or3_b32 v3, v10, v11, v3
.LBB4_1745:                             ;   in Loop: Header=BB4_1481 Depth=2
	s_or_b64 exec, exec, s[62:63]
.LBB4_1746:                             ;   in Loop: Header=BB4_1481 Depth=2
	s_or_b64 exec, exec, s[60:61]
.LBB4_1747:                             ;   in Loop: Header=BB4_1481 Depth=2
	s_or_b64 exec, exec, s[24:25]
	v_mul_f32_e32 v10, v7, v3
	v_and_b32_sdwa v3, v10, s76 dst_sel:DWORD dst_unused:UNUSED_PAD src0_sel:BYTE_3 src1_sel:DWORD
	v_and_b32_e32 v24, 0x7f800000, v10
	v_mov_b32_e32 v25, v39
	v_and_b32_e32 v38, 0x7fffff, v10
	v_or_b32_e32 v23, 0x7e, v3
	v_cmp_ne_u64_e32 vcc, s[42:43], v[24:25]
	s_and_saveexec_b64 s[24:25], vcc
	s_xor_b64 s[60:61], exec, s[24:25]
	s_cbranch_execz .LBB4_1757
; %bb.1748:                             ;   in Loop: Header=BB4_1481 Depth=2
	v_and_b32_e32 v24, 0x7fffffff, v10
	v_mov_b32_e32 v25, v39
	v_cmp_gt_u64_e32 vcc, s[44:45], v[24:25]
	s_and_saveexec_b64 s[62:63], vcc
	s_cbranch_execz .LBB4_1756
; %bb.1749:                             ;   in Loop: Header=BB4_1481 Depth=2
	v_cmp_ne_u32_e32 vcc, 0, v10
	v_mov_b32_e32 v23, 0
	s_and_saveexec_b64 s[64:65], vcc
	s_cbranch_execz .LBB4_1755
; %bb.1750:                             ;   in Loop: Header=BB4_1481 Depth=2
	v_bfe_u32 v10, v10, 23, 8
	v_sub_u32_e32 v18, 0x79, v10
	v_cmp_gt_u32_e32 vcc, s77, v10
	v_add_u32_e32 v11, 0xffffff81, v10
	v_cndmask_b32_e32 v18, 0, v18, vcc
	v_cmp_eq_u32_e32 vcc, 0, v10
	v_mov_b32_e32 v10, 0xffffff82
	v_cndmask_b32_e32 v23, v11, v10, vcc
	v_mov_b32_e32 v10, 0x78
	v_or_b32_e32 v20, 0x800000, v38
	v_cndmask_b32_e32 v18, v18, v10, vcc
	v_cndmask_b32_e32 v38, v20, v38, vcc
	v_add_u32_e32 v10, 20, v18
	v_lshlrev_b64 v[10:11], v10, -1
	v_add_u32_e32 v20, 19, v18
	v_lshrrev_b64 v[50:51], v18, v[38:39]
	v_not_b32_e32 v11, v11
	v_not_b32_e32 v10, v10
	v_lshlrev_b64 v[36:37], v20, 1
	v_lshrrev_b32_e32 v20, 23, v50
	v_and_b32_e32 v11, 0, v11
	v_and_b32_e32 v10, v38, v10
	v_add3_u32 v25, v18, v23, v20
	v_bfe_u32 v18, v50, 20, 1
	v_add_u32_e32 v18, -1, v18
	v_cmp_eq_u64_e32 vcc, v[10:11], v[36:37]
	v_cndmask_b32_e32 v10, 0, v18, vcc
	v_add_u32_e32 v10, v10, v50
	v_and_b32_e32 v10, 0xfffff, v10
	v_add_co_u32_e32 v10, vcc, v10, v50
	v_add_u32_e32 v24, 6, v25
	v_addc_co_u32_e32 v11, vcc, 0, v51, vcc
	v_cmp_ne_u32_e32 vcc, 0, v24
                                        ; implicit-def: $vgpr23
	s_and_saveexec_b64 s[24:25], vcc
	s_xor_b64 s[24:25], exec, s[24:25]
; %bb.1751:                             ;   in Loop: Header=BB4_1481 Depth=2
	v_add_u32_e32 v18, 7, v25
	v_cmp_lt_u64_e32 vcc, s[48:49], v[10:11]
	v_cndmask_b32_e32 v23, v24, v18, vcc
	v_cndmask_b32_e64 v18, 0, 1, vcc
	v_lshrrev_b64 v[10:11], v18, v[10:11]
; %bb.1752:                             ;   in Loop: Header=BB4_1481 Depth=2
	s_andn2_saveexec_b64 s[24:25], s[24:25]
; %bb.1753:                             ;   in Loop: Header=BB4_1481 Depth=2
	v_bfe_u32 v23, v10, 23, 1
; %bb.1754:                             ;   in Loop: Header=BB4_1481 Depth=2
	s_or_b64 exec, exec, s[24:25]
	v_lshrrev_b64 v[10:11], 20, v[10:11]
	v_cmp_gt_i32_e32 vcc, 16, v23
	v_cndmask_b32_e32 v11, 0, v11, vcc
	v_cndmask_b32_e32 v10, 7, v10, vcc
	v_cmp_eq_u64_e64 s[24:25], 0, v[10:11]
	v_min_i32_e32 v11, 15, v23
	v_lshlrev_b32_e32 v11, 3, v11
	v_cmp_eq_u32_e32 vcc, 0, v23
	v_and_b32_e32 v11, 0xf8, v11
	v_and_or_b32 v10, v10, 7, v11
	s_and_b64 s[24:25], vcc, s[24:25]
	v_cndmask_b32_e64 v10, v10, 0, s[24:25]
	v_or_b32_e32 v23, v10, v3
.LBB4_1755:                             ;   in Loop: Header=BB4_1481 Depth=2
	s_or_b64 exec, exec, s[64:65]
.LBB4_1756:                             ;   in Loop: Header=BB4_1481 Depth=2
	s_or_b64 exec, exec, s[62:63]
                                        ; implicit-def: $vgpr10
.LBB4_1757:                             ;   in Loop: Header=BB4_1481 Depth=2
	s_andn2_saveexec_b64 s[24:25], s[60:61]
; %bb.1758:                             ;   in Loop: Header=BB4_1481 Depth=2
	v_or_b32_sdwa v3, v10, s75 dst_sel:DWORD dst_unused:UNUSED_PAD src0_sel:BYTE_3 src1_sel:DWORD
	v_cmp_eq_u64_e32 vcc, 0, v[38:39]
	v_cndmask_b32_e32 v23, v3, v23, vcc
; %bb.1759:                             ;   in Loop: Header=BB4_1481 Depth=2
	s_or_b64 exec, exec, s[24:25]
	v_cmp_lt_u64_e32 vcc, s[46:47], v[12:13]
	v_mov_b32_e32 v3, 0
	s_and_saveexec_b64 s[24:25], vcc
	s_cbranch_execz .LBB4_1765
; %bb.1760:                             ;   in Loop: Header=BB4_1481 Depth=2
	v_lshrrev_b32_e32 v10, 24, v13
	v_cmp_ne_u32_e32 vcc, s76, v10
	v_bfrev_b32_e32 v3, 1
	s_and_saveexec_b64 s[60:61], vcc
	s_cbranch_execz .LBB4_1764
; %bb.1761:                             ;   in Loop: Header=BB4_1481 Depth=2
	v_bfe_u32 v11, v13, 24, 7
	v_cmp_ne_u32_e32 vcc, s75, v11
	v_mov_b32_e32 v3, 0x7f800001
	s_and_saveexec_b64 s[62:63], vcc
	s_cbranch_execz .LBB4_1763
; %bb.1762:                             ;   in Loop: Header=BB4_1481 Depth=2
	v_and_b32_e32 v3, 7, v10
	v_ffbh_u32_e32 v12, v3
	v_min_u32_e32 v20, 32, v12
	v_subrev_u32_e32 v12, 28, v20
	v_lshlrev_b64 v[12:13], v12, v[10:11]
	v_lshrrev_b32_e32 v18, 3, v11
	v_sub_u32_e32 v13, 29, v20
	v_and_b32_e32 v12, 7, v12
	v_cmp_gt_u32_e32 vcc, 8, v11
	v_cndmask_b32_e32 v11, v18, v13, vcc
	v_cndmask_b32_e32 v3, v3, v12, vcc
	v_lshlrev_b32_e32 v10, 24, v10
	v_bfrev_b32_e32 v12, 60
	v_lshlrev_b32_e32 v3, 20, v3
	v_and_b32_e32 v10, 0x80000000, v10
	v_lshl_add_u32 v11, v11, 23, v12
	v_or3_b32 v3, v10, v11, v3
.LBB4_1763:                             ;   in Loop: Header=BB4_1481 Depth=2
	s_or_b64 exec, exec, s[62:63]
.LBB4_1764:                             ;   in Loop: Header=BB4_1481 Depth=2
	s_or_b64 exec, exec, s[60:61]
.LBB4_1765:                             ;   in Loop: Header=BB4_1481 Depth=2
	s_or_b64 exec, exec, s[24:25]
	v_mul_f32_e32 v7, v7, v3
	v_and_b32_sdwa v3, v7, s76 dst_sel:DWORD dst_unused:UNUSED_PAD src0_sel:BYTE_3 src1_sel:DWORD
	v_and_b32_e32 v10, 0x7f800000, v7
	v_mov_b32_e32 v11, v39
	v_and_b32_e32 v38, 0x7fffff, v7
	v_or_b32_e32 v31, 0x7e, v3
	v_cmp_ne_u64_e32 vcc, s[42:43], v[10:11]
	s_and_saveexec_b64 s[24:25], vcc
	s_xor_b64 s[60:61], exec, s[24:25]
	s_cbranch_execz .LBB4_1775
; %bb.1766:                             ;   in Loop: Header=BB4_1481 Depth=2
	v_and_b32_e32 v10, 0x7fffffff, v7
	v_mov_b32_e32 v11, v39
	v_cmp_gt_u64_e32 vcc, s[44:45], v[10:11]
	s_and_saveexec_b64 s[62:63], vcc
	s_cbranch_execz .LBB4_1774
; %bb.1767:                             ;   in Loop: Header=BB4_1481 Depth=2
	v_cmp_ne_u32_e32 vcc, 0, v7
	v_mov_b32_e32 v31, 0
	s_and_saveexec_b64 s[64:65], vcc
	s_cbranch_execz .LBB4_1773
; %bb.1768:                             ;   in Loop: Header=BB4_1481 Depth=2
	v_bfe_u32 v7, v7, 23, 8
	v_sub_u32_e32 v11, 0x79, v7
	v_cmp_gt_u32_e32 vcc, s77, v7
	v_add_u32_e32 v10, 0xffffff81, v7
	v_cndmask_b32_e32 v11, 0, v11, vcc
	v_cmp_eq_u32_e32 vcc, 0, v7
	v_mov_b32_e32 v7, 0xffffff82
	v_cndmask_b32_e32 v7, v10, v7, vcc
	v_mov_b32_e32 v10, 0x78
	v_or_b32_e32 v12, 0x800000, v38
	v_cndmask_b32_e32 v13, v11, v10, vcc
	v_cndmask_b32_e32 v38, v12, v38, vcc
	v_add_u32_e32 v10, 20, v13
	v_lshlrev_b64 v[10:11], v10, -1
	v_add_u32_e32 v12, 19, v13
	v_lshrrev_b64 v[36:37], v13, v[38:39]
	v_not_b32_e32 v11, v11
	v_not_b32_e32 v10, v10
	v_lshlrev_b64 v[24:25], v12, 1
	v_lshrrev_b32_e32 v12, 23, v36
	v_and_b32_e32 v11, 0, v11
	v_and_b32_e32 v10, v38, v10
	v_add3_u32 v13, v13, v7, v12
	v_bfe_u32 v7, v36, 20, 1
	v_add_u32_e32 v7, -1, v7
	v_cmp_eq_u64_e32 vcc, v[10:11], v[24:25]
	v_cndmask_b32_e32 v7, 0, v7, vcc
	v_add_u32_e32 v7, v7, v36
	v_and_b32_e32 v7, 0xfffff, v7
	v_add_co_u32_e32 v10, vcc, v7, v36
	v_add_u32_e32 v12, 6, v13
	v_addc_co_u32_e32 v11, vcc, 0, v37, vcc
	v_cmp_ne_u32_e32 vcc, 0, v12
                                        ; implicit-def: $vgpr7
	s_and_saveexec_b64 s[24:25], vcc
	s_xor_b64 s[24:25], exec, s[24:25]
; %bb.1769:                             ;   in Loop: Header=BB4_1481 Depth=2
	v_add_u32_e32 v7, 7, v13
	v_cmp_lt_u64_e32 vcc, s[48:49], v[10:11]
	v_cndmask_b32_e32 v7, v12, v7, vcc
	v_cndmask_b32_e64 v12, 0, 1, vcc
	v_lshrrev_b64 v[10:11], v12, v[10:11]
; %bb.1770:                             ;   in Loop: Header=BB4_1481 Depth=2
	s_andn2_saveexec_b64 s[24:25], s[24:25]
; %bb.1771:                             ;   in Loop: Header=BB4_1481 Depth=2
	v_bfe_u32 v7, v10, 23, 1
; %bb.1772:                             ;   in Loop: Header=BB4_1481 Depth=2
	s_or_b64 exec, exec, s[24:25]
	v_lshrrev_b64 v[10:11], 20, v[10:11]
	v_cmp_gt_i32_e32 vcc, 16, v7
	v_cndmask_b32_e32 v11, 0, v11, vcc
	v_cndmask_b32_e32 v10, 7, v10, vcc
	v_cmp_eq_u32_e32 vcc, 0, v7
	v_min_i32_e32 v7, 15, v7
	v_lshlrev_b32_e32 v7, 3, v7
	v_cmp_eq_u64_e64 s[24:25], 0, v[10:11]
	v_and_b32_e32 v7, 0xf8, v7
	v_and_or_b32 v7, v10, 7, v7
	s_and_b64 s[24:25], vcc, s[24:25]
	v_cndmask_b32_e64 v7, v7, 0, s[24:25]
	v_or_b32_e32 v31, v7, v3
.LBB4_1773:                             ;   in Loop: Header=BB4_1481 Depth=2
	s_or_b64 exec, exec, s[64:65]
.LBB4_1774:                             ;   in Loop: Header=BB4_1481 Depth=2
	s_or_b64 exec, exec, s[62:63]
                                        ; implicit-def: $vgpr7
.LBB4_1775:                             ;   in Loop: Header=BB4_1481 Depth=2
	s_andn2_saveexec_b64 s[24:25], s[60:61]
; %bb.1776:                             ;   in Loop: Header=BB4_1481 Depth=2
	v_or_b32_sdwa v3, v7, s75 dst_sel:DWORD dst_unused:UNUSED_PAD src0_sel:BYTE_3 src1_sel:DWORD
	v_cmp_eq_u64_e32 vcc, 0, v[38:39]
	v_cndmask_b32_e32 v31, v3, v31, vcc
; %bb.1777:                             ;   in Loop: Header=BB4_1481 Depth=2
	s_or_b64 exec, exec, s[24:25]
	global_load_dwordx4 v[10:13], v[42:43], off glc slc
	v_lshlrev_b32_e32 v3, 8, v21
	v_cmp_ne_u16_sdwa vcc, v4, v39 src0_sel:BYTE_0 src1_sel:DWORD
	v_mov_b32_e32 v7, 0
	v_mov_b32_e32 v21, 0
	s_and_saveexec_b64 s[24:25], vcc
	s_cbranch_execz .LBB4_1783
; %bb.1778:                             ;   in Loop: Header=BB4_1481 Depth=2
	v_cmp_ne_u16_sdwa vcc, v4, s76 src0_sel:BYTE_0 src1_sel:DWORD
	v_bfrev_b32_e32 v21, 1
	s_and_saveexec_b64 s[60:61], vcc
	s_cbranch_execz .LBB4_1782
; %bb.1779:                             ;   in Loop: Header=BB4_1481 Depth=2
	v_and_b32_e32 v24, 0x7f, v4
	v_cmp_ne_u32_e32 vcc, s75, v24
	v_mov_b32_e32 v21, 0x7f800001
	s_and_saveexec_b64 s[62:63], vcc
	s_cbranch_execz .LBB4_1781
; %bb.1780:                             ;   in Loop: Header=BB4_1481 Depth=2
	v_and_b32_e32 v20, 7, v4
	v_ffbh_u32_e32 v20, v20
	v_min_u32_e32 v20, 32, v20
	v_lshrrev_b32_e32 v21, 3, v24
	v_subrev_u32_e32 v25, 28, v20
	v_sub_u32_e32 v20, 29, v20
	v_cmp_gt_u32_e32 vcc, 8, v24
	v_perm_b32 v18, v3, v4, s78
	v_cndmask_b32_e32 v24, v21, v20, vcc
	v_cndmask_b32_e32 v20, 0, v25, vcc
	v_lshlrev_b64 v[20:21], v20, v[18:19]
	v_lshlrev_b32_e32 v18, 20, v20
	v_lshlrev_b32_e32 v4, 24, v4
	v_bfrev_b32_e32 v20, 60
	v_and_b32_e32 v18, 0x700000, v18
	v_and_b32_e32 v4, 0x80000000, v4
	v_lshl_add_u32 v20, v24, 23, v20
	v_or3_b32 v21, v4, v20, v18
.LBB4_1781:                             ;   in Loop: Header=BB4_1481 Depth=2
	s_or_b64 exec, exec, s[62:63]
.LBB4_1782:                             ;   in Loop: Header=BB4_1481 Depth=2
	s_or_b64 exec, exec, s[60:61]
.LBB4_1783:                             ;   in Loop: Header=BB4_1481 Depth=2
	s_or_b64 exec, exec, s[24:25]
	s_waitcnt vmcnt(0)
	v_cmp_ne_u16_sdwa vcc, v10, v39 src0_sel:BYTE_0 src1_sel:DWORD
	s_and_saveexec_b64 s[24:25], vcc
	s_cbranch_execz .LBB4_1789
; %bb.1784:                             ;   in Loop: Header=BB4_1481 Depth=2
	v_cmp_ne_u16_sdwa vcc, v10, s76 src0_sel:BYTE_0 src1_sel:DWORD
	v_bfrev_b32_e32 v7, 1
	s_and_saveexec_b64 s[60:61], vcc
	s_cbranch_execz .LBB4_1788
; %bb.1785:                             ;   in Loop: Header=BB4_1481 Depth=2
	v_and_b32_e32 v4, 0x7f, v10
	v_cmp_ne_u32_e32 vcc, s75, v4
	v_mov_b32_e32 v7, 0x7f800001
	s_and_saveexec_b64 s[62:63], vcc
	s_cbranch_execz .LBB4_1787
; %bb.1786:                             ;   in Loop: Header=BB4_1481 Depth=2
	v_and_b32_e32 v7, 7, v10
	v_ffbh_u32_e32 v7, v7
	v_min_u32_e32 v7, 32, v7
	v_lshrrev_b32_e32 v18, 3, v4
	v_subrev_u32_e32 v20, 28, v7
	v_sub_u32_e32 v7, 29, v7
	v_cmp_gt_u32_e32 vcc, 8, v4
	v_cndmask_b32_e32 v4, v18, v7, vcc
	v_cndmask_b32_e32 v7, 0, v20, vcc
	v_lshlrev_b64 v[24:25], v7, v[10:11]
	v_lshlrev_b32_e32 v7, 20, v24
	v_lshlrev_b32_e32 v18, 24, v10
	v_bfrev_b32_e32 v20, 60
	v_and_b32_e32 v7, 0x700000, v7
	v_and_b32_e32 v18, 0x80000000, v18
	v_lshl_add_u32 v4, v4, 23, v20
	v_or3_b32 v7, v18, v4, v7
.LBB4_1787:                             ;   in Loop: Header=BB4_1481 Depth=2
	s_or_b64 exec, exec, s[62:63]
.LBB4_1788:                             ;   in Loop: Header=BB4_1481 Depth=2
	s_or_b64 exec, exec, s[60:61]
.LBB4_1789:                             ;   in Loop: Header=BB4_1481 Depth=2
	s_or_b64 exec, exec, s[24:25]
	v_add_f32_e32 v21, v21, v7
	v_and_b32_sdwa v7, v21, s76 dst_sel:DWORD dst_unused:UNUSED_PAD src0_sel:BYTE_3 src1_sel:DWORD
	v_and_b32_e32 v24, 0x7f800000, v21
	v_mov_b32_e32 v25, v39
	v_and_b32_e32 v38, 0x7fffff, v21
	v_or_b32_e32 v4, 0x7e, v7
	v_cmp_ne_u64_e32 vcc, s[42:43], v[24:25]
	s_and_saveexec_b64 s[24:25], vcc
	s_xor_b64 s[60:61], exec, s[24:25]
	s_cbranch_execz .LBB4_1799
; %bb.1790:                             ;   in Loop: Header=BB4_1481 Depth=2
	v_and_b32_e32 v24, 0x7fffffff, v21
	v_mov_b32_e32 v25, v39
	v_cmp_gt_u64_e32 vcc, s[44:45], v[24:25]
	s_and_saveexec_b64 s[62:63], vcc
	s_cbranch_execz .LBB4_1798
; %bb.1791:                             ;   in Loop: Header=BB4_1481 Depth=2
	v_cmp_ne_u32_e32 vcc, 0, v21
	v_mov_b32_e32 v4, 0
	s_and_saveexec_b64 s[64:65], vcc
	s_cbranch_execz .LBB4_1797
; %bb.1792:                             ;   in Loop: Header=BB4_1481 Depth=2
	v_bfe_u32 v4, v21, 23, 8
	v_sub_u32_e32 v20, 0x79, v4
	v_cmp_gt_u32_e32 vcc, s77, v4
	v_add_u32_e32 v18, 0xffffff81, v4
	v_cndmask_b32_e32 v20, 0, v20, vcc
	v_cmp_eq_u32_e32 vcc, 0, v4
	v_mov_b32_e32 v4, 0xffffff82
	v_cndmask_b32_e32 v4, v18, v4, vcc
	v_mov_b32_e32 v18, 0x78
	v_cndmask_b32_e32 v18, v20, v18, vcc
	v_or_b32_e32 v21, 0x800000, v38
	v_add_u32_e32 v20, 20, v18
	v_cndmask_b32_e32 v38, v21, v38, vcc
	v_lshlrev_b64 v[20:21], v20, -1
	v_not_b32_e32 v20, v20
	v_and_b32_e32 v24, v38, v20
	v_add_u32_e32 v20, 19, v18
	v_lshrrev_b64 v[50:51], v18, v[38:39]
	v_not_b32_e32 v21, v21
	v_lshlrev_b64 v[36:37], v20, 1
	v_lshrrev_b32_e32 v20, 23, v50
	v_and_b32_e32 v25, 0, v21
	v_add3_u32 v35, v18, v4, v20
	v_bfe_u32 v4, v50, 20, 1
	v_add_u32_e32 v4, -1, v4
	v_cmp_eq_u64_e32 vcc, v[24:25], v[36:37]
	v_cndmask_b32_e32 v4, 0, v4, vcc
	v_add_u32_e32 v4, v4, v50
	v_and_b32_e32 v4, 0xfffff, v4
	v_add_co_u32_e32 v24, vcc, v4, v50
	v_add_u32_e32 v21, 6, v35
	v_addc_co_u32_e32 v25, vcc, 0, v51, vcc
	v_cmp_ne_u32_e32 vcc, 0, v21
                                        ; implicit-def: $vgpr4
	s_and_saveexec_b64 s[24:25], vcc
	s_xor_b64 s[24:25], exec, s[24:25]
; %bb.1793:                             ;   in Loop: Header=BB4_1481 Depth=2
	v_cmp_lt_u64_e32 vcc, s[48:49], v[24:25]
	v_add_u32_e32 v4, 7, v35
	v_cndmask_b32_e64 v18, 0, 1, vcc
	v_cndmask_b32_e32 v4, v21, v4, vcc
	v_lshrrev_b64 v[24:25], v18, v[24:25]
; %bb.1794:                             ;   in Loop: Header=BB4_1481 Depth=2
	s_andn2_saveexec_b64 s[24:25], s[24:25]
; %bb.1795:                             ;   in Loop: Header=BB4_1481 Depth=2
	v_bfe_u32 v4, v24, 23, 1
; %bb.1796:                             ;   in Loop: Header=BB4_1481 Depth=2
	s_or_b64 exec, exec, s[24:25]
	v_lshrrev_b64 v[20:21], 20, v[24:25]
	v_cmp_gt_i32_e32 vcc, 16, v4
	v_cndmask_b32_e32 v21, 0, v21, vcc
	v_cndmask_b32_e32 v20, 7, v20, vcc
	v_cmp_eq_u32_e32 vcc, 0, v4
	v_min_i32_e32 v4, 15, v4
	v_cmp_eq_u64_e64 s[24:25], 0, v[20:21]
	v_lshlrev_b32_e32 v4, 3, v4
	v_and_or_b32 v4, v20, 7, v4
	s_and_b64 s[24:25], vcc, s[24:25]
	v_cndmask_b32_e64 v4, v4, 0, s[24:25]
	v_or_b32_e32 v4, v4, v7
.LBB4_1797:                             ;   in Loop: Header=BB4_1481 Depth=2
	s_or_b64 exec, exec, s[64:65]
.LBB4_1798:                             ;   in Loop: Header=BB4_1481 Depth=2
	s_or_b64 exec, exec, s[62:63]
                                        ; implicit-def: $vgpr21
.LBB4_1799:                             ;   in Loop: Header=BB4_1481 Depth=2
	s_andn2_saveexec_b64 s[24:25], s[60:61]
; %bb.1800:                             ;   in Loop: Header=BB4_1481 Depth=2
	v_or_b32_sdwa v7, v21, s75 dst_sel:DWORD dst_unused:UNUSED_PAD src0_sel:BYTE_3 src1_sel:DWORD
	v_cmp_eq_u64_e32 vcc, 0, v[38:39]
	v_cndmask_b32_e32 v4, v7, v4, vcc
; %bb.1801:                             ;   in Loop: Header=BB4_1481 Depth=2
	s_or_b64 exec, exec, s[24:25]
	v_lshrrev_b16_e32 v24, 8, v3
	v_cmp_ne_u16_e32 vcc, 0, v24
	v_mov_b32_e32 v7, 0
	v_mov_b32_e32 v21, 0
	s_and_saveexec_b64 s[24:25], vcc
	s_cbranch_execz .LBB4_1807
; %bb.1802:                             ;   in Loop: Header=BB4_1481 Depth=2
	v_cmp_ne_u16_e32 vcc, s76, v24
	v_bfrev_b32_e32 v21, 1
	s_and_saveexec_b64 s[60:61], vcc
	s_cbranch_execz .LBB4_1806
; %bb.1803:                             ;   in Loop: Header=BB4_1481 Depth=2
	v_and_b32_e32 v25, 0x7f, v24
	v_cmp_ne_u32_e32 vcc, s75, v25
	v_mov_b32_e32 v21, 0x7f800001
	s_and_saveexec_b64 s[62:63], vcc
	s_cbranch_execz .LBB4_1805
; %bb.1804:                             ;   in Loop: Header=BB4_1481 Depth=2
	v_and_b32_e32 v18, 7, v24
	v_ffbh_u32_e32 v20, v18
	v_min_u32_e32 v36, 32, v20
	v_subrev_u32_e32 v20, 28, v36
	v_lshlrev_b64 v[20:21], v20, v[24:25]
	v_lshrrev_b32_e32 v35, 3, v25
	v_sub_u32_e32 v21, 29, v36
	v_and_b32_e32 v20, 7, v20
	v_cmp_gt_u32_e32 vcc, 8, v25
	v_cndmask_b32_e32 v21, v35, v21, vcc
	v_cndmask_b32_e32 v18, v18, v20, vcc
	v_lshlrev_b32_e32 v3, 16, v3
	v_bfrev_b32_e32 v20, 60
	v_lshlrev_b32_e32 v18, 20, v18
	v_and_b32_e32 v3, 0x80000000, v3
	v_lshl_add_u32 v20, v21, 23, v20
	v_or3_b32 v21, v3, v20, v18
.LBB4_1805:                             ;   in Loop: Header=BB4_1481 Depth=2
	s_or_b64 exec, exec, s[62:63]
.LBB4_1806:                             ;   in Loop: Header=BB4_1481 Depth=2
	s_or_b64 exec, exec, s[60:61]
.LBB4_1807:                             ;   in Loop: Header=BB4_1481 Depth=2
	s_or_b64 exec, exec, s[24:25]
	v_lshrrev_b16_e32 v24, 8, v10
	v_cmp_ne_u16_e32 vcc, 0, v24
	s_and_saveexec_b64 s[24:25], vcc
	s_cbranch_execz .LBB4_1813
; %bb.1808:                             ;   in Loop: Header=BB4_1481 Depth=2
	v_cmp_ne_u16_e32 vcc, s76, v24
	v_bfrev_b32_e32 v7, 1
	s_and_saveexec_b64 s[60:61], vcc
	s_cbranch_execz .LBB4_1812
; %bb.1809:                             ;   in Loop: Header=BB4_1481 Depth=2
	v_and_b32_e32 v3, 0x7f, v24
	v_cmp_ne_u32_e32 vcc, s75, v3
	v_mov_b32_e32 v7, 0x7f800001
	s_and_saveexec_b64 s[62:63], vcc
	s_cbranch_execz .LBB4_1811
; %bb.1810:                             ;   in Loop: Header=BB4_1481 Depth=2
	v_and_b32_e32 v7, 7, v24
	v_ffbh_u32_e32 v20, v7
	v_min_u32_e32 v20, 32, v20
	v_subrev_u32_e32 v25, 28, v20
	v_lshlrev_b64 v[24:25], v25, v[24:25]
	v_lshrrev_b32_e32 v18, 3, v3
	v_sub_u32_e32 v20, 29, v20
	v_and_b32_e32 v24, 7, v24
	v_cmp_gt_u32_e32 vcc, 8, v3
	v_cndmask_b32_e32 v3, v18, v20, vcc
	v_cndmask_b32_e32 v7, v7, v24, vcc
	v_lshlrev_b32_e32 v18, 16, v10
	v_bfrev_b32_e32 v20, 60
	v_lshlrev_b32_e32 v7, 20, v7
	v_and_b32_e32 v18, 0x80000000, v18
	v_lshl_add_u32 v3, v3, 23, v20
	v_or3_b32 v7, v18, v3, v7
.LBB4_1811:                             ;   in Loop: Header=BB4_1481 Depth=2
	s_or_b64 exec, exec, s[62:63]
.LBB4_1812:                             ;   in Loop: Header=BB4_1481 Depth=2
	s_or_b64 exec, exec, s[60:61]
.LBB4_1813:                             ;   in Loop: Header=BB4_1481 Depth=2
	s_or_b64 exec, exec, s[24:25]
	v_add_f32_e32 v21, v21, v7
	v_and_b32_sdwa v3, v21, s76 dst_sel:DWORD dst_unused:UNUSED_PAD src0_sel:BYTE_3 src1_sel:DWORD
	v_and_b32_e32 v24, 0x7f800000, v21
	v_mov_b32_e32 v25, v39
	v_and_b32_e32 v38, 0x7fffff, v21
	v_or_b32_e32 v7, 0x7e, v3
	v_cmp_ne_u64_e32 vcc, s[42:43], v[24:25]
	s_and_saveexec_b64 s[24:25], vcc
	s_xor_b64 s[60:61], exec, s[24:25]
	s_cbranch_execz .LBB4_1823
; %bb.1814:                             ;   in Loop: Header=BB4_1481 Depth=2
	v_and_b32_e32 v24, 0x7fffffff, v21
	v_mov_b32_e32 v25, v39
	v_cmp_gt_u64_e32 vcc, s[44:45], v[24:25]
	s_and_saveexec_b64 s[62:63], vcc
	s_cbranch_execz .LBB4_1822
; %bb.1815:                             ;   in Loop: Header=BB4_1481 Depth=2
	v_cmp_ne_u32_e32 vcc, 0, v21
	v_mov_b32_e32 v7, 0
	s_and_saveexec_b64 s[64:65], vcc
	s_cbranch_execz .LBB4_1821
; %bb.1816:                             ;   in Loop: Header=BB4_1481 Depth=2
	v_bfe_u32 v7, v21, 23, 8
	v_sub_u32_e32 v20, 0x79, v7
	v_cmp_gt_u32_e32 vcc, s77, v7
	v_add_u32_e32 v18, 0xffffff81, v7
	v_cndmask_b32_e32 v20, 0, v20, vcc
	v_cmp_eq_u32_e32 vcc, 0, v7
	v_mov_b32_e32 v7, 0xffffff82
	v_cndmask_b32_e32 v7, v18, v7, vcc
	v_mov_b32_e32 v18, 0x78
	v_cndmask_b32_e32 v18, v20, v18, vcc
	v_or_b32_e32 v21, 0x800000, v38
	v_add_u32_e32 v20, 20, v18
	v_cndmask_b32_e32 v38, v21, v38, vcc
	v_lshlrev_b64 v[20:21], v20, -1
	v_not_b32_e32 v20, v20
	v_and_b32_e32 v24, v38, v20
	v_add_u32_e32 v20, 19, v18
	v_lshrrev_b64 v[50:51], v18, v[38:39]
	v_not_b32_e32 v21, v21
	v_lshlrev_b64 v[36:37], v20, 1
	v_lshrrev_b32_e32 v20, 23, v50
	v_and_b32_e32 v25, 0, v21
	v_add3_u32 v35, v18, v7, v20
	v_bfe_u32 v7, v50, 20, 1
	v_add_u32_e32 v7, -1, v7
	v_cmp_eq_u64_e32 vcc, v[24:25], v[36:37]
	v_cndmask_b32_e32 v7, 0, v7, vcc
	v_add_u32_e32 v7, v7, v50
	v_and_b32_e32 v7, 0xfffff, v7
	v_add_co_u32_e32 v24, vcc, v7, v50
	v_add_u32_e32 v21, 6, v35
	v_addc_co_u32_e32 v25, vcc, 0, v51, vcc
	v_cmp_ne_u32_e32 vcc, 0, v21
                                        ; implicit-def: $vgpr7
	s_and_saveexec_b64 s[24:25], vcc
	s_xor_b64 s[24:25], exec, s[24:25]
; %bb.1817:                             ;   in Loop: Header=BB4_1481 Depth=2
	v_cmp_lt_u64_e32 vcc, s[48:49], v[24:25]
	v_add_u32_e32 v7, 7, v35
	v_cndmask_b32_e64 v18, 0, 1, vcc
	v_cndmask_b32_e32 v7, v21, v7, vcc
	v_lshrrev_b64 v[24:25], v18, v[24:25]
; %bb.1818:                             ;   in Loop: Header=BB4_1481 Depth=2
	s_andn2_saveexec_b64 s[24:25], s[24:25]
; %bb.1819:                             ;   in Loop: Header=BB4_1481 Depth=2
	v_bfe_u32 v7, v24, 23, 1
; %bb.1820:                             ;   in Loop: Header=BB4_1481 Depth=2
	s_or_b64 exec, exec, s[24:25]
	v_lshrrev_b64 v[20:21], 20, v[24:25]
	v_cmp_gt_i32_e32 vcc, 16, v7
	v_cndmask_b32_e32 v21, 0, v21, vcc
	v_cndmask_b32_e32 v20, 7, v20, vcc
	v_cmp_eq_u32_e32 vcc, 0, v7
	v_min_i32_e32 v7, 15, v7
	v_cmp_eq_u64_e64 s[24:25], 0, v[20:21]
	v_lshlrev_b32_e32 v7, 3, v7
	v_and_or_b32 v7, v20, 7, v7
	s_and_b64 s[24:25], vcc, s[24:25]
	v_cndmask_b32_e64 v7, v7, 0, s[24:25]
	v_or_b32_e32 v7, v7, v3
.LBB4_1821:                             ;   in Loop: Header=BB4_1481 Depth=2
	s_or_b64 exec, exec, s[64:65]
.LBB4_1822:                             ;   in Loop: Header=BB4_1481 Depth=2
	s_or_b64 exec, exec, s[62:63]
                                        ; implicit-def: $vgpr21
.LBB4_1823:                             ;   in Loop: Header=BB4_1481 Depth=2
	s_andn2_saveexec_b64 s[24:25], s[60:61]
; %bb.1824:                             ;   in Loop: Header=BB4_1481 Depth=2
	v_or_b32_sdwa v3, v21, s75 dst_sel:DWORD dst_unused:UNUSED_PAD src0_sel:BYTE_3 src1_sel:DWORD
	v_cmp_eq_u64_e32 vcc, 0, v[38:39]
	v_cndmask_b32_e32 v7, v3, v7, vcc
; %bb.1825:                             ;   in Loop: Header=BB4_1481 Depth=2
	s_or_b64 exec, exec, s[24:25]
	v_cmp_ne_u16_sdwa vcc, v48, v39 src0_sel:BYTE_0 src1_sel:DWORD
	v_mov_b32_e32 v3, 0
	v_mov_b32_e32 v21, 0
	s_and_saveexec_b64 s[24:25], vcc
	s_cbranch_execz .LBB4_1831
; %bb.1826:                             ;   in Loop: Header=BB4_1481 Depth=2
	v_cmp_ne_u16_sdwa vcc, v48, s76 src0_sel:BYTE_0 src1_sel:DWORD
	v_bfrev_b32_e32 v21, 1
	s_and_saveexec_b64 s[60:61], vcc
	s_cbranch_execz .LBB4_1830
; %bb.1827:                             ;   in Loop: Header=BB4_1481 Depth=2
	v_and_b32_e32 v24, 0x7f, v48
	v_cmp_ne_u32_e32 vcc, s75, v24
	v_mov_b32_e32 v21, 0x7f800001
	s_and_saveexec_b64 s[62:63], vcc
	s_cbranch_execz .LBB4_1829
; %bb.1828:                             ;   in Loop: Header=BB4_1481 Depth=2
	v_and_b32_e32 v18, 7, v48
	v_ffbh_u32_e32 v20, v18
	v_min_u32_e32 v35, 32, v20
	v_subrev_u32_e32 v20, 28, v35
	v_lshlrev_b64 v[20:21], v20, v[48:49]
	v_lshrrev_b32_e32 v25, 3, v24
	v_sub_u32_e32 v21, 29, v35
	v_and_b32_e32 v20, 7, v20
	v_cmp_gt_u32_e32 vcc, 8, v24
	v_cndmask_b32_e32 v21, v25, v21, vcc
	v_cndmask_b32_e32 v18, v18, v20, vcc
	v_lshlrev_b32_e32 v20, 24, v48
	v_bfrev_b32_e32 v24, 60
	v_lshlrev_b32_e32 v18, 20, v18
	v_and_b32_e32 v20, 0x80000000, v20
	v_lshl_add_u32 v21, v21, 23, v24
	v_or3_b32 v21, v20, v21, v18
.LBB4_1829:                             ;   in Loop: Header=BB4_1481 Depth=2
	s_or_b64 exec, exec, s[62:63]
.LBB4_1830:                             ;   in Loop: Header=BB4_1481 Depth=2
	s_or_b64 exec, exec, s[60:61]
.LBB4_1831:                             ;   in Loop: Header=BB4_1481 Depth=2
	s_or_b64 exec, exec, s[24:25]
	v_lshrrev_b32_e32 v24, 16, v10
	v_cmp_ne_u16_sdwa vcc, v24, v39 src0_sel:BYTE_0 src1_sel:DWORD
	s_and_saveexec_b64 s[24:25], vcc
	s_cbranch_execz .LBB4_1837
; %bb.1832:                             ;   in Loop: Header=BB4_1481 Depth=2
	v_cmp_ne_u16_sdwa vcc, v24, s76 src0_sel:BYTE_0 src1_sel:DWORD
	v_bfrev_b32_e32 v3, 1
	s_and_saveexec_b64 s[60:61], vcc
	s_cbranch_execz .LBB4_1836
; %bb.1833:                             ;   in Loop: Header=BB4_1481 Depth=2
	v_bfe_u32 v25, v10, 16, 7
	v_cmp_ne_u32_e32 vcc, s75, v25
	v_mov_b32_e32 v3, 0x7f800001
	s_and_saveexec_b64 s[62:63], vcc
	s_cbranch_execz .LBB4_1835
; %bb.1834:                             ;   in Loop: Header=BB4_1481 Depth=2
	v_and_b32_e32 v3, 7, v24
	v_ffbh_u32_e32 v20, v3
	v_min_u32_e32 v20, 32, v20
	v_subrev_u32_e32 v35, 28, v20
	v_lshlrev_b64 v[36:37], v35, v[24:25]
	v_lshrrev_b32_e32 v18, 3, v25
	v_sub_u32_e32 v20, 29, v20
	v_and_b32_e32 v24, 7, v36
	v_cmp_gt_u32_e32 vcc, 8, v25
	v_cndmask_b32_e32 v18, v18, v20, vcc
	v_cndmask_b32_e32 v3, v3, v24, vcc
	v_lshlrev_b32_e32 v20, 8, v10
	v_bfrev_b32_e32 v24, 60
	v_lshlrev_b32_e32 v3, 20, v3
	v_and_b32_e32 v20, 0x80000000, v20
	v_lshl_add_u32 v18, v18, 23, v24
	v_or3_b32 v3, v20, v18, v3
.LBB4_1835:                             ;   in Loop: Header=BB4_1481 Depth=2
	s_or_b64 exec, exec, s[62:63]
.LBB4_1836:                             ;   in Loop: Header=BB4_1481 Depth=2
	s_or_b64 exec, exec, s[60:61]
.LBB4_1837:                             ;   in Loop: Header=BB4_1481 Depth=2
	s_or_b64 exec, exec, s[24:25]
	v_add_f32_e32 v24, v21, v3
	v_and_b32_sdwa v3, v24, s76 dst_sel:DWORD dst_unused:UNUSED_PAD src0_sel:BYTE_3 src1_sel:DWORD
	v_and_b32_e32 v36, 0x7f800000, v24
	v_mov_b32_e32 v37, v39
	v_and_b32_e32 v38, 0x7fffff, v24
	v_or_b32_e32 v21, 0x7e, v3
	v_cmp_ne_u64_e32 vcc, s[42:43], v[36:37]
	s_and_saveexec_b64 s[24:25], vcc
	s_xor_b64 s[60:61], exec, s[24:25]
	s_cbranch_execz .LBB4_1847
; %bb.1838:                             ;   in Loop: Header=BB4_1481 Depth=2
	v_and_b32_e32 v36, 0x7fffffff, v24
	v_mov_b32_e32 v37, v39
	v_cmp_gt_u64_e32 vcc, s[44:45], v[36:37]
	s_and_saveexec_b64 s[62:63], vcc
	s_cbranch_execz .LBB4_1846
; %bb.1839:                             ;   in Loop: Header=BB4_1481 Depth=2
	v_cmp_ne_u32_e32 vcc, 0, v24
	v_mov_b32_e32 v21, 0
	s_and_saveexec_b64 s[64:65], vcc
	s_cbranch_execz .LBB4_1845
; %bb.1840:                             ;   in Loop: Header=BB4_1481 Depth=2
	v_bfe_u32 v18, v24, 23, 8
	v_sub_u32_e32 v21, 0x79, v18
	v_cmp_gt_u32_e32 vcc, s77, v18
	v_add_u32_e32 v20, 0xffffff81, v18
	v_cndmask_b32_e32 v21, 0, v21, vcc
	v_cmp_eq_u32_e32 vcc, 0, v18
	v_mov_b32_e32 v18, 0xffffff82
	v_cndmask_b32_e32 v18, v20, v18, vcc
	v_mov_b32_e32 v20, 0x78
	v_or_b32_e32 v24, 0x800000, v38
	v_cndmask_b32_e32 v35, v21, v20, vcc
	v_cndmask_b32_e32 v38, v24, v38, vcc
	v_add_u32_e32 v20, 20, v35
	v_lshlrev_b64 v[20:21], v20, -1
	v_lshrrev_b64 v[48:49], v35, v[38:39]
	v_not_b32_e32 v21, v21
	v_not_b32_e32 v20, v20
	v_add_u32_e32 v24, 19, v35
	v_lshrrev_b32_e32 v36, 23, v48
	v_and_b32_e32 v21, 0, v21
	v_and_b32_e32 v20, v38, v20
	v_lshlrev_b64 v[24:25], v24, 1
	v_add3_u32 v36, v35, v18, v36
	v_bfe_u32 v18, v48, 20, 1
	v_add_u32_e32 v18, -1, v18
	v_cmp_eq_u64_e32 vcc, v[20:21], v[24:25]
	v_cndmask_b32_e32 v18, 0, v18, vcc
	v_add_u32_e32 v18, v18, v48
	v_and_b32_e32 v18, 0xfffff, v18
	v_add_co_u32_e32 v24, vcc, v18, v48
	v_add_u32_e32 v35, 6, v36
	v_addc_co_u32_e32 v25, vcc, 0, v49, vcc
	v_cmp_ne_u32_e32 vcc, 0, v35
                                        ; implicit-def: $vgpr21
	s_and_saveexec_b64 s[24:25], vcc
	s_xor_b64 s[24:25], exec, s[24:25]
; %bb.1841:                             ;   in Loop: Header=BB4_1481 Depth=2
	v_add_u32_e32 v18, 7, v36
	v_cmp_lt_u64_e32 vcc, s[48:49], v[24:25]
	v_cndmask_b32_e32 v21, v35, v18, vcc
	v_cndmask_b32_e64 v18, 0, 1, vcc
	v_lshrrev_b64 v[24:25], v18, v[24:25]
; %bb.1842:                             ;   in Loop: Header=BB4_1481 Depth=2
	s_andn2_saveexec_b64 s[24:25], s[24:25]
; %bb.1843:                             ;   in Loop: Header=BB4_1481 Depth=2
	v_bfe_u32 v21, v24, 23, 1
; %bb.1844:                             ;   in Loop: Header=BB4_1481 Depth=2
	s_or_b64 exec, exec, s[24:25]
	v_lshrrev_b64 v[24:25], 20, v[24:25]
	v_cmp_gt_i32_e32 vcc, 16, v21
	v_cndmask_b32_e32 v25, 0, v25, vcc
	v_cndmask_b32_e32 v24, 7, v24, vcc
	v_min_i32_e32 v18, 15, v21
	v_cmp_eq_u32_e32 vcc, 0, v21
	v_cmp_eq_u64_e64 s[24:25], 0, v[24:25]
	v_lshlrev_b32_e32 v18, 3, v18
	v_and_or_b32 v18, v24, 7, v18
	s_and_b64 s[24:25], vcc, s[24:25]
	v_cndmask_b32_e64 v18, v18, 0, s[24:25]
	v_or_b32_e32 v21, v18, v3
.LBB4_1845:                             ;   in Loop: Header=BB4_1481 Depth=2
	s_or_b64 exec, exec, s[64:65]
.LBB4_1846:                             ;   in Loop: Header=BB4_1481 Depth=2
	s_or_b64 exec, exec, s[62:63]
                                        ; implicit-def: $vgpr24
.LBB4_1847:                             ;   in Loop: Header=BB4_1481 Depth=2
	s_andn2_saveexec_b64 s[24:25], s[60:61]
; %bb.1848:                             ;   in Loop: Header=BB4_1481 Depth=2
	v_or_b32_sdwa v3, v24, s75 dst_sel:DWORD dst_unused:UNUSED_PAD src0_sel:BYTE_3 src1_sel:DWORD
	v_cmp_eq_u64_e32 vcc, 0, v[38:39]
	v_cndmask_b32_e32 v21, v3, v21, vcc
; %bb.1849:                             ;   in Loop: Header=BB4_1481 Depth=2
	s_or_b64 exec, exec, s[24:25]
	v_lshlrev_b32_e32 v3, 8, v30
	v_and_b32_e32 v24, 0xff00, v3
	v_cmp_ne_u32_e32 vcc, 0, v24
	v_mov_b32_e32 v3, 0
	v_mov_b32_e32 v25, 0
	s_and_saveexec_b64 s[24:25], vcc
	s_cbranch_execz .LBB4_1855
; %bb.1850:                             ;   in Loop: Header=BB4_1481 Depth=2
	v_cmp_ne_u32_e32 vcc, s79, v24
	v_bfrev_b32_e32 v25, 1
	s_and_saveexec_b64 s[60:61], vcc
	s_cbranch_execz .LBB4_1854
; %bb.1851:                             ;   in Loop: Header=BB4_1481 Depth=2
	v_bfe_u32 v30, v24, 8, 7
	v_cmp_ne_u32_e32 vcc, s75, v30
	v_mov_b32_e32 v25, 0x7f800001
	s_and_saveexec_b64 s[62:63], vcc
	s_cbranch_execz .LBB4_1853
; %bb.1852:                             ;   in Loop: Header=BB4_1481 Depth=2
	v_lshrrev_b32_e32 v18, 8, v24
	v_and_b32_e32 v20, 7, v18
	v_ffbh_u32_e32 v35, v20
	v_min_u32_e32 v35, 32, v35
	v_subrev_u32_e32 v36, 28, v35
	v_lshlrev_b64 v[36:37], v36, v[18:19]
	v_lshrrev_b32_e32 v25, 3, v30
	v_sub_u32_e32 v18, 29, v35
	v_and_b32_e32 v35, 7, v36
	v_cmp_gt_u32_e32 vcc, 8, v30
	v_cndmask_b32_e32 v18, v25, v18, vcc
	v_cndmask_b32_e32 v20, v20, v35, vcc
	v_lshlrev_b32_e32 v24, 16, v24
	v_bfrev_b32_e32 v25, 60
	v_lshlrev_b32_e32 v20, 20, v20
	v_and_b32_e32 v24, 0x80000000, v24
	v_lshl_add_u32 v18, v18, 23, v25
	v_or3_b32 v25, v24, v18, v20
.LBB4_1853:                             ;   in Loop: Header=BB4_1481 Depth=2
	s_or_b64 exec, exec, s[62:63]
.LBB4_1854:                             ;   in Loop: Header=BB4_1481 Depth=2
	s_or_b64 exec, exec, s[60:61]
.LBB4_1855:                             ;   in Loop: Header=BB4_1481 Depth=2
	s_or_b64 exec, exec, s[24:25]
	v_cmp_lt_u32_e32 vcc, s47, v10
	s_and_saveexec_b64 s[24:25], vcc
	s_cbranch_execz .LBB4_1861
; %bb.1856:                             ;   in Loop: Header=BB4_1481 Depth=2
	v_lshrrev_b32_e32 v24, 24, v10
	v_cmp_ne_u32_e32 vcc, s76, v24
	v_bfrev_b32_e32 v3, 1
	s_and_saveexec_b64 s[60:61], vcc
	s_cbranch_execz .LBB4_1860
; %bb.1857:                             ;   in Loop: Header=BB4_1481 Depth=2
	v_bfe_u32 v30, v10, 24, 7
	v_cmp_ne_u32_e32 vcc, s75, v30
	v_mov_b32_e32 v3, 0x7f800001
	s_and_saveexec_b64 s[62:63], vcc
	s_cbranch_execz .LBB4_1859
; %bb.1858:                             ;   in Loop: Header=BB4_1481 Depth=2
	v_and_b32_e32 v3, 7, v24
	v_ffbh_u32_e32 v20, v3
	v_min_u32_e32 v20, 32, v20
	v_subrev_u32_e32 v35, 28, v20
	v_lshlrev_b64 v[36:37], v35, v[24:25]
	v_lshrrev_b32_e32 v18, 3, v30
	v_sub_u32_e32 v20, 29, v20
	v_and_b32_e32 v35, 7, v36
	v_cmp_gt_u32_e32 vcc, 8, v30
	v_cndmask_b32_e32 v18, v18, v20, vcc
	v_cndmask_b32_e32 v3, v3, v35, vcc
	v_lshlrev_b32_e32 v20, 24, v24
	v_bfrev_b32_e32 v24, 60
	v_lshlrev_b32_e32 v3, 20, v3
	v_and_b32_e32 v20, 0x80000000, v20
	v_lshl_add_u32 v18, v18, 23, v24
	v_or3_b32 v3, v20, v18, v3
.LBB4_1859:                             ;   in Loop: Header=BB4_1481 Depth=2
	s_or_b64 exec, exec, s[62:63]
.LBB4_1860:                             ;   in Loop: Header=BB4_1481 Depth=2
	s_or_b64 exec, exec, s[60:61]
.LBB4_1861:                             ;   in Loop: Header=BB4_1481 Depth=2
	s_or_b64 exec, exec, s[24:25]
	v_add_f32_e32 v24, v25, v3
	v_and_b32_sdwa v3, v24, s76 dst_sel:DWORD dst_unused:UNUSED_PAD src0_sel:BYTE_3 src1_sel:DWORD
	v_and_b32_e32 v36, 0x7f800000, v24
	v_mov_b32_e32 v37, v39
	v_and_b32_e32 v38, 0x7fffff, v24
	v_or_b32_e32 v30, 0x7e, v3
	v_cmp_ne_u64_e32 vcc, s[42:43], v[36:37]
	s_and_saveexec_b64 s[24:25], vcc
	s_xor_b64 s[60:61], exec, s[24:25]
	s_cbranch_execz .LBB4_1871
; %bb.1862:                             ;   in Loop: Header=BB4_1481 Depth=2
	v_and_b32_e32 v36, 0x7fffffff, v24
	v_mov_b32_e32 v37, v39
	v_cmp_gt_u64_e32 vcc, s[44:45], v[36:37]
	s_and_saveexec_b64 s[62:63], vcc
	s_cbranch_execz .LBB4_1870
; %bb.1863:                             ;   in Loop: Header=BB4_1481 Depth=2
	v_cmp_ne_u32_e32 vcc, 0, v24
	v_mov_b32_e32 v30, 0
	s_and_saveexec_b64 s[64:65], vcc
	s_cbranch_execz .LBB4_1869
; %bb.1864:                             ;   in Loop: Header=BB4_1481 Depth=2
	v_bfe_u32 v18, v24, 23, 8
	v_sub_u32_e32 v24, 0x79, v18
	v_cmp_gt_u32_e32 vcc, s77, v18
	v_add_u32_e32 v20, 0xffffff81, v18
	v_cndmask_b32_e32 v24, 0, v24, vcc
	v_cmp_eq_u32_e32 vcc, 0, v18
	v_mov_b32_e32 v18, 0xffffff82
	v_cndmask_b32_e32 v18, v20, v18, vcc
	v_mov_b32_e32 v20, 0x78
	v_or_b32_e32 v25, 0x800000, v38
	v_cndmask_b32_e32 v20, v24, v20, vcc
	v_cndmask_b32_e32 v38, v25, v38, vcc
	v_add_u32_e32 v24, 20, v20
	v_lshlrev_b64 v[24:25], v24, -1
	v_add_u32_e32 v30, 19, v20
	v_lshrrev_b64 v[50:51], v20, v[38:39]
	v_not_b32_e32 v25, v25
	v_not_b32_e32 v24, v24
	v_lshlrev_b64 v[48:49], v30, 1
	v_lshrrev_b32_e32 v30, 23, v50
	v_and_b32_e32 v25, 0, v25
	v_and_b32_e32 v24, v38, v24
	v_add3_u32 v36, v20, v18, v30
	v_bfe_u32 v18, v50, 20, 1
	v_add_u32_e32 v18, -1, v18
	v_cmp_eq_u64_e32 vcc, v[24:25], v[48:49]
	v_cndmask_b32_e32 v18, 0, v18, vcc
	v_add_u32_e32 v18, v18, v50
	v_and_b32_e32 v18, 0xfffff, v18
	v_add_co_u32_e32 v24, vcc, v18, v50
	v_add_u32_e32 v35, 6, v36
	v_addc_co_u32_e32 v25, vcc, 0, v51, vcc
	v_cmp_ne_u32_e32 vcc, 0, v35
                                        ; implicit-def: $vgpr30
	s_and_saveexec_b64 s[24:25], vcc
	s_xor_b64 s[24:25], exec, s[24:25]
; %bb.1865:                             ;   in Loop: Header=BB4_1481 Depth=2
	v_add_u32_e32 v18, 7, v36
	v_cmp_lt_u64_e32 vcc, s[48:49], v[24:25]
	v_cndmask_b32_e32 v30, v35, v18, vcc
	v_cndmask_b32_e64 v18, 0, 1, vcc
	v_lshrrev_b64 v[24:25], v18, v[24:25]
; %bb.1866:                             ;   in Loop: Header=BB4_1481 Depth=2
	s_andn2_saveexec_b64 s[24:25], s[24:25]
; %bb.1867:                             ;   in Loop: Header=BB4_1481 Depth=2
	v_bfe_u32 v30, v24, 23, 1
; %bb.1868:                             ;   in Loop: Header=BB4_1481 Depth=2
	s_or_b64 exec, exec, s[24:25]
	v_lshrrev_b64 v[24:25], 20, v[24:25]
	v_cmp_gt_i32_e32 vcc, 16, v30
	v_cndmask_b32_e32 v25, 0, v25, vcc
	v_cndmask_b32_e32 v24, 7, v24, vcc
	v_min_i32_e32 v18, 15, v30
	v_cmp_eq_u32_e32 vcc, 0, v30
	v_cmp_eq_u64_e64 s[24:25], 0, v[24:25]
	v_lshlrev_b32_e32 v18, 3, v18
	v_and_or_b32 v18, v24, 7, v18
	s_and_b64 s[24:25], vcc, s[24:25]
	v_cndmask_b32_e64 v18, v18, 0, s[24:25]
	v_or_b32_e32 v30, v18, v3
.LBB4_1869:                             ;   in Loop: Header=BB4_1481 Depth=2
	s_or_b64 exec, exec, s[64:65]
.LBB4_1870:                             ;   in Loop: Header=BB4_1481 Depth=2
	s_or_b64 exec, exec, s[62:63]
                                        ; implicit-def: $vgpr24
.LBB4_1871:                             ;   in Loop: Header=BB4_1481 Depth=2
	s_andn2_saveexec_b64 s[24:25], s[60:61]
; %bb.1872:                             ;   in Loop: Header=BB4_1481 Depth=2
	v_or_b32_sdwa v3, v24, s75 dst_sel:DWORD dst_unused:UNUSED_PAD src0_sel:BYTE_3 src1_sel:DWORD
	v_cmp_eq_u64_e32 vcc, 0, v[38:39]
	v_cndmask_b32_e32 v30, v3, v30, vcc
; %bb.1873:                             ;   in Loop: Header=BB4_1481 Depth=2
	s_or_b64 exec, exec, s[24:25]
	v_lshlrev_b32_e32 v3, 8, v32
	v_lshlrev_b32_e32 v18, 24, v34
	v_perm_b32 v20, v33, v22, s80
	v_or3_b32 v38, v20, v18, v3
	v_cmp_ne_u16_sdwa vcc, v22, v39 src0_sel:BYTE_0 src1_sel:DWORD
	v_mov_b32_e32 v25, 0
	v_mov_b32_e32 v24, 0
	s_and_saveexec_b64 s[24:25], vcc
	s_cbranch_execz .LBB4_1879
; %bb.1874:                             ;   in Loop: Header=BB4_1481 Depth=2
	v_cmp_ne_u16_sdwa vcc, v22, s76 src0_sel:BYTE_0 src1_sel:DWORD
	v_bfrev_b32_e32 v24, 1
	s_and_saveexec_b64 s[60:61], vcc
	s_cbranch_execz .LBB4_1878
; %bb.1875:                             ;   in Loop: Header=BB4_1481 Depth=2
	v_and_b32_e32 v32, 0x7f, v22
	v_cmp_ne_u32_e32 vcc, s75, v32
	v_mov_b32_e32 v24, 0x7f800001
	s_and_saveexec_b64 s[62:63], vcc
	s_cbranch_execz .LBB4_1877
; %bb.1876:                             ;   in Loop: Header=BB4_1481 Depth=2
	v_and_b32_e32 v18, 7, v22
	v_ffbh_u32_e32 v18, v18
	v_min_u32_e32 v18, 32, v18
	v_lshrrev_b32_e32 v20, 3, v32
	v_subrev_u32_e32 v22, 28, v18
	v_sub_u32_e32 v18, 29, v18
	v_cmp_gt_u32_e32 vcc, 8, v32
	v_cndmask_b32_e32 v18, v20, v18, vcc
	v_cndmask_b32_e32 v20, 0, v22, vcc
	v_lshlrev_b64 v[32:33], v20, v[38:39]
	v_lshlrev_b32_e32 v20, 20, v32
	v_lshlrev_b32_e32 v22, 24, v38
	v_bfrev_b32_e32 v24, 60
	v_and_b32_e32 v20, 0x700000, v20
	v_and_b32_e32 v22, 0x80000000, v22
	v_lshl_add_u32 v18, v18, 23, v24
	v_or3_b32 v24, v22, v18, v20
.LBB4_1877:                             ;   in Loop: Header=BB4_1481 Depth=2
	s_or_b64 exec, exec, s[62:63]
.LBB4_1878:                             ;   in Loop: Header=BB4_1481 Depth=2
	s_or_b64 exec, exec, s[60:61]
.LBB4_1879:                             ;   in Loop: Header=BB4_1481 Depth=2
	s_or_b64 exec, exec, s[24:25]
	v_cmp_ne_u16_sdwa vcc, v11, v39 src0_sel:BYTE_0 src1_sel:DWORD
	s_and_saveexec_b64 s[24:25], vcc
	s_cbranch_execz .LBB4_1885
; %bb.1880:                             ;   in Loop: Header=BB4_1481 Depth=2
	v_cmp_ne_u16_sdwa vcc, v11, s76 src0_sel:BYTE_0 src1_sel:DWORD
	v_bfrev_b32_e32 v25, 1
	s_and_saveexec_b64 s[60:61], vcc
	s_cbranch_execz .LBB4_1884
; %bb.1881:                             ;   in Loop: Header=BB4_1481 Depth=2
	v_and_b32_e32 v22, 0x7f, v11
	v_cmp_ne_u32_e32 vcc, s75, v22
	v_mov_b32_e32 v25, 0x7f800001
	s_and_saveexec_b64 s[62:63], vcc
	s_cbranch_execz .LBB4_1883
; %bb.1882:                             ;   in Loop: Header=BB4_1481 Depth=2
	v_and_b32_e32 v18, 7, v11
	v_ffbh_u32_e32 v18, v18
	v_min_u32_e32 v18, 32, v18
	v_lshrrev_b32_e32 v20, 3, v22
	v_subrev_u32_e32 v25, 28, v18
	v_sub_u32_e32 v18, 29, v18
	v_cmp_gt_u32_e32 vcc, 8, v22
	v_mov_b32_e32 v32, v11
	v_mov_b32_e32 v33, v39
	v_cndmask_b32_e32 v18, v20, v18, vcc
	v_cndmask_b32_e32 v20, 0, v25, vcc
	v_lshlrev_b64 v[34:35], v20, v[32:33]
	v_lshlrev_b32_e32 v20, 20, v34
	v_lshlrev_b32_e32 v22, 24, v32
	v_bfrev_b32_e32 v25, 60
	v_and_b32_e32 v20, 0x700000, v20
	v_and_b32_e32 v22, 0x80000000, v22
	v_lshl_add_u32 v18, v18, 23, v25
	v_or3_b32 v25, v22, v18, v20
.LBB4_1883:                             ;   in Loop: Header=BB4_1481 Depth=2
	s_or_b64 exec, exec, s[62:63]
.LBB4_1884:                             ;   in Loop: Header=BB4_1481 Depth=2
	s_or_b64 exec, exec, s[60:61]
.LBB4_1885:                             ;   in Loop: Header=BB4_1481 Depth=2
	s_or_b64 exec, exec, s[24:25]
	v_add_f32_e32 v24, v24, v25
	v_and_b32_sdwa v32, v24, s76 dst_sel:DWORD dst_unused:UNUSED_PAD src0_sel:BYTE_3 src1_sel:DWORD
	v_and_b32_e32 v34, 0x7f800000, v24
	v_mov_b32_e32 v35, v39
	v_and_b32_e32 v46, 0x7fffff, v24
	v_mov_b32_e32 v47, v39
	v_or_b32_e32 v22, 0x7e, v32
	v_cmp_ne_u64_e32 vcc, s[42:43], v[34:35]
	s_and_saveexec_b64 s[24:25], vcc
	s_xor_b64 s[60:61], exec, s[24:25]
	s_cbranch_execz .LBB4_1895
; %bb.1886:                             ;   in Loop: Header=BB4_1481 Depth=2
	v_and_b32_e32 v34, 0x7fffffff, v24
	v_mov_b32_e32 v35, v39
	v_cmp_gt_u64_e32 vcc, s[44:45], v[34:35]
	s_and_saveexec_b64 s[62:63], vcc
	s_cbranch_execz .LBB4_1894
; %bb.1887:                             ;   in Loop: Header=BB4_1481 Depth=2
	v_cmp_ne_u32_e32 vcc, 0, v24
	v_mov_b32_e32 v22, 0
	s_and_saveexec_b64 s[64:65], vcc
	s_cbranch_execz .LBB4_1893
; %bb.1888:                             ;   in Loop: Header=BB4_1481 Depth=2
	v_bfe_u32 v18, v24, 23, 8
	v_sub_u32_e32 v22, 0x79, v18
	v_cmp_gt_u32_e32 vcc, s77, v18
	v_add_u32_e32 v20, 0xffffff81, v18
	v_cndmask_b32_e32 v22, 0, v22, vcc
	v_cmp_eq_u32_e32 vcc, 0, v18
	v_mov_b32_e32 v18, 0xffffff82
	v_cndmask_b32_e32 v18, v20, v18, vcc
	v_mov_b32_e32 v20, 0x78
	v_cndmask_b32_e32 v20, v22, v20, vcc
	v_or_b32_e32 v24, 0x800000, v46
	v_add_u32_e32 v22, 20, v20
	v_cndmask_b32_e32 v46, v24, v46, vcc
	v_lshlrev_b64 v[24:25], v22, -1
	v_not_b32_e32 v22, v25
	v_and_b32_e32 v25, 0, v22
	v_add_u32_e32 v22, 19, v20
	v_lshrrev_b64 v[48:49], v20, v[46:47]
	v_not_b32_e32 v24, v24
	v_lshlrev_b64 v[36:37], v22, 1
	v_lshrrev_b32_e32 v22, 23, v48
	v_and_b32_e32 v24, v46, v24
	v_add3_u32 v34, v20, v18, v22
	v_bfe_u32 v18, v48, 20, 1
	v_add_u32_e32 v18, -1, v18
	v_cmp_eq_u64_e32 vcc, v[24:25], v[36:37]
	v_cndmask_b32_e32 v18, 0, v18, vcc
	v_add_u32_e32 v18, v18, v48
	v_and_b32_e32 v18, 0xfffff, v18
	v_add_co_u32_e32 v24, vcc, v18, v48
	v_add_u32_e32 v33, 6, v34
	v_addc_co_u32_e32 v25, vcc, 0, v49, vcc
	v_cmp_ne_u32_e32 vcc, 0, v33
                                        ; implicit-def: $vgpr22
	s_and_saveexec_b64 s[24:25], vcc
	s_xor_b64 s[24:25], exec, s[24:25]
; %bb.1889:                             ;   in Loop: Header=BB4_1481 Depth=2
	v_add_u32_e32 v18, 7, v34
	v_cmp_lt_u64_e32 vcc, s[48:49], v[24:25]
	v_cndmask_b32_e32 v22, v33, v18, vcc
	v_cndmask_b32_e64 v18, 0, 1, vcc
	v_lshrrev_b64 v[24:25], v18, v[24:25]
; %bb.1890:                             ;   in Loop: Header=BB4_1481 Depth=2
	s_andn2_saveexec_b64 s[24:25], s[24:25]
; %bb.1891:                             ;   in Loop: Header=BB4_1481 Depth=2
	v_bfe_u32 v22, v24, 23, 1
; %bb.1892:                             ;   in Loop: Header=BB4_1481 Depth=2
	s_or_b64 exec, exec, s[24:25]
	v_lshrrev_b64 v[24:25], 20, v[24:25]
	v_cmp_gt_i32_e32 vcc, 16, v22
	v_cndmask_b32_e32 v25, 0, v25, vcc
	v_cndmask_b32_e32 v24, 7, v24, vcc
	v_min_i32_e32 v18, 15, v22
	v_cmp_eq_u32_e32 vcc, 0, v22
	v_cmp_eq_u64_e64 s[24:25], 0, v[24:25]
	v_lshlrev_b32_e32 v18, 3, v18
	v_and_or_b32 v18, v24, 7, v18
	s_and_b64 s[24:25], vcc, s[24:25]
	v_cndmask_b32_e64 v18, v18, 0, s[24:25]
	v_or_b32_e32 v22, v18, v32
.LBB4_1893:                             ;   in Loop: Header=BB4_1481 Depth=2
	s_or_b64 exec, exec, s[64:65]
.LBB4_1894:                             ;   in Loop: Header=BB4_1481 Depth=2
	s_or_b64 exec, exec, s[62:63]
                                        ; implicit-def: $vgpr24
                                        ; implicit-def: $vgpr46_vgpr47
.LBB4_1895:                             ;   in Loop: Header=BB4_1481 Depth=2
	s_andn2_saveexec_b64 s[24:25], s[60:61]
; %bb.1896:                             ;   in Loop: Header=BB4_1481 Depth=2
	v_or_b32_sdwa v18, v24, s75 dst_sel:DWORD dst_unused:UNUSED_PAD src0_sel:BYTE_3 src1_sel:DWORD
	v_cmp_eq_u64_e32 vcc, 0, v[46:47]
	v_cndmask_b32_e32 v22, v18, v22, vcc
; %bb.1897:                             ;   in Loop: Header=BB4_1481 Depth=2
	s_or_b64 exec, exec, s[24:25]
	v_lshrrev_b16_e32 v24, 8, v3
	v_cmp_ne_u16_e32 vcc, 0, v24
	v_mov_b32_e32 v25, 0
	v_mov_b32_e32 v32, 0
	s_and_saveexec_b64 s[24:25], vcc
	s_cbranch_execz .LBB4_1903
; %bb.1898:                             ;   in Loop: Header=BB4_1481 Depth=2
	v_cmp_ne_u16_e32 vcc, s76, v24
	v_bfrev_b32_e32 v32, 1
	s_and_saveexec_b64 s[60:61], vcc
	s_cbranch_execz .LBB4_1902
; %bb.1899:                             ;   in Loop: Header=BB4_1481 Depth=2
	v_and_b32_e32 v33, 0x7f, v24
	v_cmp_ne_u32_e32 vcc, s75, v33
	v_mov_b32_e32 v32, 0x7f800001
	s_and_saveexec_b64 s[62:63], vcc
	s_cbranch_execz .LBB4_1901
; %bb.1900:                             ;   in Loop: Header=BB4_1481 Depth=2
	v_and_b32_e32 v18, 7, v24
	v_ffbh_u32_e32 v32, v18
	v_min_u32_e32 v32, 32, v32
	v_subrev_u32_e32 v34, 28, v32
	v_lshlrev_b64 v[34:35], v34, v[24:25]
	v_lshrrev_b32_e32 v20, 3, v33
	v_sub_u32_e32 v24, 29, v32
	v_and_b32_e32 v32, 7, v34
	v_cmp_gt_u32_e32 vcc, 8, v33
	v_cndmask_b32_e32 v20, v20, v24, vcc
	v_cndmask_b32_e32 v18, v18, v32, vcc
	v_lshlrev_b32_e32 v3, 16, v3
	v_bfrev_b32_e32 v24, 60
	v_lshlrev_b32_e32 v18, 20, v18
	v_and_b32_e32 v3, 0x80000000, v3
	v_lshl_add_u32 v20, v20, 23, v24
	v_or3_b32 v32, v3, v20, v18
.LBB4_1901:                             ;   in Loop: Header=BB4_1481 Depth=2
	s_or_b64 exec, exec, s[62:63]
.LBB4_1902:                             ;   in Loop: Header=BB4_1481 Depth=2
	s_or_b64 exec, exec, s[60:61]
.LBB4_1903:                             ;   in Loop: Header=BB4_1481 Depth=2
	s_or_b64 exec, exec, s[24:25]
	v_mov_b32_e32 v24, v11
	v_lshrrev_b16_e32 v48, 8, v24
	v_cmp_ne_u16_e32 vcc, 0, v48
	s_and_saveexec_b64 s[24:25], vcc
	s_cbranch_execz .LBB4_1909
; %bb.1904:                             ;   in Loop: Header=BB4_1481 Depth=2
	v_cmp_ne_u16_e32 vcc, s76, v48
	v_bfrev_b32_e32 v25, 1
	s_and_saveexec_b64 s[60:61], vcc
	s_cbranch_execz .LBB4_1908
; %bb.1905:                             ;   in Loop: Header=BB4_1481 Depth=2
	v_and_b32_e32 v3, 0x7f, v48
	v_cmp_ne_u32_e32 vcc, s75, v3
	v_mov_b32_e32 v25, 0x7f800001
	s_and_saveexec_b64 s[62:63], vcc
	s_cbranch_execz .LBB4_1907
; %bb.1906:                             ;   in Loop: Header=BB4_1481 Depth=2
	v_and_b32_e32 v18, 7, v48
	v_ffbh_u32_e32 v25, v18
	v_min_u32_e32 v25, 32, v25
	v_subrev_u32_e32 v33, 28, v25
	v_lshlrev_b64 v[34:35], v33, v[48:49]
	v_lshrrev_b32_e32 v20, 3, v3
	v_sub_u32_e32 v25, 29, v25
	v_and_b32_e32 v33, 7, v34
	v_cmp_gt_u32_e32 vcc, 8, v3
	v_cndmask_b32_e32 v3, v20, v25, vcc
	v_cndmask_b32_e32 v18, v18, v33, vcc
	v_lshlrev_b32_e32 v20, 16, v24
	v_bfrev_b32_e32 v24, 60
	v_lshlrev_b32_e32 v18, 20, v18
	v_and_b32_e32 v20, 0x80000000, v20
	v_lshl_add_u32 v3, v3, 23, v24
	v_or3_b32 v25, v20, v3, v18
.LBB4_1907:                             ;   in Loop: Header=BB4_1481 Depth=2
	s_or_b64 exec, exec, s[62:63]
.LBB4_1908:                             ;   in Loop: Header=BB4_1481 Depth=2
	s_or_b64 exec, exec, s[60:61]
.LBB4_1909:                             ;   in Loop: Header=BB4_1481 Depth=2
	s_or_b64 exec, exec, s[24:25]
	v_add_f32_e32 v24, v32, v25
	v_and_b32_sdwa v3, v24, s76 dst_sel:DWORD dst_unused:UNUSED_PAD src0_sel:BYTE_3 src1_sel:DWORD
	v_and_b32_e32 v34, 0x7f800000, v24
	v_mov_b32_e32 v35, v39
	v_and_b32_e32 v46, 0x7fffff, v24
	v_mov_b32_e32 v47, v39
	v_or_b32_e32 v32, 0x7e, v3
	v_cmp_ne_u64_e32 vcc, s[42:43], v[34:35]
	s_and_saveexec_b64 s[24:25], vcc
	s_xor_b64 s[60:61], exec, s[24:25]
	s_cbranch_execz .LBB4_1919
; %bb.1910:                             ;   in Loop: Header=BB4_1481 Depth=2
	v_and_b32_e32 v34, 0x7fffffff, v24
	v_mov_b32_e32 v35, v39
	v_cmp_gt_u64_e32 vcc, s[44:45], v[34:35]
	s_and_saveexec_b64 s[62:63], vcc
	s_cbranch_execz .LBB4_1918
; %bb.1911:                             ;   in Loop: Header=BB4_1481 Depth=2
	v_cmp_ne_u32_e32 vcc, 0, v24
	v_mov_b32_e32 v32, 0
	s_and_saveexec_b64 s[64:65], vcc
	s_cbranch_execz .LBB4_1917
; %bb.1912:                             ;   in Loop: Header=BB4_1481 Depth=2
	v_bfe_u32 v18, v24, 23, 8
	v_sub_u32_e32 v24, 0x79, v18
	v_cmp_gt_u32_e32 vcc, s77, v18
	v_add_u32_e32 v20, 0xffffff81, v18
	v_cndmask_b32_e32 v24, 0, v24, vcc
	v_cmp_eq_u32_e32 vcc, 0, v18
	v_mov_b32_e32 v18, 0xffffff82
	v_cndmask_b32_e32 v18, v20, v18, vcc
	v_mov_b32_e32 v20, 0x78
	v_or_b32_e32 v25, 0x800000, v46
	v_cndmask_b32_e32 v20, v24, v20, vcc
	v_cndmask_b32_e32 v46, v25, v46, vcc
	v_add_u32_e32 v24, 20, v20
	v_lshlrev_b64 v[24:25], v24, -1
	v_add_u32_e32 v32, 19, v20
	v_lshrrev_b64 v[48:49], v20, v[46:47]
	v_not_b32_e32 v25, v25
	v_not_b32_e32 v24, v24
	v_lshlrev_b64 v[36:37], v32, 1
	v_lshrrev_b32_e32 v32, 23, v48
	v_and_b32_e32 v25, 0, v25
	v_and_b32_e32 v24, v46, v24
	v_add3_u32 v34, v20, v18, v32
	v_bfe_u32 v18, v48, 20, 1
	v_add_u32_e32 v18, -1, v18
	v_cmp_eq_u64_e32 vcc, v[24:25], v[36:37]
	v_cndmask_b32_e32 v18, 0, v18, vcc
	v_add_u32_e32 v18, v18, v48
	v_and_b32_e32 v18, 0xfffff, v18
	v_add_co_u32_e32 v24, vcc, v18, v48
	v_add_u32_e32 v33, 6, v34
	v_addc_co_u32_e32 v25, vcc, 0, v49, vcc
	v_cmp_ne_u32_e32 vcc, 0, v33
                                        ; implicit-def: $vgpr32
	s_and_saveexec_b64 s[24:25], vcc
	s_xor_b64 s[24:25], exec, s[24:25]
; %bb.1913:                             ;   in Loop: Header=BB4_1481 Depth=2
	v_add_u32_e32 v18, 7, v34
	v_cmp_lt_u64_e32 vcc, s[48:49], v[24:25]
	v_cndmask_b32_e32 v32, v33, v18, vcc
	v_cndmask_b32_e64 v18, 0, 1, vcc
	v_lshrrev_b64 v[24:25], v18, v[24:25]
; %bb.1914:                             ;   in Loop: Header=BB4_1481 Depth=2
	s_andn2_saveexec_b64 s[24:25], s[24:25]
; %bb.1915:                             ;   in Loop: Header=BB4_1481 Depth=2
	v_bfe_u32 v32, v24, 23, 1
; %bb.1916:                             ;   in Loop: Header=BB4_1481 Depth=2
	s_or_b64 exec, exec, s[24:25]
	v_lshrrev_b64 v[24:25], 20, v[24:25]
	v_cmp_gt_i32_e32 vcc, 16, v32
	v_cndmask_b32_e32 v25, 0, v25, vcc
	v_cndmask_b32_e32 v24, 7, v24, vcc
	v_min_i32_e32 v18, 15, v32
	v_cmp_eq_u32_e32 vcc, 0, v32
	v_cmp_eq_u64_e64 s[24:25], 0, v[24:25]
	v_lshlrev_b32_e32 v18, 3, v18
	v_and_or_b32 v18, v24, 7, v18
	s_and_b64 s[24:25], vcc, s[24:25]
	v_cndmask_b32_e64 v18, v18, 0, s[24:25]
	v_or_b32_e32 v32, v18, v3
.LBB4_1917:                             ;   in Loop: Header=BB4_1481 Depth=2
	s_or_b64 exec, exec, s[64:65]
.LBB4_1918:                             ;   in Loop: Header=BB4_1481 Depth=2
	s_or_b64 exec, exec, s[62:63]
                                        ; implicit-def: $vgpr24
                                        ; implicit-def: $vgpr46_vgpr47
.LBB4_1919:                             ;   in Loop: Header=BB4_1481 Depth=2
	s_andn2_saveexec_b64 s[24:25], s[60:61]
; %bb.1920:                             ;   in Loop: Header=BB4_1481 Depth=2
	v_or_b32_sdwa v3, v24, s75 dst_sel:DWORD dst_unused:UNUSED_PAD src0_sel:BYTE_3 src1_sel:DWORD
	v_cmp_eq_u64_e32 vcc, 0, v[46:47]
	v_cndmask_b32_e32 v32, v3, v32, vcc
; %bb.1921:                             ;   in Loop: Header=BB4_1481 Depth=2
	s_or_b64 exec, exec, s[24:25]
	v_lshrrev_b32_e32 v24, 16, v38
	v_cmp_ne_u16_sdwa vcc, v24, v39 src0_sel:BYTE_0 src1_sel:DWORD
	v_mov_b32_e32 v3, 0
	v_mov_b32_e32 v25, 0
	s_and_saveexec_b64 s[24:25], vcc
	s_cbranch_execz .LBB4_1927
; %bb.1922:                             ;   in Loop: Header=BB4_1481 Depth=2
	v_cmp_ne_u16_sdwa vcc, v24, s76 src0_sel:BYTE_0 src1_sel:DWORD
	v_bfrev_b32_e32 v25, 1
	s_and_saveexec_b64 s[60:61], vcc
	s_cbranch_execz .LBB4_1926
; %bb.1923:                             ;   in Loop: Header=BB4_1481 Depth=2
	v_bfe_u32 v33, v38, 16, 7
	v_cmp_ne_u32_e32 vcc, s75, v33
	v_mov_b32_e32 v25, 0x7f800001
	s_and_saveexec_b64 s[62:63], vcc
	s_cbranch_execz .LBB4_1925
; %bb.1924:                             ;   in Loop: Header=BB4_1481 Depth=2
	v_and_b32_e32 v18, 7, v24
	v_ffbh_u32_e32 v25, v18
	v_min_u32_e32 v25, 32, v25
	v_subrev_u32_e32 v34, 28, v25
	v_lshlrev_b64 v[34:35], v34, v[24:25]
	v_lshrrev_b32_e32 v20, 3, v33
	v_sub_u32_e32 v25, 29, v25
	v_and_b32_e32 v34, 7, v34
	v_cmp_gt_u32_e32 vcc, 8, v33
	v_cndmask_b32_e32 v20, v20, v25, vcc
	v_cndmask_b32_e32 v18, v18, v34, vcc
	v_lshlrev_b32_e32 v24, 24, v24
	v_bfrev_b32_e32 v25, 60
	v_lshlrev_b32_e32 v18, 20, v18
	v_and_b32_e32 v24, 0x80000000, v24
	v_lshl_add_u32 v20, v20, 23, v25
	v_or3_b32 v25, v24, v20, v18
.LBB4_1925:                             ;   in Loop: Header=BB4_1481 Depth=2
	s_or_b64 exec, exec, s[62:63]
.LBB4_1926:                             ;   in Loop: Header=BB4_1481 Depth=2
	s_or_b64 exec, exec, s[60:61]
.LBB4_1927:                             ;   in Loop: Header=BB4_1481 Depth=2
	s_or_b64 exec, exec, s[24:25]
	v_lshrrev_b32_e32 v24, 16, v11
	v_cmp_ne_u16_sdwa vcc, v24, v39 src0_sel:BYTE_0 src1_sel:DWORD
	s_and_saveexec_b64 s[24:25], vcc
	s_cbranch_execz .LBB4_1933
; %bb.1928:                             ;   in Loop: Header=BB4_1481 Depth=2
	v_cmp_ne_u16_sdwa vcc, v24, s76 src0_sel:BYTE_0 src1_sel:DWORD
	v_bfrev_b32_e32 v3, 1
	s_and_saveexec_b64 s[60:61], vcc
	s_cbranch_execz .LBB4_1932
; %bb.1929:                             ;   in Loop: Header=BB4_1481 Depth=2
	v_bfe_u32 v33, v11, 16, 7
	v_cmp_ne_u32_e32 vcc, s75, v33
	v_mov_b32_e32 v3, 0x7f800001
	s_and_saveexec_b64 s[62:63], vcc
	s_cbranch_execz .LBB4_1931
; %bb.1930:                             ;   in Loop: Header=BB4_1481 Depth=2
	v_and_b32_e32 v3, 7, v24
	v_ffbh_u32_e32 v20, v3
	v_min_u32_e32 v20, 32, v20
	v_subrev_u32_e32 v34, 28, v20
	v_lshlrev_b64 v[34:35], v34, v[24:25]
	v_lshrrev_b32_e32 v18, 3, v33
	v_sub_u32_e32 v20, 29, v20
	v_and_b32_e32 v24, 7, v34
	v_cmp_gt_u32_e32 vcc, 8, v33
	v_cndmask_b32_e32 v18, v18, v20, vcc
	v_cndmask_b32_e32 v3, v3, v24, vcc
	v_lshlrev_b32_e32 v20, 8, v11
	v_bfrev_b32_e32 v24, 60
	v_lshlrev_b32_e32 v3, 20, v3
	v_and_b32_e32 v20, 0x80000000, v20
	v_lshl_add_u32 v18, v18, 23, v24
	v_or3_b32 v3, v20, v18, v3
.LBB4_1931:                             ;   in Loop: Header=BB4_1481 Depth=2
	s_or_b64 exec, exec, s[62:63]
.LBB4_1932:                             ;   in Loop: Header=BB4_1481 Depth=2
	s_or_b64 exec, exec, s[60:61]
.LBB4_1933:                             ;   in Loop: Header=BB4_1481 Depth=2
	s_or_b64 exec, exec, s[24:25]
	v_add_f32_e32 v24, v25, v3
	v_and_b32_sdwa v3, v24, s76 dst_sel:DWORD dst_unused:UNUSED_PAD src0_sel:BYTE_3 src1_sel:DWORD
	v_and_b32_e32 v34, 0x7f800000, v24
	v_mov_b32_e32 v35, v39
	v_and_b32_e32 v46, 0x7fffff, v24
	v_mov_b32_e32 v47, v39
	v_or_b32_e32 v25, 0x7e, v3
	v_cmp_ne_u64_e32 vcc, s[42:43], v[34:35]
	s_and_saveexec_b64 s[24:25], vcc
	s_xor_b64 s[60:61], exec, s[24:25]
	s_cbranch_execz .LBB4_1943
; %bb.1934:                             ;   in Loop: Header=BB4_1481 Depth=2
	v_and_b32_e32 v34, 0x7fffffff, v24
	v_mov_b32_e32 v35, v39
	v_cmp_gt_u64_e32 vcc, s[44:45], v[34:35]
	s_and_saveexec_b64 s[62:63], vcc
	s_cbranch_execz .LBB4_1942
; %bb.1935:                             ;   in Loop: Header=BB4_1481 Depth=2
	v_cmp_ne_u32_e32 vcc, 0, v24
	v_mov_b32_e32 v25, 0
	s_and_saveexec_b64 s[64:65], vcc
	s_cbranch_execz .LBB4_1941
; %bb.1936:                             ;   in Loop: Header=BB4_1481 Depth=2
	v_bfe_u32 v18, v24, 23, 8
	v_sub_u32_e32 v24, 0x79, v18
	v_cmp_gt_u32_e32 vcc, s77, v18
	v_add_u32_e32 v20, 0xffffff81, v18
	v_cndmask_b32_e32 v24, 0, v24, vcc
	v_cmp_eq_u32_e32 vcc, 0, v18
	v_mov_b32_e32 v18, 0xffffff82
	v_cndmask_b32_e32 v18, v20, v18, vcc
	v_mov_b32_e32 v20, 0x78
	v_or_b32_e32 v25, 0x800000, v46
	v_cndmask_b32_e32 v20, v24, v20, vcc
	v_cndmask_b32_e32 v46, v25, v46, vcc
	v_add_u32_e32 v24, 20, v20
	v_lshlrev_b64 v[24:25], v24, -1
	v_add_u32_e32 v33, 19, v20
	v_lshrrev_b64 v[48:49], v20, v[46:47]
	v_not_b32_e32 v25, v25
	v_not_b32_e32 v24, v24
	v_lshlrev_b64 v[36:37], v33, 1
	v_lshrrev_b32_e32 v33, 23, v48
	v_and_b32_e32 v25, 0, v25
	v_and_b32_e32 v24, v46, v24
	v_add3_u32 v35, v20, v18, v33
	v_bfe_u32 v18, v48, 20, 1
	v_add_u32_e32 v18, -1, v18
	v_cmp_eq_u64_e32 vcc, v[24:25], v[36:37]
	v_cndmask_b32_e32 v18, 0, v18, vcc
	v_add_u32_e32 v18, v18, v48
	v_and_b32_e32 v18, 0xfffff, v18
	v_add_co_u32_e32 v24, vcc, v18, v48
	v_add_u32_e32 v34, 6, v35
	v_addc_co_u32_e32 v25, vcc, 0, v49, vcc
	v_cmp_ne_u32_e32 vcc, 0, v34
                                        ; implicit-def: $vgpr33
	s_and_saveexec_b64 s[24:25], vcc
	s_xor_b64 s[24:25], exec, s[24:25]
; %bb.1937:                             ;   in Loop: Header=BB4_1481 Depth=2
	v_add_u32_e32 v18, 7, v35
	v_cmp_lt_u64_e32 vcc, s[48:49], v[24:25]
	v_cndmask_b32_e32 v33, v34, v18, vcc
	v_cndmask_b32_e64 v18, 0, 1, vcc
	v_lshrrev_b64 v[24:25], v18, v[24:25]
; %bb.1938:                             ;   in Loop: Header=BB4_1481 Depth=2
	s_andn2_saveexec_b64 s[24:25], s[24:25]
; %bb.1939:                             ;   in Loop: Header=BB4_1481 Depth=2
	v_bfe_u32 v33, v24, 23, 1
; %bb.1940:                             ;   in Loop: Header=BB4_1481 Depth=2
	s_or_b64 exec, exec, s[24:25]
	v_lshrrev_b64 v[24:25], 20, v[24:25]
	v_cmp_gt_i32_e32 vcc, 16, v33
	v_min_i32_e32 v18, 15, v33
	v_cndmask_b32_e32 v25, 0, v25, vcc
	v_cndmask_b32_e32 v24, 7, v24, vcc
	v_lshlrev_b32_e32 v18, 3, v18
	v_cmp_eq_u32_e32 vcc, 0, v33
	v_cmp_eq_u64_e64 s[24:25], 0, v[24:25]
	v_and_b32_e32 v18, 0xf8, v18
	v_and_or_b32 v18, v24, 7, v18
	s_and_b64 s[24:25], vcc, s[24:25]
	v_cndmask_b32_e64 v18, v18, 0, s[24:25]
	v_or_b32_e32 v25, v18, v3
.LBB4_1941:                             ;   in Loop: Header=BB4_1481 Depth=2
	s_or_b64 exec, exec, s[64:65]
.LBB4_1942:                             ;   in Loop: Header=BB4_1481 Depth=2
	s_or_b64 exec, exec, s[62:63]
                                        ; implicit-def: $vgpr24
                                        ; implicit-def: $vgpr46_vgpr47
.LBB4_1943:                             ;   in Loop: Header=BB4_1481 Depth=2
	s_andn2_saveexec_b64 s[24:25], s[60:61]
; %bb.1944:                             ;   in Loop: Header=BB4_1481 Depth=2
	v_or_b32_sdwa v3, v24, s75 dst_sel:DWORD dst_unused:UNUSED_PAD src0_sel:BYTE_3 src1_sel:DWORD
	v_cmp_eq_u64_e32 vcc, 0, v[46:47]
	v_cndmask_b32_e32 v25, v3, v25, vcc
; %bb.1945:                             ;   in Loop: Header=BB4_1481 Depth=2
	s_or_b64 exec, exec, s[24:25]
	v_cmp_lt_u32_e32 vcc, s47, v38
	v_mov_b32_e32 v3, 0
	v_mov_b32_e32 v33, 0
	s_and_saveexec_b64 s[24:25], vcc
	s_cbranch_execz .LBB4_1951
; %bb.1946:                             ;   in Loop: Header=BB4_1481 Depth=2
	v_lshrrev_b32_e32 v24, 24, v38
	v_cmp_ne_u32_sdwa vcc, v38, s76 src0_sel:BYTE_3 src1_sel:DWORD
	v_bfrev_b32_e32 v33, 1
	s_and_saveexec_b64 s[60:61], vcc
	s_cbranch_execz .LBB4_1950
; %bb.1947:                             ;   in Loop: Header=BB4_1481 Depth=2
	v_bfe_u32 v34, v38, 24, 7
	v_cmp_ne_u32_e32 vcc, s75, v34
	v_mov_b32_e32 v33, 0x7f800001
	s_and_saveexec_b64 s[62:63], vcc
	s_cbranch_execz .LBB4_1949
; %bb.1948:                             ;   in Loop: Header=BB4_1481 Depth=2
	v_and_b32_e32 v18, 7, v24
	v_ffbh_u32_e32 v33, v18
	v_min_u32_e32 v33, 32, v33
	v_subrev_u32_e32 v35, 28, v33
	v_lshrrev_b32_e32 v20, 3, v34
	v_lshlrev_b64 v[36:37], v35, v[24:25]
	v_sub_u32_e32 v24, 29, v33
	v_cmp_gt_u32_e32 vcc, 8, v34
	v_and_b32_e32 v33, 7, v36
	v_cndmask_b32_e32 v20, v20, v24, vcc
	v_mov_b32_e32 v24, 24
	v_cndmask_b32_e32 v18, v18, v33, vcc
	v_lshlrev_b32_sdwa v24, v24, v38 dst_sel:DWORD dst_unused:UNUSED_PAD src0_sel:DWORD src1_sel:BYTE_3
	v_bfrev_b32_e32 v33, 60
	v_lshlrev_b32_e32 v18, 20, v18
	v_and_b32_e32 v24, 0x80000000, v24
	v_lshl_add_u32 v20, v20, 23, v33
	v_or3_b32 v33, v24, v20, v18
.LBB4_1949:                             ;   in Loop: Header=BB4_1481 Depth=2
	s_or_b64 exec, exec, s[62:63]
.LBB4_1950:                             ;   in Loop: Header=BB4_1481 Depth=2
	s_or_b64 exec, exec, s[60:61]
.LBB4_1951:                             ;   in Loop: Header=BB4_1481 Depth=2
	s_or_b64 exec, exec, s[24:25]
	v_cmp_lt_u64_e32 vcc, s[46:47], v[10:11]
	s_and_saveexec_b64 s[24:25], vcc
	s_cbranch_execz .LBB4_1957
; %bb.1952:                             ;   in Loop: Header=BB4_1481 Depth=2
	v_lshrrev_b32_e32 v10, 24, v11
	v_cmp_ne_u32_e32 vcc, s76, v10
	v_bfrev_b32_e32 v3, 1
	s_and_saveexec_b64 s[60:61], vcc
	s_cbranch_execz .LBB4_1956
; %bb.1953:                             ;   in Loop: Header=BB4_1481 Depth=2
	v_bfe_u32 v11, v11, 24, 7
	v_cmp_ne_u32_e32 vcc, s75, v11
	v_mov_b32_e32 v3, 0x7f800001
	s_and_saveexec_b64 s[62:63], vcc
	s_cbranch_execz .LBB4_1955
; %bb.1954:                             ;   in Loop: Header=BB4_1481 Depth=2
	v_and_b32_e32 v3, 7, v10
	v_ffbh_u32_e32 v20, v3
	v_min_u32_e32 v20, 32, v20
	v_subrev_u32_e32 v24, 28, v20
	v_lshlrev_b64 v[34:35], v24, v[10:11]
	v_lshrrev_b32_e32 v18, 3, v11
	v_sub_u32_e32 v20, 29, v20
	v_and_b32_e32 v24, 7, v34
	v_cmp_gt_u32_e32 vcc, 8, v11
	v_cndmask_b32_e32 v11, v18, v20, vcc
	v_cndmask_b32_e32 v3, v3, v24, vcc
	v_lshlrev_b32_e32 v10, 24, v10
	v_bfrev_b32_e32 v18, 60
	v_lshlrev_b32_e32 v3, 20, v3
	v_and_b32_e32 v10, 0x80000000, v10
	v_lshl_add_u32 v11, v11, 23, v18
	v_or3_b32 v3, v10, v11, v3
.LBB4_1955:                             ;   in Loop: Header=BB4_1481 Depth=2
	s_or_b64 exec, exec, s[62:63]
.LBB4_1956:                             ;   in Loop: Header=BB4_1481 Depth=2
	s_or_b64 exec, exec, s[60:61]
.LBB4_1957:                             ;   in Loop: Header=BB4_1481 Depth=2
	s_or_b64 exec, exec, s[24:25]
	v_add_f32_e32 v10, v33, v3
	v_and_b32_sdwa v3, v10, s76 dst_sel:DWORD dst_unused:UNUSED_PAD src0_sel:BYTE_3 src1_sel:DWORD
	v_and_b32_e32 v34, 0x7f800000, v10
	v_mov_b32_e32 v35, v39
	v_and_b32_e32 v38, 0x7fffff, v10
	v_or_b32_e32 v24, 0x7e, v3
	v_cmp_ne_u64_e32 vcc, s[42:43], v[34:35]
	s_and_saveexec_b64 s[24:25], vcc
	s_xor_b64 s[60:61], exec, s[24:25]
	s_cbranch_execz .LBB4_1967
; %bb.1958:                             ;   in Loop: Header=BB4_1481 Depth=2
	v_and_b32_e32 v34, 0x7fffffff, v10
	v_mov_b32_e32 v35, v39
	v_cmp_gt_u64_e32 vcc, s[44:45], v[34:35]
	s_and_saveexec_b64 s[62:63], vcc
	s_cbranch_execz .LBB4_1966
; %bb.1959:                             ;   in Loop: Header=BB4_1481 Depth=2
	v_cmp_ne_u32_e32 vcc, 0, v10
	v_mov_b32_e32 v24, 0
	s_and_saveexec_b64 s[64:65], vcc
	s_cbranch_execz .LBB4_1965
; %bb.1960:                             ;   in Loop: Header=BB4_1481 Depth=2
	v_bfe_u32 v10, v10, 23, 8
	v_sub_u32_e32 v18, 0x79, v10
	v_cmp_gt_u32_e32 vcc, s77, v10
	v_add_u32_e32 v11, 0xffffff81, v10
	v_cndmask_b32_e32 v18, 0, v18, vcc
	v_cmp_eq_u32_e32 vcc, 0, v10
	v_mov_b32_e32 v10, 0xffffff82
	v_cndmask_b32_e32 v24, v11, v10, vcc
	v_mov_b32_e32 v10, 0x78
	v_or_b32_e32 v20, 0x800000, v38
	v_cndmask_b32_e32 v18, v18, v10, vcc
	v_cndmask_b32_e32 v38, v20, v38, vcc
	v_add_u32_e32 v10, 20, v18
	v_lshlrev_b64 v[10:11], v10, -1
	v_add_u32_e32 v20, 19, v18
	v_lshrrev_b64 v[48:49], v18, v[38:39]
	v_not_b32_e32 v11, v11
	v_not_b32_e32 v10, v10
	v_lshlrev_b64 v[36:37], v20, 1
	v_lshrrev_b32_e32 v20, 23, v48
	v_and_b32_e32 v11, 0, v11
	v_and_b32_e32 v10, v38, v10
	v_add3_u32 v34, v18, v24, v20
	v_bfe_u32 v18, v48, 20, 1
	v_add_u32_e32 v18, -1, v18
	v_cmp_eq_u64_e32 vcc, v[10:11], v[36:37]
	v_cndmask_b32_e32 v10, 0, v18, vcc
	v_add_u32_e32 v10, v10, v48
	v_and_b32_e32 v10, 0xfffff, v10
	v_add_co_u32_e32 v10, vcc, v10, v48
	v_add_u32_e32 v33, 6, v34
	v_addc_co_u32_e32 v11, vcc, 0, v49, vcc
	v_cmp_ne_u32_e32 vcc, 0, v33
                                        ; implicit-def: $vgpr24
	s_and_saveexec_b64 s[24:25], vcc
	s_xor_b64 s[24:25], exec, s[24:25]
; %bb.1961:                             ;   in Loop: Header=BB4_1481 Depth=2
	v_add_u32_e32 v18, 7, v34
	v_cmp_lt_u64_e32 vcc, s[48:49], v[10:11]
	v_cndmask_b32_e32 v24, v33, v18, vcc
	v_cndmask_b32_e64 v18, 0, 1, vcc
	v_lshrrev_b64 v[10:11], v18, v[10:11]
; %bb.1962:                             ;   in Loop: Header=BB4_1481 Depth=2
	s_andn2_saveexec_b64 s[24:25], s[24:25]
; %bb.1963:                             ;   in Loop: Header=BB4_1481 Depth=2
	v_bfe_u32 v24, v10, 23, 1
; %bb.1964:                             ;   in Loop: Header=BB4_1481 Depth=2
	s_or_b64 exec, exec, s[24:25]
	v_lshrrev_b64 v[10:11], 20, v[10:11]
	v_cmp_gt_i32_e32 vcc, 16, v24
	v_cndmask_b32_e32 v11, 0, v11, vcc
	v_cndmask_b32_e32 v10, 7, v10, vcc
	v_cmp_eq_u64_e64 s[24:25], 0, v[10:11]
	v_min_i32_e32 v11, 15, v24
	v_lshlrev_b32_e32 v11, 3, v11
	v_cmp_eq_u32_e32 vcc, 0, v24
	v_and_b32_e32 v11, 0xf8, v11
	v_and_or_b32 v10, v10, 7, v11
	s_and_b64 s[24:25], vcc, s[24:25]
	v_cndmask_b32_e64 v10, v10, 0, s[24:25]
	v_or_b32_e32 v24, v10, v3
.LBB4_1965:                             ;   in Loop: Header=BB4_1481 Depth=2
	s_or_b64 exec, exec, s[64:65]
.LBB4_1966:                             ;   in Loop: Header=BB4_1481 Depth=2
	s_or_b64 exec, exec, s[62:63]
                                        ; implicit-def: $vgpr10
.LBB4_1967:                             ;   in Loop: Header=BB4_1481 Depth=2
	s_andn2_saveexec_b64 s[24:25], s[60:61]
; %bb.1968:                             ;   in Loop: Header=BB4_1481 Depth=2
	v_or_b32_sdwa v3, v10, s75 dst_sel:DWORD dst_unused:UNUSED_PAD src0_sel:BYTE_3 src1_sel:DWORD
	v_cmp_eq_u64_e32 vcc, 0, v[38:39]
	v_cndmask_b32_e32 v24, v3, v24, vcc
; %bb.1969:                             ;   in Loop: Header=BB4_1481 Depth=2
	s_or_b64 exec, exec, s[24:25]
	v_lshlrev_b32_e32 v3, 8, v27
	v_cmp_ne_u16_sdwa vcc, v8, v39 src0_sel:BYTE_0 src1_sel:DWORD
	v_mov_b32_e32 v10, 0
	v_mov_b32_e32 v11, 0
	s_and_saveexec_b64 s[24:25], vcc
	s_cbranch_execz .LBB4_1975
; %bb.1970:                             ;   in Loop: Header=BB4_1481 Depth=2
	v_cmp_ne_u16_sdwa vcc, v8, s76 src0_sel:BYTE_0 src1_sel:DWORD
	v_bfrev_b32_e32 v11, 1
	s_and_saveexec_b64 s[60:61], vcc
	s_cbranch_execz .LBB4_1974
; %bb.1971:                             ;   in Loop: Header=BB4_1481 Depth=2
	v_and_b32_e32 v27, 0x7f, v8
	v_cmp_ne_u32_e32 vcc, s75, v27
	v_mov_b32_e32 v11, 0x7f800001
	s_and_saveexec_b64 s[62:63], vcc
	s_cbranch_execz .LBB4_1973
; %bb.1972:                             ;   in Loop: Header=BB4_1481 Depth=2
	v_and_b32_e32 v11, 7, v8
	v_ffbh_u32_e32 v11, v11
	v_min_u32_e32 v11, 32, v11
	v_lshrrev_b32_e32 v20, 3, v27
	v_subrev_u32_e32 v33, 28, v11
	v_sub_u32_e32 v11, 29, v11
	v_cmp_gt_u32_e32 vcc, 8, v27
	v_perm_b32 v18, v3, v8, s78
	v_cndmask_b32_e32 v11, v20, v11, vcc
	v_cndmask_b32_e32 v20, 0, v33, vcc
	v_lshlrev_b64 v[34:35], v20, v[18:19]
	v_lshlrev_b32_e32 v18, 20, v34
	v_lshlrev_b32_e32 v8, 24, v8
	v_bfrev_b32_e32 v20, 60
	v_and_b32_e32 v18, 0x700000, v18
	v_and_b32_e32 v8, 0x80000000, v8
	v_lshl_add_u32 v11, v11, 23, v20
	v_or3_b32 v11, v8, v11, v18
.LBB4_1973:                             ;   in Loop: Header=BB4_1481 Depth=2
	s_or_b64 exec, exec, s[62:63]
.LBB4_1974:                             ;   in Loop: Header=BB4_1481 Depth=2
	s_or_b64 exec, exec, s[60:61]
.LBB4_1975:                             ;   in Loop: Header=BB4_1481 Depth=2
	s_or_b64 exec, exec, s[24:25]
	v_cmp_ne_u16_sdwa vcc, v12, v39 src0_sel:BYTE_0 src1_sel:DWORD
	s_and_saveexec_b64 s[24:25], vcc
	s_cbranch_execz .LBB4_1981
; %bb.1976:                             ;   in Loop: Header=BB4_1481 Depth=2
	v_cmp_ne_u16_sdwa vcc, v12, s76 src0_sel:BYTE_0 src1_sel:DWORD
	v_bfrev_b32_e32 v10, 1
	s_and_saveexec_b64 s[60:61], vcc
	s_cbranch_execz .LBB4_1980
; %bb.1977:                             ;   in Loop: Header=BB4_1481 Depth=2
	v_and_b32_e32 v8, 0x7f, v12
	v_cmp_ne_u32_e32 vcc, s75, v8
	v_mov_b32_e32 v10, 0x7f800001
	s_and_saveexec_b64 s[62:63], vcc
	s_cbranch_execz .LBB4_1979
; %bb.1978:                             ;   in Loop: Header=BB4_1481 Depth=2
	v_and_b32_e32 v10, 7, v12
	v_ffbh_u32_e32 v10, v10
	v_min_u32_e32 v10, 32, v10
	v_lshrrev_b32_e32 v18, 3, v8
	v_subrev_u32_e32 v20, 28, v10
	v_sub_u32_e32 v10, 29, v10
	v_cmp_gt_u32_e32 vcc, 8, v8
	v_cndmask_b32_e32 v8, v18, v10, vcc
	v_cndmask_b32_e32 v10, 0, v20, vcc
	v_lshlrev_b64 v[34:35], v10, v[12:13]
	v_lshlrev_b32_e32 v10, 20, v34
	v_lshlrev_b32_e32 v18, 24, v12
	v_bfrev_b32_e32 v20, 60
	v_and_b32_e32 v10, 0x700000, v10
	v_and_b32_e32 v18, 0x80000000, v18
	v_lshl_add_u32 v8, v8, 23, v20
	v_or3_b32 v10, v18, v8, v10
.LBB4_1979:                             ;   in Loop: Header=BB4_1481 Depth=2
	s_or_b64 exec, exec, s[62:63]
.LBB4_1980:                             ;   in Loop: Header=BB4_1481 Depth=2
	s_or_b64 exec, exec, s[60:61]
.LBB4_1981:                             ;   in Loop: Header=BB4_1481 Depth=2
	s_or_b64 exec, exec, s[24:25]
	v_add_f32_e32 v10, v11, v10
	v_and_b32_sdwa v27, v10, s76 dst_sel:DWORD dst_unused:UNUSED_PAD src0_sel:BYTE_3 src1_sel:DWORD
	v_and_b32_e32 v34, 0x7f800000, v10
	v_mov_b32_e32 v35, v39
	v_and_b32_e32 v38, 0x7fffff, v10
	v_or_b32_e32 v8, 0x7e, v27
	v_cmp_ne_u64_e32 vcc, s[42:43], v[34:35]
	s_and_saveexec_b64 s[24:25], vcc
	s_xor_b64 s[60:61], exec, s[24:25]
	s_cbranch_execz .LBB4_1991
; %bb.1982:                             ;   in Loop: Header=BB4_1481 Depth=2
	v_and_b32_e32 v34, 0x7fffffff, v10
	v_mov_b32_e32 v35, v39
	v_cmp_gt_u64_e32 vcc, s[44:45], v[34:35]
	s_and_saveexec_b64 s[62:63], vcc
	s_cbranch_execz .LBB4_1990
; %bb.1983:                             ;   in Loop: Header=BB4_1481 Depth=2
	v_cmp_ne_u32_e32 vcc, 0, v10
	v_mov_b32_e32 v8, 0
	s_and_saveexec_b64 s[64:65], vcc
	s_cbranch_execz .LBB4_1989
; %bb.1984:                             ;   in Loop: Header=BB4_1481 Depth=2
	v_bfe_u32 v8, v10, 23, 8
	v_sub_u32_e32 v11, 0x79, v8
	v_cmp_gt_u32_e32 vcc, s77, v8
	v_add_u32_e32 v10, 0xffffff81, v8
	v_cndmask_b32_e32 v11, 0, v11, vcc
	v_cmp_eq_u32_e32 vcc, 0, v8
	v_mov_b32_e32 v8, 0xffffff82
	v_cndmask_b32_e32 v8, v10, v8, vcc
	v_mov_b32_e32 v10, 0x78
	v_or_b32_e32 v18, 0x800000, v38
	v_cndmask_b32_e32 v20, v11, v10, vcc
	v_cndmask_b32_e32 v38, v18, v38, vcc
	v_add_u32_e32 v10, 20, v20
	v_lshlrev_b64 v[10:11], v10, -1
	v_add_u32_e32 v18, 19, v20
	v_lshrrev_b64 v[48:49], v20, v[38:39]
	v_not_b32_e32 v11, v11
	v_not_b32_e32 v10, v10
	v_lshlrev_b64 v[36:37], v18, 1
	v_lshrrev_b32_e32 v18, 23, v48
	v_and_b32_e32 v11, 0, v11
	v_and_b32_e32 v10, v38, v10
	v_add3_u32 v34, v20, v8, v18
	v_bfe_u32 v8, v48, 20, 1
	v_add_u32_e32 v8, -1, v8
	v_cmp_eq_u64_e32 vcc, v[10:11], v[36:37]
	v_cndmask_b32_e32 v8, 0, v8, vcc
	v_add_u32_e32 v8, v8, v48
	v_and_b32_e32 v8, 0xfffff, v8
	v_add_co_u32_e32 v10, vcc, v8, v48
	v_add_u32_e32 v33, 6, v34
	v_addc_co_u32_e32 v11, vcc, 0, v49, vcc
	v_cmp_ne_u32_e32 vcc, 0, v33
                                        ; implicit-def: $vgpr8
	s_and_saveexec_b64 s[24:25], vcc
	s_xor_b64 s[24:25], exec, s[24:25]
; %bb.1985:                             ;   in Loop: Header=BB4_1481 Depth=2
	v_cmp_lt_u64_e32 vcc, s[48:49], v[10:11]
	v_add_u32_e32 v8, 7, v34
	v_cndmask_b32_e64 v18, 0, 1, vcc
	v_cndmask_b32_e32 v8, v33, v8, vcc
	v_lshrrev_b64 v[10:11], v18, v[10:11]
; %bb.1986:                             ;   in Loop: Header=BB4_1481 Depth=2
	s_andn2_saveexec_b64 s[24:25], s[24:25]
; %bb.1987:                             ;   in Loop: Header=BB4_1481 Depth=2
	v_bfe_u32 v8, v10, 23, 1
; %bb.1988:                             ;   in Loop: Header=BB4_1481 Depth=2
	s_or_b64 exec, exec, s[24:25]
	v_lshrrev_b64 v[10:11], 20, v[10:11]
	v_cmp_gt_i32_e32 vcc, 16, v8
	v_cndmask_b32_e32 v11, 0, v11, vcc
	v_cndmask_b32_e32 v10, 7, v10, vcc
	v_cmp_eq_u32_e32 vcc, 0, v8
	v_min_i32_e32 v8, 15, v8
	v_cmp_eq_u64_e64 s[24:25], 0, v[10:11]
	v_lshlrev_b32_e32 v8, 3, v8
	v_and_or_b32 v8, v10, 7, v8
	s_and_b64 s[24:25], vcc, s[24:25]
	v_cndmask_b32_e64 v8, v8, 0, s[24:25]
	v_or_b32_e32 v8, v8, v27
.LBB4_1989:                             ;   in Loop: Header=BB4_1481 Depth=2
	s_or_b64 exec, exec, s[64:65]
.LBB4_1990:                             ;   in Loop: Header=BB4_1481 Depth=2
	s_or_b64 exec, exec, s[62:63]
                                        ; implicit-def: $vgpr10
.LBB4_1991:                             ;   in Loop: Header=BB4_1481 Depth=2
	s_andn2_saveexec_b64 s[24:25], s[60:61]
; %bb.1992:                             ;   in Loop: Header=BB4_1481 Depth=2
	v_or_b32_sdwa v10, v10, s75 dst_sel:DWORD dst_unused:UNUSED_PAD src0_sel:BYTE_3 src1_sel:DWORD
	v_cmp_eq_u64_e32 vcc, 0, v[38:39]
	v_cndmask_b32_e32 v8, v10, v8, vcc
; %bb.1993:                             ;   in Loop: Header=BB4_1481 Depth=2
	s_or_b64 exec, exec, s[24:25]
	v_lshrrev_b16_e32 v10, 8, v3
	v_cmp_ne_u16_e32 vcc, 0, v10
	v_mov_b32_e32 v11, 0
	v_mov_b32_e32 v27, 0
	s_and_saveexec_b64 s[24:25], vcc
	s_cbranch_execz .LBB4_1999
; %bb.1994:                             ;   in Loop: Header=BB4_1481 Depth=2
	v_cmp_ne_u16_e32 vcc, s76, v10
	v_bfrev_b32_e32 v27, 1
	s_and_saveexec_b64 s[60:61], vcc
	s_cbranch_execz .LBB4_1998
; %bb.1995:                             ;   in Loop: Header=BB4_1481 Depth=2
	v_and_b32_e32 v33, 0x7f, v10
	v_cmp_ne_u32_e32 vcc, s75, v33
	v_mov_b32_e32 v27, 0x7f800001
	s_and_saveexec_b64 s[62:63], vcc
	s_cbranch_execz .LBB4_1997
; %bb.1996:                             ;   in Loop: Header=BB4_1481 Depth=2
	v_and_b32_e32 v18, 7, v10
	v_ffbh_u32_e32 v27, v18
	v_min_u32_e32 v27, 32, v27
	v_subrev_u32_e32 v34, 28, v27
	v_lshlrev_b64 v[34:35], v34, v[10:11]
	v_lshrrev_b32_e32 v20, 3, v33
	v_sub_u32_e32 v10, 29, v27
	v_and_b32_e32 v27, 7, v34
	v_cmp_gt_u32_e32 vcc, 8, v33
	v_cndmask_b32_e32 v10, v20, v10, vcc
	v_cndmask_b32_e32 v18, v18, v27, vcc
	v_lshlrev_b32_e32 v3, 16, v3
	v_bfrev_b32_e32 v20, 60
	v_lshlrev_b32_e32 v18, 20, v18
	v_and_b32_e32 v3, 0x80000000, v3
	v_lshl_add_u32 v10, v10, 23, v20
	v_or3_b32 v27, v3, v10, v18
.LBB4_1997:                             ;   in Loop: Header=BB4_1481 Depth=2
	s_or_b64 exec, exec, s[62:63]
.LBB4_1998:                             ;   in Loop: Header=BB4_1481 Depth=2
	s_or_b64 exec, exec, s[60:61]
.LBB4_1999:                             ;   in Loop: Header=BB4_1481 Depth=2
	s_or_b64 exec, exec, s[24:25]
	v_lshrrev_b16_e32 v10, 8, v12
	v_cmp_ne_u16_e32 vcc, 0, v10
	s_and_saveexec_b64 s[24:25], vcc
	s_cbranch_execz .LBB4_2005
; %bb.2000:                             ;   in Loop: Header=BB4_1481 Depth=2
	v_cmp_ne_u16_e32 vcc, s76, v10
	v_bfrev_b32_e32 v11, 1
	s_and_saveexec_b64 s[60:61], vcc
	s_cbranch_execz .LBB4_2004
; %bb.2001:                             ;   in Loop: Header=BB4_1481 Depth=2
	v_and_b32_e32 v3, 0x7f, v10
	v_cmp_ne_u32_e32 vcc, s75, v3
	v_mov_b32_e32 v11, 0x7f800001
	s_and_saveexec_b64 s[62:63], vcc
	s_cbranch_execz .LBB4_2003
; %bb.2002:                             ;   in Loop: Header=BB4_1481 Depth=2
	v_and_b32_e32 v18, 7, v10
	v_ffbh_u32_e32 v11, v18
	v_min_u32_e32 v33, 32, v11
	v_subrev_u32_e32 v11, 28, v33
	v_lshlrev_b64 v[10:11], v11, v[10:11]
	v_lshrrev_b32_e32 v20, 3, v3
	v_sub_u32_e32 v11, 29, v33
	v_and_b32_e32 v10, 7, v10
	v_cmp_gt_u32_e32 vcc, 8, v3
	v_cndmask_b32_e32 v3, v20, v11, vcc
	v_cndmask_b32_e32 v10, v18, v10, vcc
	v_lshlrev_b32_e32 v11, 16, v12
	v_bfrev_b32_e32 v18, 60
	v_lshlrev_b32_e32 v10, 20, v10
	v_and_b32_e32 v11, 0x80000000, v11
	v_lshl_add_u32 v3, v3, 23, v18
	v_or3_b32 v11, v11, v3, v10
.LBB4_2003:                             ;   in Loop: Header=BB4_1481 Depth=2
	s_or_b64 exec, exec, s[62:63]
.LBB4_2004:                             ;   in Loop: Header=BB4_1481 Depth=2
	s_or_b64 exec, exec, s[60:61]
.LBB4_2005:                             ;   in Loop: Header=BB4_1481 Depth=2
	s_or_b64 exec, exec, s[24:25]
	v_add_f32_e32 v10, v27, v11
	v_and_b32_sdwa v3, v10, s76 dst_sel:DWORD dst_unused:UNUSED_PAD src0_sel:BYTE_3 src1_sel:DWORD
	v_and_b32_e32 v34, 0x7f800000, v10
	v_mov_b32_e32 v35, v39
	v_and_b32_e32 v38, 0x7fffff, v10
	v_or_b32_e32 v11, 0x7e, v3
	v_cmp_ne_u64_e32 vcc, s[42:43], v[34:35]
	s_and_saveexec_b64 s[24:25], vcc
	s_xor_b64 s[60:61], exec, s[24:25]
	s_cbranch_execz .LBB4_2015
; %bb.2006:                             ;   in Loop: Header=BB4_1481 Depth=2
	v_and_b32_e32 v34, 0x7fffffff, v10
	v_mov_b32_e32 v35, v39
	v_cmp_gt_u64_e32 vcc, s[44:45], v[34:35]
	s_and_saveexec_b64 s[62:63], vcc
	s_cbranch_execz .LBB4_2014
; %bb.2007:                             ;   in Loop: Header=BB4_1481 Depth=2
	v_cmp_ne_u32_e32 vcc, 0, v10
	v_mov_b32_e32 v11, 0
	s_and_saveexec_b64 s[64:65], vcc
	s_cbranch_execz .LBB4_2013
; %bb.2008:                             ;   in Loop: Header=BB4_1481 Depth=2
	v_bfe_u32 v10, v10, 23, 8
	v_sub_u32_e32 v18, 0x79, v10
	v_cmp_gt_u32_e32 vcc, s77, v10
	v_add_u32_e32 v11, 0xffffff81, v10
	v_cndmask_b32_e32 v18, 0, v18, vcc
	v_cmp_eq_u32_e32 vcc, 0, v10
	v_mov_b32_e32 v10, 0xffffff82
	v_cndmask_b32_e32 v27, v11, v10, vcc
	v_mov_b32_e32 v10, 0x78
	v_or_b32_e32 v20, 0x800000, v38
	v_cndmask_b32_e32 v18, v18, v10, vcc
	v_cndmask_b32_e32 v38, v20, v38, vcc
	v_add_u32_e32 v10, 20, v18
	v_lshlrev_b64 v[10:11], v10, -1
	v_add_u32_e32 v20, 19, v18
	v_lshrrev_b64 v[48:49], v18, v[38:39]
	v_not_b32_e32 v11, v11
	v_not_b32_e32 v10, v10
	v_lshlrev_b64 v[36:37], v20, 1
	v_lshrrev_b32_e32 v20, 23, v48
	v_and_b32_e32 v11, 0, v11
	v_and_b32_e32 v10, v38, v10
	v_add3_u32 v34, v18, v27, v20
	v_bfe_u32 v18, v48, 20, 1
	v_add_u32_e32 v18, -1, v18
	v_cmp_eq_u64_e32 vcc, v[10:11], v[36:37]
	v_cndmask_b32_e32 v10, 0, v18, vcc
	v_add_u32_e32 v10, v10, v48
	v_and_b32_e32 v10, 0xfffff, v10
	v_add_co_u32_e32 v10, vcc, v10, v48
	v_add_u32_e32 v33, 6, v34
	v_addc_co_u32_e32 v11, vcc, 0, v49, vcc
	v_cmp_ne_u32_e32 vcc, 0, v33
                                        ; implicit-def: $vgpr27
	s_and_saveexec_b64 s[24:25], vcc
	s_xor_b64 s[24:25], exec, s[24:25]
; %bb.2009:                             ;   in Loop: Header=BB4_1481 Depth=2
	v_add_u32_e32 v18, 7, v34
	v_cmp_lt_u64_e32 vcc, s[48:49], v[10:11]
	v_cndmask_b32_e32 v27, v33, v18, vcc
	v_cndmask_b32_e64 v18, 0, 1, vcc
	v_lshrrev_b64 v[10:11], v18, v[10:11]
; %bb.2010:                             ;   in Loop: Header=BB4_1481 Depth=2
	s_andn2_saveexec_b64 s[24:25], s[24:25]
; %bb.2011:                             ;   in Loop: Header=BB4_1481 Depth=2
	v_bfe_u32 v27, v10, 23, 1
; %bb.2012:                             ;   in Loop: Header=BB4_1481 Depth=2
	s_or_b64 exec, exec, s[24:25]
	v_lshrrev_b64 v[10:11], 20, v[10:11]
	v_cmp_gt_i32_e32 vcc, 16, v27
	v_cndmask_b32_e32 v11, 0, v11, vcc
	v_cndmask_b32_e32 v10, 7, v10, vcc
	v_cmp_eq_u64_e64 s[24:25], 0, v[10:11]
	v_min_i32_e32 v11, 15, v27
	v_cmp_eq_u32_e32 vcc, 0, v27
	v_lshlrev_b32_e32 v11, 3, v11
	v_and_or_b32 v10, v10, 7, v11
	s_and_b64 s[24:25], vcc, s[24:25]
	v_cndmask_b32_e64 v10, v10, 0, s[24:25]
	v_or_b32_e32 v11, v10, v3
.LBB4_2013:                             ;   in Loop: Header=BB4_1481 Depth=2
	s_or_b64 exec, exec, s[64:65]
.LBB4_2014:                             ;   in Loop: Header=BB4_1481 Depth=2
	s_or_b64 exec, exec, s[62:63]
                                        ; implicit-def: $vgpr10
.LBB4_2015:                             ;   in Loop: Header=BB4_1481 Depth=2
	s_andn2_saveexec_b64 s[24:25], s[60:61]
; %bb.2016:                             ;   in Loop: Header=BB4_1481 Depth=2
	v_or_b32_sdwa v3, v10, s75 dst_sel:DWORD dst_unused:UNUSED_PAD src0_sel:BYTE_3 src1_sel:DWORD
	v_cmp_eq_u64_e32 vcc, 0, v[38:39]
	v_cndmask_b32_e32 v11, v3, v11, vcc
; %bb.2017:                             ;   in Loop: Header=BB4_1481 Depth=2
	s_or_b64 exec, exec, s[24:25]
	v_cmp_ne_u16_sdwa vcc, v2, v39 src0_sel:BYTE_0 src1_sel:DWORD
	v_mov_b32_e32 v3, 0
	v_mov_b32_e32 v10, 0
	s_and_saveexec_b64 s[24:25], vcc
	s_cbranch_execz .LBB4_2023
; %bb.2018:                             ;   in Loop: Header=BB4_1481 Depth=2
	v_cmp_ne_u16_sdwa vcc, v2, s76 src0_sel:BYTE_0 src1_sel:DWORD
	v_bfrev_b32_e32 v10, 1
	s_and_saveexec_b64 s[60:61], vcc
	s_cbranch_execz .LBB4_2022
; %bb.2019:                             ;   in Loop: Header=BB4_1481 Depth=2
	v_and_b32_e32 v27, 0x7f, v2
	v_cmp_ne_u32_e32 vcc, s75, v27
	v_mov_b32_e32 v10, 0x7f800001
	s_and_saveexec_b64 s[62:63], vcc
	s_cbranch_execz .LBB4_2021
; %bb.2020:                             ;   in Loop: Header=BB4_1481 Depth=2
	v_and_b32_e32 v10, 7, v2
	v_ffbh_u32_e32 v20, v10
	v_min_u32_e32 v20, 32, v20
	v_subrev_u32_e32 v33, 28, v20
	v_lshlrev_b64 v[34:35], v33, v[2:3]
	v_lshrrev_b32_e32 v18, 3, v27
	v_sub_u32_e32 v20, 29, v20
	v_and_b32_e32 v33, 7, v34
	v_cmp_gt_u32_e32 vcc, 8, v27
	v_cndmask_b32_e32 v18, v18, v20, vcc
	v_cndmask_b32_e32 v10, v10, v33, vcc
	v_lshlrev_b32_e32 v2, 24, v2
	v_bfrev_b32_e32 v20, 60
	v_lshlrev_b32_e32 v10, 20, v10
	v_and_b32_e32 v2, 0x80000000, v2
	v_lshl_add_u32 v18, v18, 23, v20
	v_or3_b32 v10, v2, v18, v10
.LBB4_2021:                             ;   in Loop: Header=BB4_1481 Depth=2
	s_or_b64 exec, exec, s[62:63]
.LBB4_2022:                             ;   in Loop: Header=BB4_1481 Depth=2
	s_or_b64 exec, exec, s[60:61]
.LBB4_2023:                             ;   in Loop: Header=BB4_1481 Depth=2
	s_or_b64 exec, exec, s[24:25]
	v_lshrrev_b32_e32 v2, 16, v12
	v_cmp_ne_u16_sdwa vcc, v2, v39 src0_sel:BYTE_0 src1_sel:DWORD
	s_and_saveexec_b64 s[24:25], vcc
	s_cbranch_execz .LBB4_2029
; %bb.2024:                             ;   in Loop: Header=BB4_1481 Depth=2
	v_cmp_ne_u16_sdwa vcc, v2, s76 src0_sel:BYTE_0 src1_sel:DWORD
	v_bfrev_b32_e32 v3, 1
	s_and_saveexec_b64 s[60:61], vcc
	s_cbranch_execz .LBB4_2028
; %bb.2025:                             ;   in Loop: Header=BB4_1481 Depth=2
	v_bfe_u32 v27, v12, 16, 7
	v_cmp_ne_u32_e32 vcc, s75, v27
	v_mov_b32_e32 v3, 0x7f800001
	s_and_saveexec_b64 s[62:63], vcc
	s_cbranch_execz .LBB4_2027
; %bb.2026:                             ;   in Loop: Header=BB4_1481 Depth=2
	v_and_b32_e32 v18, 7, v2
	v_ffbh_u32_e32 v3, v18
	v_min_u32_e32 v33, 32, v3
	v_subrev_u32_e32 v3, 28, v33
	v_lshlrev_b64 v[2:3], v3, v[2:3]
	v_lshrrev_b32_e32 v20, 3, v27
	v_sub_u32_e32 v3, 29, v33
	v_and_b32_e32 v2, 7, v2
	v_cmp_gt_u32_e32 vcc, 8, v27
	v_cndmask_b32_e32 v3, v20, v3, vcc
	v_cndmask_b32_e32 v2, v18, v2, vcc
	v_lshlrev_b32_e32 v18, 8, v12
	v_bfrev_b32_e32 v20, 60
	v_lshlrev_b32_e32 v2, 20, v2
	v_and_b32_e32 v18, 0x80000000, v18
	v_lshl_add_u32 v3, v3, 23, v20
	v_or3_b32 v3, v18, v3, v2
.LBB4_2027:                             ;   in Loop: Header=BB4_1481 Depth=2
	s_or_b64 exec, exec, s[62:63]
.LBB4_2028:                             ;   in Loop: Header=BB4_1481 Depth=2
	s_or_b64 exec, exec, s[60:61]
.LBB4_2029:                             ;   in Loop: Header=BB4_1481 Depth=2
	s_or_b64 exec, exec, s[24:25]
	v_add_f32_e32 v2, v10, v3
	v_and_b32_sdwa v10, v2, s76 dst_sel:DWORD dst_unused:UNUSED_PAD src0_sel:BYTE_3 src1_sel:DWORD
	v_and_b32_e32 v34, 0x7f800000, v2
	v_mov_b32_e32 v35, v39
	v_and_b32_e32 v38, 0x7fffff, v2
	v_or_b32_e32 v27, 0x7e, v10
	v_cmp_ne_u64_e32 vcc, s[42:43], v[34:35]
	s_and_saveexec_b64 s[24:25], vcc
	s_xor_b64 s[60:61], exec, s[24:25]
	s_cbranch_execz .LBB4_2039
; %bb.2030:                             ;   in Loop: Header=BB4_1481 Depth=2
	v_and_b32_e32 v34, 0x7fffffff, v2
	v_mov_b32_e32 v35, v39
	v_cmp_gt_u64_e32 vcc, s[44:45], v[34:35]
	s_and_saveexec_b64 s[62:63], vcc
	s_cbranch_execz .LBB4_2038
; %bb.2031:                             ;   in Loop: Header=BB4_1481 Depth=2
	v_cmp_ne_u32_e32 vcc, 0, v2
	v_mov_b32_e32 v27, 0
	s_and_saveexec_b64 s[64:65], vcc
	s_cbranch_execz .LBB4_2037
; %bb.2032:                             ;   in Loop: Header=BB4_1481 Depth=2
	v_bfe_u32 v2, v2, 23, 8
	v_sub_u32_e32 v18, 0x79, v2
	v_cmp_gt_u32_e32 vcc, s77, v2
	v_add_u32_e32 v3, 0xffffff81, v2
	v_cndmask_b32_e32 v18, 0, v18, vcc
	v_cmp_eq_u32_e32 vcc, 0, v2
	v_mov_b32_e32 v2, 0xffffff82
	v_cndmask_b32_e32 v27, v3, v2, vcc
	v_mov_b32_e32 v2, 0x78
	v_or_b32_e32 v20, 0x800000, v38
	v_cndmask_b32_e32 v18, v18, v2, vcc
	v_cndmask_b32_e32 v38, v20, v38, vcc
	v_add_u32_e32 v2, 20, v18
	v_lshlrev_b64 v[2:3], v2, -1
	v_add_u32_e32 v20, 19, v18
	v_lshrrev_b64 v[48:49], v18, v[38:39]
	v_not_b32_e32 v3, v3
	v_not_b32_e32 v2, v2
	v_lshlrev_b64 v[36:37], v20, 1
	v_lshrrev_b32_e32 v20, 23, v48
	v_and_b32_e32 v3, 0, v3
	v_and_b32_e32 v2, v38, v2
	v_add3_u32 v34, v18, v27, v20
	v_bfe_u32 v18, v48, 20, 1
	v_add_u32_e32 v18, -1, v18
	v_cmp_eq_u64_e32 vcc, v[2:3], v[36:37]
	v_cndmask_b32_e32 v2, 0, v18, vcc
	v_add_u32_e32 v2, v2, v48
	v_and_b32_e32 v2, 0xfffff, v2
	v_add_co_u32_e32 v2, vcc, v2, v48
	v_add_u32_e32 v33, 6, v34
	v_addc_co_u32_e32 v3, vcc, 0, v49, vcc
	v_cmp_ne_u32_e32 vcc, 0, v33
                                        ; implicit-def: $vgpr27
	s_and_saveexec_b64 s[24:25], vcc
	s_xor_b64 s[24:25], exec, s[24:25]
; %bb.2033:                             ;   in Loop: Header=BB4_1481 Depth=2
	v_add_u32_e32 v18, 7, v34
	v_cmp_lt_u64_e32 vcc, s[48:49], v[2:3]
	v_cndmask_b32_e32 v27, v33, v18, vcc
	v_cndmask_b32_e64 v18, 0, 1, vcc
	v_lshrrev_b64 v[2:3], v18, v[2:3]
; %bb.2034:                             ;   in Loop: Header=BB4_1481 Depth=2
	s_andn2_saveexec_b64 s[24:25], s[24:25]
; %bb.2035:                             ;   in Loop: Header=BB4_1481 Depth=2
	v_bfe_u32 v27, v2, 23, 1
; %bb.2036:                             ;   in Loop: Header=BB4_1481 Depth=2
	s_or_b64 exec, exec, s[24:25]
	v_lshrrev_b64 v[2:3], 20, v[2:3]
	v_cmp_gt_i32_e32 vcc, 16, v27
	v_cndmask_b32_e32 v3, 0, v3, vcc
	v_cndmask_b32_e32 v2, 7, v2, vcc
	v_cmp_eq_u64_e64 s[24:25], 0, v[2:3]
	v_min_i32_e32 v3, 15, v27
	v_cmp_eq_u32_e32 vcc, 0, v27
	v_lshlrev_b32_e32 v3, 3, v3
	v_and_or_b32 v2, v2, 7, v3
	s_and_b64 s[24:25], vcc, s[24:25]
	v_cndmask_b32_e64 v2, v2, 0, s[24:25]
	v_or_b32_e32 v27, v2, v10
.LBB4_2037:                             ;   in Loop: Header=BB4_1481 Depth=2
	s_or_b64 exec, exec, s[64:65]
.LBB4_2038:                             ;   in Loop: Header=BB4_1481 Depth=2
	s_or_b64 exec, exec, s[62:63]
                                        ; implicit-def: $vgpr2
.LBB4_2039:                             ;   in Loop: Header=BB4_1481 Depth=2
	s_andn2_saveexec_b64 s[24:25], s[60:61]
; %bb.2040:                             ;   in Loop: Header=BB4_1481 Depth=2
	v_or_b32_sdwa v2, v2, s75 dst_sel:DWORD dst_unused:UNUSED_PAD src0_sel:BYTE_3 src1_sel:DWORD
	v_cmp_eq_u64_e32 vcc, 0, v[38:39]
	v_cndmask_b32_e32 v27, v2, v27, vcc
; %bb.2041:                             ;   in Loop: Header=BB4_1481 Depth=2
	s_or_b64 exec, exec, s[24:25]
	v_lshlrev_b32_e32 v2, 8, v6
	v_and_b32_e32 v2, 0xff00, v2
	v_cmp_ne_u32_e32 vcc, 0, v2
	v_mov_b32_e32 v3, 0
	v_mov_b32_e32 v6, 0
	s_and_saveexec_b64 s[24:25], vcc
	s_cbranch_execz .LBB4_2047
; %bb.2042:                             ;   in Loop: Header=BB4_1481 Depth=2
	v_cmp_ne_u32_e32 vcc, s79, v2
	v_bfrev_b32_e32 v6, 1
	s_and_saveexec_b64 s[60:61], vcc
	s_cbranch_execz .LBB4_2046
; %bb.2043:                             ;   in Loop: Header=BB4_1481 Depth=2
	v_bfe_u32 v10, v2, 8, 7
	v_cmp_ne_u32_e32 vcc, s75, v10
	v_mov_b32_e32 v6, 0x7f800001
	s_and_saveexec_b64 s[62:63], vcc
	s_cbranch_execz .LBB4_2045
; %bb.2044:                             ;   in Loop: Header=BB4_1481 Depth=2
	v_lshrrev_b32_e32 v6, 8, v2
	v_and_b32_e32 v18, 7, v6
	v_ffbh_u32_e32 v33, v18
	v_min_u32_e32 v33, 32, v33
	v_subrev_u32_e32 v34, 28, v33
	v_lshlrev_b64 v[34:35], v34, v[6:7]
	v_lshrrev_b32_e32 v20, 3, v10
	v_sub_u32_e32 v6, 29, v33
	v_and_b32_e32 v33, 7, v34
	v_cmp_gt_u32_e32 vcc, 8, v10
	v_cndmask_b32_e32 v6, v20, v6, vcc
	v_cndmask_b32_e32 v10, v18, v33, vcc
	v_lshlrev_b32_e32 v2, 16, v2
	v_bfrev_b32_e32 v18, 60
	v_lshlrev_b32_e32 v10, 20, v10
	v_and_b32_e32 v2, 0x80000000, v2
	v_lshl_add_u32 v6, v6, 23, v18
	v_or3_b32 v6, v2, v6, v10
.LBB4_2045:                             ;   in Loop: Header=BB4_1481 Depth=2
	s_or_b64 exec, exec, s[62:63]
.LBB4_2046:                             ;   in Loop: Header=BB4_1481 Depth=2
	s_or_b64 exec, exec, s[60:61]
.LBB4_2047:                             ;   in Loop: Header=BB4_1481 Depth=2
	s_or_b64 exec, exec, s[24:25]
	v_cmp_lt_u32_e32 vcc, s47, v12
	s_and_saveexec_b64 s[24:25], vcc
	s_cbranch_execz .LBB4_2053
; %bb.2048:                             ;   in Loop: Header=BB4_1481 Depth=2
	v_lshrrev_b32_e32 v2, 24, v12
	v_cmp_ne_u32_e32 vcc, s76, v2
	v_bfrev_b32_e32 v3, 1
	s_and_saveexec_b64 s[60:61], vcc
	s_cbranch_execz .LBB4_2052
; %bb.2049:                             ;   in Loop: Header=BB4_1481 Depth=2
	v_bfe_u32 v10, v12, 24, 7
	v_cmp_ne_u32_e32 vcc, s75, v10
	v_mov_b32_e32 v3, 0x7f800001
	s_and_saveexec_b64 s[62:63], vcc
	s_cbranch_execz .LBB4_2051
; %bb.2050:                             ;   in Loop: Header=BB4_1481 Depth=2
	v_and_b32_e32 v3, 7, v2
	v_ffbh_u32_e32 v20, v3
	v_min_u32_e32 v20, 32, v20
	v_subrev_u32_e32 v33, 28, v20
	v_lshlrev_b64 v[34:35], v33, v[2:3]
	v_lshrrev_b32_e32 v18, 3, v10
	v_sub_u32_e32 v20, 29, v20
	v_and_b32_e32 v33, 7, v34
	v_cmp_gt_u32_e32 vcc, 8, v10
	v_cndmask_b32_e32 v10, v18, v20, vcc
	v_cndmask_b32_e32 v3, v3, v33, vcc
	v_lshlrev_b32_e32 v2, 24, v2
	v_bfrev_b32_e32 v18, 60
	v_lshlrev_b32_e32 v3, 20, v3
	v_and_b32_e32 v2, 0x80000000, v2
	v_lshl_add_u32 v10, v10, 23, v18
	v_or3_b32 v3, v2, v10, v3
.LBB4_2051:                             ;   in Loop: Header=BB4_1481 Depth=2
	s_or_b64 exec, exec, s[62:63]
.LBB4_2052:                             ;   in Loop: Header=BB4_1481 Depth=2
	s_or_b64 exec, exec, s[60:61]
.LBB4_2053:                             ;   in Loop: Header=BB4_1481 Depth=2
	s_or_b64 exec, exec, s[24:25]
	v_add_f32_e32 v2, v6, v3
	v_and_b32_sdwa v10, v2, s76 dst_sel:DWORD dst_unused:UNUSED_PAD src0_sel:BYTE_3 src1_sel:DWORD
	v_and_b32_e32 v34, 0x7f800000, v2
	v_mov_b32_e32 v35, v39
	v_and_b32_e32 v38, 0x7fffff, v2
	v_or_b32_e32 v6, 0x7e, v10
	v_cmp_ne_u64_e32 vcc, s[42:43], v[34:35]
	s_and_saveexec_b64 s[24:25], vcc
	s_xor_b64 s[60:61], exec, s[24:25]
	s_cbranch_execz .LBB4_2063
; %bb.2054:                             ;   in Loop: Header=BB4_1481 Depth=2
	v_and_b32_e32 v34, 0x7fffffff, v2
	v_mov_b32_e32 v35, v39
	v_cmp_gt_u64_e32 vcc, s[44:45], v[34:35]
	s_and_saveexec_b64 s[62:63], vcc
	s_cbranch_execz .LBB4_2062
; %bb.2055:                             ;   in Loop: Header=BB4_1481 Depth=2
	v_cmp_ne_u32_e32 vcc, 0, v2
	v_mov_b32_e32 v6, 0
	s_and_saveexec_b64 s[64:65], vcc
	s_cbranch_execz .LBB4_2061
; %bb.2056:                             ;   in Loop: Header=BB4_1481 Depth=2
	v_bfe_u32 v2, v2, 23, 8
	v_sub_u32_e32 v6, 0x79, v2
	v_cmp_gt_u32_e32 vcc, s77, v2
	v_add_u32_e32 v3, 0xffffff81, v2
	v_cndmask_b32_e32 v6, 0, v6, vcc
	v_cmp_eq_u32_e32 vcc, 0, v2
	v_mov_b32_e32 v2, 0xffffff82
	v_cndmask_b32_e32 v20, v3, v2, vcc
	v_mov_b32_e32 v2, 0x78
	v_or_b32_e32 v18, 0x800000, v38
	v_cndmask_b32_e32 v6, v6, v2, vcc
	v_cndmask_b32_e32 v38, v18, v38, vcc
	v_add_u32_e32 v2, 20, v6
	v_lshlrev_b64 v[2:3], v2, -1
	v_add_u32_e32 v18, 19, v6
	v_lshrrev_b64 v[48:49], v6, v[38:39]
	v_not_b32_e32 v3, v3
	v_not_b32_e32 v2, v2
	v_lshlrev_b64 v[36:37], v18, 1
	v_lshrrev_b32_e32 v18, 23, v48
	v_and_b32_e32 v3, 0, v3
	v_and_b32_e32 v2, v38, v2
	v_add3_u32 v34, v6, v20, v18
	v_bfe_u32 v6, v48, 20, 1
	v_add_u32_e32 v6, -1, v6
	v_cmp_eq_u64_e32 vcc, v[2:3], v[36:37]
	v_cndmask_b32_e32 v2, 0, v6, vcc
	v_add_u32_e32 v2, v2, v48
	v_and_b32_e32 v2, 0xfffff, v2
	v_add_co_u32_e32 v2, vcc, v2, v48
	v_add_u32_e32 v33, 6, v34
	v_addc_co_u32_e32 v3, vcc, 0, v49, vcc
	v_cmp_ne_u32_e32 vcc, 0, v33
                                        ; implicit-def: $vgpr6
	s_and_saveexec_b64 s[24:25], vcc
	s_xor_b64 s[24:25], exec, s[24:25]
; %bb.2057:                             ;   in Loop: Header=BB4_1481 Depth=2
	v_cmp_lt_u64_e32 vcc, s[48:49], v[2:3]
	v_add_u32_e32 v6, 7, v34
	v_cndmask_b32_e64 v18, 0, 1, vcc
	v_cndmask_b32_e32 v6, v33, v6, vcc
	v_lshrrev_b64 v[2:3], v18, v[2:3]
; %bb.2058:                             ;   in Loop: Header=BB4_1481 Depth=2
	s_andn2_saveexec_b64 s[24:25], s[24:25]
; %bb.2059:                             ;   in Loop: Header=BB4_1481 Depth=2
	v_bfe_u32 v6, v2, 23, 1
; %bb.2060:                             ;   in Loop: Header=BB4_1481 Depth=2
	s_or_b64 exec, exec, s[24:25]
	v_lshrrev_b64 v[2:3], 20, v[2:3]
	v_cmp_gt_i32_e32 vcc, 16, v6
	v_cndmask_b32_e32 v3, 0, v3, vcc
	v_cndmask_b32_e32 v2, 7, v2, vcc
	v_cmp_eq_u64_e64 s[24:25], 0, v[2:3]
	v_min_i32_e32 v3, 15, v6
	v_cmp_eq_u32_e32 vcc, 0, v6
	v_lshlrev_b32_e32 v3, 3, v3
	v_and_or_b32 v2, v2, 7, v3
	s_and_b64 s[24:25], vcc, s[24:25]
	v_cndmask_b32_e64 v2, v2, 0, s[24:25]
	v_or_b32_e32 v6, v2, v10
.LBB4_2061:                             ;   in Loop: Header=BB4_1481 Depth=2
	s_or_b64 exec, exec, s[64:65]
.LBB4_2062:                             ;   in Loop: Header=BB4_1481 Depth=2
	s_or_b64 exec, exec, s[62:63]
                                        ; implicit-def: $vgpr2
.LBB4_2063:                             ;   in Loop: Header=BB4_1481 Depth=2
	s_andn2_saveexec_b64 s[24:25], s[60:61]
; %bb.2064:                             ;   in Loop: Header=BB4_1481 Depth=2
	v_or_b32_sdwa v2, v2, s75 dst_sel:DWORD dst_unused:UNUSED_PAD src0_sel:BYTE_3 src1_sel:DWORD
	v_cmp_eq_u64_e32 vcc, 0, v[38:39]
	v_cndmask_b32_e32 v6, v2, v6, vcc
; %bb.2065:                             ;   in Loop: Header=BB4_1481 Depth=2
	s_or_b64 exec, exec, s[24:25]
	v_lshlrev_b32_e32 v9, 8, v9
	v_lshlrev_b32_e32 v2, 24, v31
	v_perm_b32 v3, v23, v5, s80
	v_or3_b32 v38, v3, v2, v9
	v_cmp_ne_u16_sdwa vcc, v5, v39 src0_sel:BYTE_0 src1_sel:DWORD
	v_mov_b32_e32 v3, 0
	v_mov_b32_e32 v2, 0
	s_and_saveexec_b64 s[24:25], vcc
	s_cbranch_execz .LBB4_2071
; %bb.2066:                             ;   in Loop: Header=BB4_1481 Depth=2
	v_cmp_ne_u16_sdwa vcc, v5, s76 src0_sel:BYTE_0 src1_sel:DWORD
	v_bfrev_b32_e32 v2, 1
	s_and_saveexec_b64 s[60:61], vcc
	s_cbranch_execz .LBB4_2070
; %bb.2067:                             ;   in Loop: Header=BB4_1481 Depth=2
	v_and_b32_e32 v10, 0x7f, v5
	v_cmp_ne_u32_e32 vcc, s75, v10
	v_mov_b32_e32 v2, 0x7f800001
	s_and_saveexec_b64 s[62:63], vcc
	s_cbranch_execz .LBB4_2069
; %bb.2068:                             ;   in Loop: Header=BB4_1481 Depth=2
	v_and_b32_e32 v2, 7, v5
	v_ffbh_u32_e32 v2, v2
	v_min_u32_e32 v2, 32, v2
	v_lshrrev_b32_e32 v5, 3, v10
	v_subrev_u32_e32 v18, 28, v2
	v_sub_u32_e32 v2, 29, v2
	v_cmp_gt_u32_e32 vcc, 8, v10
	v_cndmask_b32_e32 v2, v5, v2, vcc
	v_cndmask_b32_e32 v5, 0, v18, vcc
	v_lshlrev_b64 v[34:35], v5, v[38:39]
	v_lshlrev_b32_e32 v5, 20, v34
	v_lshlrev_b32_e32 v10, 24, v38
	v_bfrev_b32_e32 v18, 60
	v_and_b32_e32 v5, 0x700000, v5
	v_and_b32_e32 v10, 0x80000000, v10
	v_lshl_add_u32 v2, v2, 23, v18
	v_or3_b32 v2, v10, v2, v5
.LBB4_2069:                             ;   in Loop: Header=BB4_1481 Depth=2
	s_or_b64 exec, exec, s[62:63]
.LBB4_2070:                             ;   in Loop: Header=BB4_1481 Depth=2
	s_or_b64 exec, exec, s[60:61]
.LBB4_2071:                             ;   in Loop: Header=BB4_1481 Depth=2
	s_or_b64 exec, exec, s[24:25]
	v_cmp_ne_u16_sdwa vcc, v13, v39 src0_sel:BYTE_0 src1_sel:DWORD
	s_and_saveexec_b64 s[24:25], vcc
	s_cbranch_execz .LBB4_2077
; %bb.2072:                             ;   in Loop: Header=BB4_1481 Depth=2
	v_cmp_ne_u16_sdwa vcc, v13, s76 src0_sel:BYTE_0 src1_sel:DWORD
	v_bfrev_b32_e32 v3, 1
	s_and_saveexec_b64 s[60:61], vcc
	s_cbranch_execz .LBB4_2076
; %bb.2073:                             ;   in Loop: Header=BB4_1481 Depth=2
	v_and_b32_e32 v5, 0x7f, v13
	v_cmp_ne_u32_e32 vcc, s75, v5
	v_mov_b32_e32 v3, 0x7f800001
	s_and_saveexec_b64 s[62:63], vcc
	s_cbranch_execz .LBB4_2075
; %bb.2074:                             ;   in Loop: Header=BB4_1481 Depth=2
	v_and_b32_e32 v3, 7, v13
	v_ffbh_u32_e32 v3, v3
	v_min_u32_e32 v3, 32, v3
	v_subrev_u32_e32 v18, 28, v3
	v_cmp_gt_u32_e32 vcc, 8, v5
	v_mov_b32_e32 v34, v13
	v_mov_b32_e32 v35, v39
	v_lshrrev_b32_e32 v10, 3, v5
	v_cndmask_b32_e32 v5, 0, v18, vcc
	v_sub_u32_e32 v3, 29, v3
	v_lshlrev_b64 v[36:37], v5, v[34:35]
	v_cndmask_b32_e32 v3, v10, v3, vcc
	v_lshlrev_b32_e32 v5, 20, v36
	v_lshlrev_b32_e32 v10, 24, v34
	v_bfrev_b32_e32 v18, 60
	v_and_b32_e32 v5, 0x700000, v5
	v_and_b32_e32 v10, 0x80000000, v10
	v_lshl_add_u32 v3, v3, 23, v18
	v_or3_b32 v3, v10, v3, v5
.LBB4_2075:                             ;   in Loop: Header=BB4_1481 Depth=2
	s_or_b64 exec, exec, s[62:63]
.LBB4_2076:                             ;   in Loop: Header=BB4_1481 Depth=2
	s_or_b64 exec, exec, s[60:61]
.LBB4_2077:                             ;   in Loop: Header=BB4_1481 Depth=2
	s_or_b64 exec, exec, s[24:25]
	v_add_f32_e32 v23, v2, v3
	v_and_b32_sdwa v10, v23, s76 dst_sel:DWORD dst_unused:UNUSED_PAD src0_sel:BYTE_3 src1_sel:DWORD
	v_and_b32_e32 v34, 0x7f800000, v23
	v_mov_b32_e32 v35, v39
	v_and_b32_e32 v2, 0x7fffff, v23
	v_mov_b32_e32 v3, v39
	v_or_b32_e32 v5, 0x7e, v10
	v_cmp_ne_u64_e32 vcc, s[42:43], v[34:35]
	s_and_saveexec_b64 s[24:25], vcc
	s_xor_b64 s[60:61], exec, s[24:25]
	s_cbranch_execz .LBB4_2087
; %bb.2078:                             ;   in Loop: Header=BB4_1481 Depth=2
	v_and_b32_e32 v34, 0x7fffffff, v23
	v_mov_b32_e32 v35, v39
	v_cmp_gt_u64_e32 vcc, s[44:45], v[34:35]
	s_and_saveexec_b64 s[62:63], vcc
	s_cbranch_execz .LBB4_2086
; %bb.2079:                             ;   in Loop: Header=BB4_1481 Depth=2
	v_cmp_ne_u32_e32 vcc, 0, v23
	v_mov_b32_e32 v5, 0
	s_and_saveexec_b64 s[64:65], vcc
	s_cbranch_execz .LBB4_2085
; %bb.2080:                             ;   in Loop: Header=BB4_1481 Depth=2
	v_bfe_u32 v5, v23, 23, 8
	v_sub_u32_e32 v20, 0x79, v5
	v_cmp_gt_u32_e32 vcc, s77, v5
	v_add_u32_e32 v18, 0xffffff81, v5
	v_cndmask_b32_e32 v20, 0, v20, vcc
	v_cmp_eq_u32_e32 vcc, 0, v5
	v_mov_b32_e32 v5, 0xffffff82
	v_cndmask_b32_e32 v5, v18, v5, vcc
	v_mov_b32_e32 v18, 0x78
	v_cndmask_b32_e32 v18, v20, v18, vcc
	v_add_u32_e32 v20, 20, v18
	v_or_b32_e32 v23, 0x800000, v2
	v_lshlrev_b64 v[34:35], v20, -1
	v_cndmask_b32_e32 v2, v23, v2, vcc
	v_not_b32_e32 v20, v35
	v_not_b32_e32 v23, v34
	v_and_b32_e32 v35, 0, v20
	v_and_b32_e32 v34, v2, v23
	v_add_u32_e32 v20, 19, v18
	v_lshrrev_b64 v[2:3], v18, v[2:3]
	v_lshlrev_b64 v[36:37], v20, 1
	v_lshrrev_b32_e32 v20, 23, v2
	v_add3_u32 v31, v18, v5, v20
	v_bfe_u32 v5, v2, 20, 1
	v_add_u32_e32 v5, -1, v5
	v_cmp_eq_u64_e32 vcc, v[34:35], v[36:37]
	v_cndmask_b32_e32 v5, 0, v5, vcc
	v_add_u32_e32 v5, v5, v2
	v_and_b32_e32 v5, 0xfffff, v5
	v_add_co_u32_e32 v2, vcc, v5, v2
	v_add_u32_e32 v23, 6, v31
	v_addc_co_u32_e32 v3, vcc, 0, v3, vcc
	v_cmp_ne_u32_e32 vcc, 0, v23
                                        ; implicit-def: $vgpr5
	s_and_saveexec_b64 s[24:25], vcc
	s_xor_b64 s[24:25], exec, s[24:25]
; %bb.2081:                             ;   in Loop: Header=BB4_1481 Depth=2
	v_cmp_lt_u64_e32 vcc, s[48:49], v[2:3]
	v_add_u32_e32 v5, 7, v31
	v_cndmask_b32_e64 v18, 0, 1, vcc
	v_cndmask_b32_e32 v5, v23, v5, vcc
	v_lshrrev_b64 v[2:3], v18, v[2:3]
; %bb.2082:                             ;   in Loop: Header=BB4_1481 Depth=2
	s_andn2_saveexec_b64 s[24:25], s[24:25]
; %bb.2083:                             ;   in Loop: Header=BB4_1481 Depth=2
	v_bfe_u32 v5, v2, 23, 1
; %bb.2084:                             ;   in Loop: Header=BB4_1481 Depth=2
	s_or_b64 exec, exec, s[24:25]
	v_lshrrev_b64 v[2:3], 20, v[2:3]
	v_cmp_gt_i32_e32 vcc, 16, v5
	v_cndmask_b32_e32 v3, 0, v3, vcc
	v_cndmask_b32_e32 v2, 7, v2, vcc
	v_cmp_eq_u64_e64 s[24:25], 0, v[2:3]
	v_min_i32_e32 v3, 15, v5
	v_cmp_eq_u32_e32 vcc, 0, v5
	v_lshlrev_b32_e32 v3, 3, v3
	v_and_or_b32 v2, v2, 7, v3
	s_and_b64 s[24:25], vcc, s[24:25]
	v_cndmask_b32_e64 v2, v2, 0, s[24:25]
	v_or_b32_e32 v5, v2, v10
.LBB4_2085:                             ;   in Loop: Header=BB4_1481 Depth=2
	s_or_b64 exec, exec, s[64:65]
.LBB4_2086:                             ;   in Loop: Header=BB4_1481 Depth=2
	s_or_b64 exec, exec, s[62:63]
                                        ; implicit-def: $vgpr23
                                        ; implicit-def: $vgpr2_vgpr3
.LBB4_2087:                             ;   in Loop: Header=BB4_1481 Depth=2
	s_andn2_saveexec_b64 s[24:25], s[60:61]
; %bb.2088:                             ;   in Loop: Header=BB4_1481 Depth=2
	v_or_b32_sdwa v10, v23, s75 dst_sel:DWORD dst_unused:UNUSED_PAD src0_sel:BYTE_3 src1_sel:DWORD
	v_cmp_eq_u64_e32 vcc, 0, v[2:3]
	v_cndmask_b32_e32 v5, v10, v5, vcc
; %bb.2089:                             ;   in Loop: Header=BB4_1481 Depth=2
	s_or_b64 exec, exec, s[24:25]
	v_lshrrev_b16_e32 v2, 8, v9
	v_cmp_ne_u16_e32 vcc, 0, v2
	v_mov_b32_e32 v3, 0
	v_mov_b32_e32 v23, 0
	s_and_saveexec_b64 s[24:25], vcc
	s_cbranch_execz .LBB4_2095
; %bb.2090:                             ;   in Loop: Header=BB4_1481 Depth=2
	v_cmp_ne_u16_e32 vcc, s76, v2
	v_bfrev_b32_e32 v23, 1
	s_and_saveexec_b64 s[60:61], vcc
	s_cbranch_execz .LBB4_2094
; %bb.2091:                             ;   in Loop: Header=BB4_1481 Depth=2
	v_and_b32_e32 v10, 0x7f, v2
	v_cmp_ne_u32_e32 vcc, s75, v10
	v_mov_b32_e32 v23, 0x7f800001
	s_and_saveexec_b64 s[62:63], vcc
	s_cbranch_execz .LBB4_2093
; %bb.2092:                             ;   in Loop: Header=BB4_1481 Depth=2
	v_and_b32_e32 v18, 7, v2
	v_ffbh_u32_e32 v23, v18
	v_min_u32_e32 v23, 32, v23
	v_subrev_u32_e32 v31, 28, v23
	v_lshlrev_b64 v[34:35], v31, v[2:3]
	v_lshrrev_b32_e32 v20, 3, v10
	v_sub_u32_e32 v2, 29, v23
	v_and_b32_e32 v23, 7, v34
	v_cmp_gt_u32_e32 vcc, 8, v10
	v_cndmask_b32_e32 v2, v20, v2, vcc
	v_cndmask_b32_e32 v10, v18, v23, vcc
	v_lshlrev_b32_e32 v9, 16, v9
	v_bfrev_b32_e32 v18, 60
	v_lshlrev_b32_e32 v10, 20, v10
	v_and_b32_e32 v9, 0x80000000, v9
	v_lshl_add_u32 v2, v2, 23, v18
	v_or3_b32 v23, v9, v2, v10
.LBB4_2093:                             ;   in Loop: Header=BB4_1481 Depth=2
	s_or_b64 exec, exec, s[62:63]
.LBB4_2094:                             ;   in Loop: Header=BB4_1481 Depth=2
	s_or_b64 exec, exec, s[60:61]
.LBB4_2095:                             ;   in Loop: Header=BB4_1481 Depth=2
	s_or_b64 exec, exec, s[24:25]
	v_mov_b32_e32 v2, v13
	v_lshrrev_b16_e32 v10, 8, v2
	v_cmp_ne_u16_e32 vcc, 0, v10
	s_and_saveexec_b64 s[24:25], vcc
	s_cbranch_execz .LBB4_2101
; %bb.2096:                             ;   in Loop: Header=BB4_1481 Depth=2
	v_cmp_ne_u16_e32 vcc, s76, v10
	v_bfrev_b32_e32 v3, 1
	s_and_saveexec_b64 s[60:61], vcc
	s_cbranch_execz .LBB4_2100
; %bb.2097:                             ;   in Loop: Header=BB4_1481 Depth=2
	v_and_b32_e32 v9, 0x7f, v10
	v_cmp_ne_u32_e32 vcc, s75, v9
	v_mov_b32_e32 v3, 0x7f800001
	s_and_saveexec_b64 s[62:63], vcc
	s_cbranch_execz .LBB4_2099
; %bb.2098:                             ;   in Loop: Header=BB4_1481 Depth=2
	v_and_b32_e32 v3, 7, v10
	v_ffbh_u32_e32 v20, v3
	v_min_u32_e32 v20, 32, v20
	v_subrev_u32_e32 v31, 28, v20
	v_lshlrev_b64 v[34:35], v31, v[10:11]
	v_lshrrev_b32_e32 v18, 3, v9
	v_sub_u32_e32 v10, 29, v20
	v_and_b32_e32 v20, 7, v34
	v_cmp_gt_u32_e32 vcc, 8, v9
	v_cndmask_b32_e32 v9, v18, v10, vcc
	v_cndmask_b32_e32 v3, v3, v20, vcc
	v_lshlrev_b32_e32 v2, 16, v2
	v_bfrev_b32_e32 v10, 60
	v_lshlrev_b32_e32 v3, 20, v3
	v_and_b32_e32 v2, 0x80000000, v2
	v_lshl_add_u32 v9, v9, 23, v10
	v_or3_b32 v3, v2, v9, v3
.LBB4_2099:                             ;   in Loop: Header=BB4_1481 Depth=2
	s_or_b64 exec, exec, s[62:63]
.LBB4_2100:                             ;   in Loop: Header=BB4_1481 Depth=2
	s_or_b64 exec, exec, s[60:61]
.LBB4_2101:                             ;   in Loop: Header=BB4_1481 Depth=2
	s_or_b64 exec, exec, s[24:25]
	v_add_f32_e32 v23, v23, v3
	v_and_b32_sdwa v10, v23, s76 dst_sel:DWORD dst_unused:UNUSED_PAD src0_sel:BYTE_3 src1_sel:DWORD
	v_and_b32_e32 v34, 0x7f800000, v23
	v_mov_b32_e32 v35, v39
	v_and_b32_e32 v2, 0x7fffff, v23
	v_mov_b32_e32 v3, v39
	v_or_b32_e32 v9, 0x7e, v10
	v_cmp_ne_u64_e32 vcc, s[42:43], v[34:35]
	s_and_saveexec_b64 s[24:25], vcc
	s_xor_b64 s[60:61], exec, s[24:25]
	s_cbranch_execz .LBB4_2111
; %bb.2102:                             ;   in Loop: Header=BB4_1481 Depth=2
	v_and_b32_e32 v34, 0x7fffffff, v23
	v_mov_b32_e32 v35, v39
	v_cmp_gt_u64_e32 vcc, s[44:45], v[34:35]
	s_and_saveexec_b64 s[62:63], vcc
	s_cbranch_execz .LBB4_2110
; %bb.2103:                             ;   in Loop: Header=BB4_1481 Depth=2
	v_cmp_ne_u32_e32 vcc, 0, v23
	v_mov_b32_e32 v9, 0
	s_and_saveexec_b64 s[64:65], vcc
	s_cbranch_execz .LBB4_2109
; %bb.2104:                             ;   in Loop: Header=BB4_1481 Depth=2
	v_bfe_u32 v9, v23, 23, 8
	v_sub_u32_e32 v20, 0x79, v9
	v_cmp_gt_u32_e32 vcc, s77, v9
	v_add_u32_e32 v18, 0xffffff81, v9
	v_cndmask_b32_e32 v20, 0, v20, vcc
	v_cmp_eq_u32_e32 vcc, 0, v9
	v_mov_b32_e32 v9, 0xffffff82
	v_cndmask_b32_e32 v9, v18, v9, vcc
	v_mov_b32_e32 v18, 0x78
	v_cndmask_b32_e32 v18, v20, v18, vcc
	v_add_u32_e32 v20, 20, v18
	v_or_b32_e32 v23, 0x800000, v2
	v_lshlrev_b64 v[34:35], v20, -1
	v_cndmask_b32_e32 v2, v23, v2, vcc
	v_not_b32_e32 v20, v35
	v_not_b32_e32 v23, v34
	v_and_b32_e32 v35, 0, v20
	v_and_b32_e32 v34, v2, v23
	v_add_u32_e32 v20, 19, v18
	v_lshrrev_b64 v[2:3], v18, v[2:3]
	v_lshlrev_b64 v[36:37], v20, 1
	v_lshrrev_b32_e32 v20, 23, v2
	v_add3_u32 v31, v18, v9, v20
	v_bfe_u32 v9, v2, 20, 1
	v_add_u32_e32 v9, -1, v9
	v_cmp_eq_u64_e32 vcc, v[34:35], v[36:37]
	v_cndmask_b32_e32 v9, 0, v9, vcc
	v_add_u32_e32 v9, v9, v2
	v_and_b32_e32 v9, 0xfffff, v9
	v_add_co_u32_e32 v2, vcc, v9, v2
	v_add_u32_e32 v23, 6, v31
	v_addc_co_u32_e32 v3, vcc, 0, v3, vcc
	v_cmp_ne_u32_e32 vcc, 0, v23
                                        ; implicit-def: $vgpr9
	s_and_saveexec_b64 s[24:25], vcc
	s_xor_b64 s[24:25], exec, s[24:25]
; %bb.2105:                             ;   in Loop: Header=BB4_1481 Depth=2
	v_cmp_lt_u64_e32 vcc, s[48:49], v[2:3]
	v_add_u32_e32 v9, 7, v31
	v_cndmask_b32_e64 v18, 0, 1, vcc
	v_cndmask_b32_e32 v9, v23, v9, vcc
	v_lshrrev_b64 v[2:3], v18, v[2:3]
; %bb.2106:                             ;   in Loop: Header=BB4_1481 Depth=2
	s_andn2_saveexec_b64 s[24:25], s[24:25]
; %bb.2107:                             ;   in Loop: Header=BB4_1481 Depth=2
	v_bfe_u32 v9, v2, 23, 1
; %bb.2108:                             ;   in Loop: Header=BB4_1481 Depth=2
	s_or_b64 exec, exec, s[24:25]
	v_lshrrev_b64 v[2:3], 20, v[2:3]
	v_cmp_gt_i32_e32 vcc, 16, v9
	v_cndmask_b32_e32 v3, 0, v3, vcc
	v_cndmask_b32_e32 v2, 7, v2, vcc
	v_cmp_eq_u64_e64 s[24:25], 0, v[2:3]
	v_min_i32_e32 v3, 15, v9
	v_cmp_eq_u32_e32 vcc, 0, v9
	v_lshlrev_b32_e32 v3, 3, v3
	v_and_or_b32 v2, v2, 7, v3
	s_and_b64 s[24:25], vcc, s[24:25]
	v_cndmask_b32_e64 v2, v2, 0, s[24:25]
	v_or_b32_e32 v9, v2, v10
.LBB4_2109:                             ;   in Loop: Header=BB4_1481 Depth=2
	s_or_b64 exec, exec, s[64:65]
.LBB4_2110:                             ;   in Loop: Header=BB4_1481 Depth=2
	s_or_b64 exec, exec, s[62:63]
                                        ; implicit-def: $vgpr23
                                        ; implicit-def: $vgpr2_vgpr3
.LBB4_2111:                             ;   in Loop: Header=BB4_1481 Depth=2
	s_andn2_saveexec_b64 s[24:25], s[60:61]
; %bb.2112:                             ;   in Loop: Header=BB4_1481 Depth=2
	v_or_b32_sdwa v10, v23, s75 dst_sel:DWORD dst_unused:UNUSED_PAD src0_sel:BYTE_3 src1_sel:DWORD
	v_cmp_eq_u64_e32 vcc, 0, v[2:3]
	v_cndmask_b32_e32 v9, v10, v9, vcc
; %bb.2113:                             ;   in Loop: Header=BB4_1481 Depth=2
	s_or_b64 exec, exec, s[24:25]
	v_lshrrev_b32_e32 v2, 16, v38
	v_cmp_ne_u16_sdwa vcc, v2, v39 src0_sel:BYTE_0 src1_sel:DWORD
	v_mov_b32_e32 v3, 0
	v_mov_b32_e32 v10, 0
	s_and_saveexec_b64 s[24:25], vcc
	s_cbranch_execz .LBB4_2119
; %bb.2114:                             ;   in Loop: Header=BB4_1481 Depth=2
	v_cmp_ne_u16_sdwa vcc, v2, s76 src0_sel:BYTE_0 src1_sel:DWORD
	v_bfrev_b32_e32 v10, 1
	s_and_saveexec_b64 s[60:61], vcc
	s_cbranch_execz .LBB4_2118
; %bb.2115:                             ;   in Loop: Header=BB4_1481 Depth=2
	v_bfe_u32 v23, v38, 16, 7
	v_cmp_ne_u32_e32 vcc, s75, v23
	v_mov_b32_e32 v10, 0x7f800001
	s_and_saveexec_b64 s[62:63], vcc
	s_cbranch_execz .LBB4_2117
; %bb.2116:                             ;   in Loop: Header=BB4_1481 Depth=2
	v_and_b32_e32 v10, 7, v2
	v_ffbh_u32_e32 v20, v10
	v_min_u32_e32 v20, 32, v20
	v_subrev_u32_e32 v31, 28, v20
	v_lshlrev_b64 v[34:35], v31, v[2:3]
	v_lshrrev_b32_e32 v18, 3, v23
	v_sub_u32_e32 v20, 29, v20
	v_and_b32_e32 v31, 7, v34
	v_cmp_gt_u32_e32 vcc, 8, v23
	v_cndmask_b32_e32 v18, v18, v20, vcc
	v_cndmask_b32_e32 v10, v10, v31, vcc
	v_lshlrev_b32_e32 v2, 24, v2
	v_bfrev_b32_e32 v20, 60
	v_lshlrev_b32_e32 v10, 20, v10
	v_and_b32_e32 v2, 0x80000000, v2
	v_lshl_add_u32 v18, v18, 23, v20
	v_or3_b32 v10, v2, v18, v10
.LBB4_2117:                             ;   in Loop: Header=BB4_1481 Depth=2
	s_or_b64 exec, exec, s[62:63]
.LBB4_2118:                             ;   in Loop: Header=BB4_1481 Depth=2
	s_or_b64 exec, exec, s[60:61]
.LBB4_2119:                             ;   in Loop: Header=BB4_1481 Depth=2
	s_or_b64 exec, exec, s[24:25]
	v_lshrrev_b32_e32 v2, 16, v13
	v_cmp_ne_u16_sdwa vcc, v2, v39 src0_sel:BYTE_0 src1_sel:DWORD
	s_and_saveexec_b64 s[24:25], vcc
	s_cbranch_execz .LBB4_2125
; %bb.2120:                             ;   in Loop: Header=BB4_1481 Depth=2
	v_cmp_ne_u16_sdwa vcc, v2, s76 src0_sel:BYTE_0 src1_sel:DWORD
	v_bfrev_b32_e32 v3, 1
	s_and_saveexec_b64 s[60:61], vcc
	s_cbranch_execz .LBB4_2124
; %bb.2121:                             ;   in Loop: Header=BB4_1481 Depth=2
	v_bfe_u32 v23, v13, 16, 7
	v_cmp_ne_u32_e32 vcc, s75, v23
	v_mov_b32_e32 v3, 0x7f800001
	s_and_saveexec_b64 s[62:63], vcc
	s_cbranch_execz .LBB4_2123
; %bb.2122:                             ;   in Loop: Header=BB4_1481 Depth=2
	v_and_b32_e32 v18, 7, v2
	v_ffbh_u32_e32 v3, v18
	v_min_u32_e32 v31, 32, v3
	v_subrev_u32_e32 v3, 28, v31
	v_lshlrev_b64 v[2:3], v3, v[2:3]
	v_lshrrev_b32_e32 v20, 3, v23
	v_sub_u32_e32 v3, 29, v31
	v_and_b32_e32 v2, 7, v2
	v_cmp_gt_u32_e32 vcc, 8, v23
	v_cndmask_b32_e32 v3, v20, v3, vcc
	v_cndmask_b32_e32 v2, v18, v2, vcc
	v_lshlrev_b32_e32 v18, 8, v13
	v_bfrev_b32_e32 v20, 60
	v_lshlrev_b32_e32 v2, 20, v2
	v_and_b32_e32 v18, 0x80000000, v18
	v_lshl_add_u32 v3, v3, 23, v20
	v_or3_b32 v3, v18, v3, v2
.LBB4_2123:                             ;   in Loop: Header=BB4_1481 Depth=2
	s_or_b64 exec, exec, s[62:63]
.LBB4_2124:                             ;   in Loop: Header=BB4_1481 Depth=2
	s_or_b64 exec, exec, s[60:61]
.LBB4_2125:                             ;   in Loop: Header=BB4_1481 Depth=2
	s_or_b64 exec, exec, s[24:25]
	v_add_f32_e32 v31, v10, v3
	v_and_b32_sdwa v23, v31, s76 dst_sel:DWORD dst_unused:UNUSED_PAD src0_sel:BYTE_3 src1_sel:DWORD
	v_and_b32_e32 v34, 0x7f800000, v31
	v_mov_b32_e32 v35, v39
	v_and_b32_e32 v2, 0x7fffff, v31
	v_mov_b32_e32 v3, v39
	v_or_b32_e32 v10, 0x7e, v23
	v_cmp_ne_u64_e32 vcc, s[42:43], v[34:35]
	s_and_saveexec_b64 s[24:25], vcc
	s_xor_b64 s[60:61], exec, s[24:25]
	s_cbranch_execz .LBB4_2135
; %bb.2126:                             ;   in Loop: Header=BB4_1481 Depth=2
	v_and_b32_e32 v34, 0x7fffffff, v31
	v_mov_b32_e32 v35, v39
	v_cmp_gt_u64_e32 vcc, s[44:45], v[34:35]
	s_and_saveexec_b64 s[62:63], vcc
	s_cbranch_execz .LBB4_2134
; %bb.2127:                             ;   in Loop: Header=BB4_1481 Depth=2
	v_cmp_ne_u32_e32 vcc, 0, v31
	v_mov_b32_e32 v10, 0
	s_and_saveexec_b64 s[64:65], vcc
	s_cbranch_execz .LBB4_2133
; %bb.2128:                             ;   in Loop: Header=BB4_1481 Depth=2
	v_bfe_u32 v10, v31, 23, 8
	v_sub_u32_e32 v20, 0x79, v10
	v_cmp_gt_u32_e32 vcc, s77, v10
	v_add_u32_e32 v18, 0xffffff81, v10
	v_cndmask_b32_e32 v20, 0, v20, vcc
	v_cmp_eq_u32_e32 vcc, 0, v10
	v_mov_b32_e32 v10, 0xffffff82
	v_cndmask_b32_e32 v10, v18, v10, vcc
	v_mov_b32_e32 v18, 0x78
	v_cndmask_b32_e32 v18, v20, v18, vcc
	v_add_u32_e32 v20, 20, v18
	v_or_b32_e32 v31, 0x800000, v2
	v_lshlrev_b64 v[34:35], v20, -1
	v_cndmask_b32_e32 v2, v31, v2, vcc
	v_not_b32_e32 v20, v35
	v_not_b32_e32 v31, v34
	v_and_b32_e32 v35, 0, v20
	v_and_b32_e32 v34, v2, v31
	v_add_u32_e32 v20, 19, v18
	v_lshrrev_b64 v[2:3], v18, v[2:3]
	v_lshlrev_b64 v[36:37], v20, 1
	v_lshrrev_b32_e32 v20, 23, v2
	v_add3_u32 v33, v18, v10, v20
	v_bfe_u32 v10, v2, 20, 1
	v_add_u32_e32 v10, -1, v10
	v_cmp_eq_u64_e32 vcc, v[34:35], v[36:37]
	v_cndmask_b32_e32 v10, 0, v10, vcc
	v_add_u32_e32 v10, v10, v2
	v_and_b32_e32 v10, 0xfffff, v10
	v_add_co_u32_e32 v2, vcc, v10, v2
	v_add_u32_e32 v31, 6, v33
	v_addc_co_u32_e32 v3, vcc, 0, v3, vcc
	v_cmp_ne_u32_e32 vcc, 0, v31
                                        ; implicit-def: $vgpr10
	s_and_saveexec_b64 s[24:25], vcc
	s_xor_b64 s[24:25], exec, s[24:25]
; %bb.2129:                             ;   in Loop: Header=BB4_1481 Depth=2
	v_cmp_lt_u64_e32 vcc, s[48:49], v[2:3]
	v_add_u32_e32 v10, 7, v33
	v_cndmask_b32_e64 v18, 0, 1, vcc
	v_cndmask_b32_e32 v10, v31, v10, vcc
	v_lshrrev_b64 v[2:3], v18, v[2:3]
; %bb.2130:                             ;   in Loop: Header=BB4_1481 Depth=2
	s_andn2_saveexec_b64 s[24:25], s[24:25]
; %bb.2131:                             ;   in Loop: Header=BB4_1481 Depth=2
	v_bfe_u32 v10, v2, 23, 1
; %bb.2132:                             ;   in Loop: Header=BB4_1481 Depth=2
	s_or_b64 exec, exec, s[24:25]
	v_lshrrev_b64 v[2:3], 20, v[2:3]
	v_cmp_gt_i32_e32 vcc, 16, v10
	v_cndmask_b32_e32 v3, 0, v3, vcc
	v_cndmask_b32_e32 v2, 7, v2, vcc
	v_cmp_eq_u64_e64 s[24:25], 0, v[2:3]
	v_min_i32_e32 v3, 15, v10
	v_lshlrev_b32_e32 v3, 3, v3
	v_cmp_eq_u32_e32 vcc, 0, v10
	v_and_b32_e32 v3, 0xf8, v3
	v_and_or_b32 v2, v2, 7, v3
	s_and_b64 s[24:25], vcc, s[24:25]
	v_cndmask_b32_e64 v2, v2, 0, s[24:25]
	v_or_b32_e32 v10, v2, v23
.LBB4_2133:                             ;   in Loop: Header=BB4_1481 Depth=2
	s_or_b64 exec, exec, s[64:65]
.LBB4_2134:                             ;   in Loop: Header=BB4_1481 Depth=2
	s_or_b64 exec, exec, s[62:63]
                                        ; implicit-def: $vgpr31
                                        ; implicit-def: $vgpr2_vgpr3
.LBB4_2135:                             ;   in Loop: Header=BB4_1481 Depth=2
	s_andn2_saveexec_b64 s[24:25], s[60:61]
; %bb.2136:                             ;   in Loop: Header=BB4_1481 Depth=2
	v_or_b32_sdwa v18, v31, s75 dst_sel:DWORD dst_unused:UNUSED_PAD src0_sel:BYTE_3 src1_sel:DWORD
	v_cmp_eq_u64_e32 vcc, 0, v[2:3]
	v_cndmask_b32_e32 v10, v18, v10, vcc
; %bb.2137:                             ;   in Loop: Header=BB4_1481 Depth=2
	s_or_b64 exec, exec, s[24:25]
	v_cmp_lt_u32_e32 vcc, s47, v38
	v_mov_b32_e32 v3, 0
	v_mov_b32_e32 v23, 0
	s_and_saveexec_b64 s[24:25], vcc
	s_cbranch_execz .LBB4_2143
; %bb.2138:                             ;   in Loop: Header=BB4_1481 Depth=2
	v_lshrrev_b32_e32 v2, 24, v38
	v_cmp_ne_u32_sdwa vcc, v38, s76 src0_sel:BYTE_3 src1_sel:DWORD
	v_bfrev_b32_e32 v23, 1
	s_and_saveexec_b64 s[60:61], vcc
	s_cbranch_execz .LBB4_2142
; %bb.2139:                             ;   in Loop: Header=BB4_1481 Depth=2
	v_bfe_u32 v31, v38, 24, 7
	v_cmp_ne_u32_e32 vcc, s75, v31
	v_mov_b32_e32 v23, 0x7f800001
	s_and_saveexec_b64 s[62:63], vcc
	s_cbranch_execz .LBB4_2141
; %bb.2140:                             ;   in Loop: Header=BB4_1481 Depth=2
	v_and_b32_e32 v18, 7, v2
	v_ffbh_u32_e32 v23, v18
	v_min_u32_e32 v23, 32, v23
	v_subrev_u32_e32 v33, 28, v23
	v_lshrrev_b32_e32 v20, 3, v31
	v_lshlrev_b64 v[34:35], v33, v[2:3]
	v_sub_u32_e32 v2, 29, v23
	v_cmp_gt_u32_e32 vcc, 8, v31
	v_and_b32_e32 v23, 7, v34
	v_cndmask_b32_e32 v2, v20, v2, vcc
	v_mov_b32_e32 v20, 24
	v_cndmask_b32_e32 v18, v18, v23, vcc
	v_lshlrev_b32_sdwa v20, v20, v38 dst_sel:DWORD dst_unused:UNUSED_PAD src0_sel:DWORD src1_sel:BYTE_3
	v_bfrev_b32_e32 v23, 60
	v_lshlrev_b32_e32 v18, 20, v18
	v_and_b32_e32 v20, 0x80000000, v20
	v_lshl_add_u32 v2, v2, 23, v23
	v_or3_b32 v23, v20, v2, v18
.LBB4_2141:                             ;   in Loop: Header=BB4_1481 Depth=2
	s_or_b64 exec, exec, s[62:63]
.LBB4_2142:                             ;   in Loop: Header=BB4_1481 Depth=2
	s_or_b64 exec, exec, s[60:61]
.LBB4_2143:                             ;   in Loop: Header=BB4_1481 Depth=2
	s_or_b64 exec, exec, s[24:25]
	v_cmp_lt_u64_e32 vcc, s[46:47], v[12:13]
	s_and_saveexec_b64 s[24:25], vcc
	s_cbranch_execz .LBB4_2149
; %bb.2144:                             ;   in Loop: Header=BB4_1481 Depth=2
	v_lshrrev_b32_e32 v2, 24, v13
	v_cmp_ne_u32_e32 vcc, s76, v2
	v_bfrev_b32_e32 v3, 1
	s_and_saveexec_b64 s[60:61], vcc
	s_cbranch_execz .LBB4_2148
; %bb.2145:                             ;   in Loop: Header=BB4_1481 Depth=2
	v_bfe_u32 v12, v13, 24, 7
	v_cmp_ne_u32_e32 vcc, s75, v12
	v_mov_b32_e32 v3, 0x7f800001
	s_and_saveexec_b64 s[62:63], vcc
	s_cbranch_execz .LBB4_2147
; %bb.2146:                             ;   in Loop: Header=BB4_1481 Depth=2
	v_and_b32_e32 v3, 7, v2
	v_ffbh_u32_e32 v18, v3
	v_min_u32_e32 v18, 32, v18
	v_subrev_u32_e32 v20, 28, v18
	v_lshlrev_b64 v[34:35], v20, v[2:3]
	v_lshrrev_b32_e32 v13, 3, v12
	v_sub_u32_e32 v18, 29, v18
	v_and_b32_e32 v20, 7, v34
	v_cmp_gt_u32_e32 vcc, 8, v12
	v_cndmask_b32_e32 v12, v13, v18, vcc
	v_cndmask_b32_e32 v3, v3, v20, vcc
	v_lshlrev_b32_e32 v2, 24, v2
	v_bfrev_b32_e32 v13, 60
	v_lshlrev_b32_e32 v3, 20, v3
	v_and_b32_e32 v2, 0x80000000, v2
	v_lshl_add_u32 v12, v12, 23, v13
	v_or3_b32 v3, v2, v12, v3
.LBB4_2147:                             ;   in Loop: Header=BB4_1481 Depth=2
	s_or_b64 exec, exec, s[62:63]
.LBB4_2148:                             ;   in Loop: Header=BB4_1481 Depth=2
	s_or_b64 exec, exec, s[60:61]
.LBB4_2149:                             ;   in Loop: Header=BB4_1481 Depth=2
	s_or_b64 exec, exec, s[24:25]
	v_add_f32_e32 v3, v23, v3
	v_and_b32_sdwa v12, v3, s76 dst_sel:DWORD dst_unused:UNUSED_PAD src0_sel:BYTE_3 src1_sel:DWORD
	v_and_b32_e32 v34, 0x7f800000, v3
	v_mov_b32_e32 v35, v39
	v_and_b32_e32 v38, 0x7fffff, v3
	v_or_b32_e32 v2, 0x7e, v12
	v_cmp_ne_u64_e32 vcc, s[42:43], v[34:35]
	s_and_saveexec_b64 s[24:25], vcc
	s_xor_b64 s[60:61], exec, s[24:25]
	s_cbranch_execz .LBB4_2159
; %bb.2150:                             ;   in Loop: Header=BB4_1481 Depth=2
	v_and_b32_e32 v34, 0x7fffffff, v3
	v_mov_b32_e32 v35, v39
	v_cmp_gt_u64_e32 vcc, s[44:45], v[34:35]
	s_and_saveexec_b64 s[62:63], vcc
	s_cbranch_execz .LBB4_2158
; %bb.2151:                             ;   in Loop: Header=BB4_1481 Depth=2
	v_cmp_ne_u32_e32 vcc, 0, v3
	v_mov_b32_e32 v2, 0
	s_and_saveexec_b64 s[64:65], vcc
	s_cbranch_execz .LBB4_2157
; %bb.2152:                             ;   in Loop: Header=BB4_1481 Depth=2
	v_bfe_u32 v2, v3, 23, 8
	v_sub_u32_e32 v13, 0x79, v2
	v_cmp_gt_u32_e32 vcc, s77, v2
	v_add_u32_e32 v3, 0xffffff81, v2
	v_cndmask_b32_e32 v13, 0, v13, vcc
	v_cmp_eq_u32_e32 vcc, 0, v2
	v_mov_b32_e32 v2, 0xffffff82
	v_cndmask_b32_e32 v20, v3, v2, vcc
	v_mov_b32_e32 v2, 0x78
	v_or_b32_e32 v18, 0x800000, v38
	v_cndmask_b32_e32 v13, v13, v2, vcc
	v_cndmask_b32_e32 v38, v18, v38, vcc
	v_add_u32_e32 v2, 20, v13
	v_lshlrev_b64 v[2:3], v2, -1
	v_add_u32_e32 v18, 19, v13
	v_lshrrev_b64 v[36:37], v13, v[38:39]
	v_not_b32_e32 v3, v3
	v_not_b32_e32 v2, v2
	v_lshlrev_b64 v[34:35], v18, 1
	v_lshrrev_b32_e32 v18, 23, v36
	v_and_b32_e32 v3, 0, v3
	v_and_b32_e32 v2, v38, v2
	v_add3_u32 v31, v13, v20, v18
	v_bfe_u32 v13, v36, 20, 1
	v_add_u32_e32 v13, -1, v13
	v_cmp_eq_u64_e32 vcc, v[2:3], v[34:35]
	v_cndmask_b32_e32 v2, 0, v13, vcc
	v_add_u32_e32 v2, v2, v36
	v_and_b32_e32 v2, 0xfffff, v2
	v_add_co_u32_e32 v2, vcc, v2, v36
	v_add_u32_e32 v23, 6, v31
	v_addc_co_u32_e32 v3, vcc, 0, v37, vcc
	v_cmp_ne_u32_e32 vcc, 0, v23
                                        ; implicit-def: $vgpr13
	s_and_saveexec_b64 s[24:25], vcc
	s_xor_b64 s[24:25], exec, s[24:25]
; %bb.2153:                             ;   in Loop: Header=BB4_1481 Depth=2
	v_cmp_lt_u64_e32 vcc, s[48:49], v[2:3]
	v_add_u32_e32 v13, 7, v31
	v_cndmask_b32_e64 v18, 0, 1, vcc
	v_cndmask_b32_e32 v13, v23, v13, vcc
	v_lshrrev_b64 v[2:3], v18, v[2:3]
; %bb.2154:                             ;   in Loop: Header=BB4_1481 Depth=2
	s_andn2_saveexec_b64 s[24:25], s[24:25]
; %bb.2155:                             ;   in Loop: Header=BB4_1481 Depth=2
	v_bfe_u32 v13, v2, 23, 1
; %bb.2156:                             ;   in Loop: Header=BB4_1481 Depth=2
	s_or_b64 exec, exec, s[24:25]
	v_lshrrev_b64 v[2:3], 20, v[2:3]
	v_cmp_gt_i32_e32 vcc, 16, v13
	v_cndmask_b32_e32 v3, 0, v3, vcc
	v_cndmask_b32_e32 v2, 7, v2, vcc
	v_cmp_eq_u64_e64 s[24:25], 0, v[2:3]
	v_min_i32_e32 v3, 15, v13
	v_lshlrev_b32_e32 v3, 3, v3
	v_cmp_eq_u32_e32 vcc, 0, v13
	v_and_b32_e32 v3, 0xf8, v3
	v_and_or_b32 v2, v2, 7, v3
	s_and_b64 s[24:25], vcc, s[24:25]
	v_cndmask_b32_e64 v2, v2, 0, s[24:25]
	v_or_b32_e32 v2, v2, v12
.LBB4_2157:                             ;   in Loop: Header=BB4_1481 Depth=2
	s_or_b64 exec, exec, s[64:65]
.LBB4_2158:                             ;   in Loop: Header=BB4_1481 Depth=2
	s_or_b64 exec, exec, s[62:63]
                                        ; implicit-def: $vgpr3
.LBB4_2159:                             ;   in Loop: Header=BB4_1481 Depth=2
	s_andn2_saveexec_b64 s[24:25], s[60:61]
	s_cbranch_execz .LBB4_1480
; %bb.2160:                             ;   in Loop: Header=BB4_1481 Depth=2
	v_or_b32_sdwa v3, v3, s75 dst_sel:DWORD dst_unused:UNUSED_PAD src0_sel:BYTE_3 src1_sel:DWORD
	v_cmp_eq_u64_e32 vcc, 0, v[38:39]
	v_cndmask_b32_e32 v2, v3, v2, vcc
	s_branch .LBB4_1480
.LBB4_2161:                             ;   in Loop: Header=BB4_49 Depth=1
	s_or_b64 exec, exec, s[58:59]
	v_accvgpr_read_b32 v50, a19
	v_accvgpr_read_b32 v42, a28
	v_mov_b32_e32 v51, v41
	v_mov_b32_e32 v43, 1
	v_accvgpr_read_b32 v44, a30
	v_mov_b32_e32 v45, v58
.LBB4_2162:                             ;   in Loop: Header=BB4_49 Depth=1
	s_or_b64 exec, exec, s[56:57]
	v_and_b32_e32 v3, 15, v45
	v_cndmask_b32_e64 v5, v19, v3, s[22:23]
	v_cmp_ne_u32_e32 vcc, 0, v5
	s_mov_b64 s[24:25], 0
	v_mov_b32_e32 v4, 0
                                        ; implicit-def: $vgpr6
                                        ; implicit-def: $vgpr2
	s_and_saveexec_b64 s[56:57], vcc
	s_cbranch_execz .LBB4_2164
; %bb.2163:                             ;   in Loop: Header=BB4_49 Depth=1
	v_sub_u32_e32 v3, v19, v3
	v_and_b32_e32 v2, 0x3ffffc00, v45
	v_cndmask_b32_e64 v3, 0, v3, s[22:23]
	v_cmp_lt_i32_e32 vcc, 0, v1
	v_add_u32_e32 v4, v3, v2
	v_cndmask_b32_e32 v2, 0, v52, vcc
	v_sub_u32_e32 v1, v2, v1
	v_lshl_add_u32 v6, v1, 6, v0
	v_ashrrev_i32_e32 v0, 31, v6
	v_lshrrev_b32_e32 v0, 26, v0
	v_add_u32_e32 v0, v6, v0
	s_mov_b64 s[24:25], exec
	v_ashrrev_i32_e32 v2, 6, v0
.LBB4_2164:                             ;   in Loop: Header=BB4_49 Depth=1
	s_or_b64 exec, exec, s[56:57]
	s_and_b64 s[22:23], s[24:25], exec
.LBB4_2165:                             ;   in Loop: Header=BB4_49 Depth=1
	s_or_b64 exec, exec, s[54:55]
	s_and_saveexec_b64 s[24:25], s[22:23]
	s_cbranch_execz .LBB4_2634
.LBB4_2166:                             ;   in Loop: Header=BB4_49 Depth=1
	v_ashrrev_i32_e32 v0, 31, v5
	v_lshrrev_b32_e32 v0, 23, v0
	v_add_u32_e32 v0, v5, v0
	v_ashrrev_i32_e32 v7, 9, v0
	v_sub_u32_e32 v0, v7, v2
	v_ashrrev_i32_e32 v1, 31, v6
	v_cmp_lt_i32_e32 vcc, 0, v0
	v_lshrrev_b32_e32 v1, 26, v1
	s_and_saveexec_b64 s[54:55], vcc
	s_cbranch_execz .LBB4_2575
; %bb.2167:                             ;   in Loop: Header=BB4_49 Depth=1
	s_trap 2
	ds_read_b128 v[8:11], v0
	ds_read_b64 v[12:13], v0
	v_add_u32_e32 v3, v6, v1
	v_and_b32_e32 v3, 0xffffffc0, v3
	v_sub_u32_e32 v3, v6, v3
	v_lshlrev_b32_e32 v2, 9, v2
	v_add3_u32 v14, v4, v3, v2
	v_ashrrev_i32_e32 v15, 31, v14
	s_waitcnt lgkmcnt(0)
	v_add_co_u32_e32 v2, vcc, v8, v14
	v_addc_co_u32_e32 v3, vcc, v9, v15, vcc
	v_add_co_u32_e32 v10, vcc, v10, v14
	v_addc_co_u32_e32 v11, vcc, v11, v15, vcc
	;; [unrolled: 2-line block ×4, first 2 shown]
	s_mov_b64 s[56:57], 0
	s_branch .LBB4_2169
.LBB4_2168:                             ;   in Loop: Header=BB4_2169 Depth=2
	s_or_b64 exec, exec, s[22:23]
	v_add_co_u32_e32 v14, vcc, 0xfffffe40, v12
	v_addc_co_u32_e32 v15, vcc, -1, v13, vcc
	flat_store_byte v[14:15], v9 glc slc
	v_add_co_u32_e32 v14, vcc, 0xfffffe80, v12
	v_addc_co_u32_e32 v15, vcc, -1, v13, vcc
	flat_store_byte v[14:15], v24 glc slc
	v_add_co_u32_e32 v14, vcc, 0xfffffec0, v12
	v_addc_co_u32_e32 v15, vcc, -1, v13, vcc
	flat_store_byte v[14:15], v23 glc slc
	v_add_co_u32_e32 v14, vcc, 0xffffff00, v12
	v_addc_co_u32_e32 v15, vcc, -1, v13, vcc
	flat_store_byte v[14:15], v22 glc slc
	v_add_co_u32_e32 v14, vcc, 0xffffff40, v12
	v_addc_co_u32_e32 v15, vcc, -1, v13, vcc
	flat_store_byte v[14:15], v21 glc slc
	v_add_co_u32_e32 v14, vcc, 0xffffff80, v12
	v_addc_co_u32_e32 v15, vcc, -1, v13, vcc
	flat_store_byte v[14:15], v19 glc slc
	v_add_co_u32_e32 v14, vcc, s72, v12
	v_addc_co_u32_e32 v15, vcc, -1, v13, vcc
	v_add_co_u32_e32 v2, vcc, v2, v57
	v_addc_co_u32_e32 v3, vcc, v3, v50, vcc
	v_add_co_u32_e32 v10, vcc, v10, v57
	v_addc_co_u32_e32 v11, vcc, v11, v50, vcc
	v_sub_u32_e32 v0, v0, v52
	v_cmp_gt_i32_e32 vcc, 1, v0
	flat_store_byte v[14:15], v16 glc slc
	flat_store_byte v[12:13], v8 glc slc
	s_or_b64 s[56:57], vcc, s[56:57]
	v_add_co_u32_e32 v12, vcc, v12, v57
	v_addc_co_u32_e32 v13, vcc, v13, v50, vcc
	s_andn2_b64 exec, exec, s[56:57]
	s_cbranch_execz .LBB4_2574
.LBB4_2169:                             ;   Parent Loop BB4_49 Depth=1
                                        ; =>  This Inner Loop Header: Depth=2
	s_trap 2
	ds_read_b64 v[14:15], v0
	s_waitcnt lgkmcnt(0)
	v_cmp_eq_u16_sdwa vcc, v14, v39 src0_sel:BYTE_0 src1_sel:DWORD
	v_readfirstlane_b32 s22, v14
	v_readfirstlane_b32 s23, v15
	s_and_b64 vcc, exec, vcc
	s_cbranch_vccnz .LBB4_2173
; %bb.2170:                             ;   in Loop: Header=BB4_2169 Depth=2
	v_cmp_eq_u32_sdwa vcc, v14, s76 src0_sel:BYTE_0 src1_sel:DWORD
	s_and_b64 vcc, exec, vcc
	s_brev_b32 s64, 1
	s_cbranch_vccnz .LBB4_2174
; %bb.2171:                             ;   in Loop: Header=BB4_2169 Depth=2
	s_and_b32 vcc_lo, s22, 0x7f
	s_cmpk_eq_i32 vcc_lo, 0x7f
	s_mov_b32 s64, 0x7f800001
	s_cbranch_scc1 .LBB4_2174
; %bb.2172:                             ;   in Loop: Header=BB4_2169 Depth=2
	s_and_b32 vcc_hi, s22, 7
	s_flbit_i32_b32 vcc_hi, vcc_hi
	s_min_u32 vcc_hi, vcc_hi, 32
	s_lshr_b32 s58, vcc_lo, 3
	s_sub_i32 s59, vcc_hi, 28
	s_sub_i32 vcc_hi, 29, vcc_hi
	s_cmp_lt_u32 vcc_lo, 8
	s_cselect_b32 vcc_lo, s59, 0
	s_cselect_b32 s58, vcc_hi, s58
	s_lshl_b64 vcc, s[22:23], vcc_lo
	s_lshl_b32 s23, vcc_lo, 20
	s_lshl_b32 s22, s22, 24
	s_lshl_b32 vcc_lo, s58, 23
	s_and_b32 s22, s22, 0x80000000
	s_add_i32 vcc_lo, vcc_lo, 0x3c000000
	s_and_b32 s23, s23, 0x700000
	s_or_b32 s22, s22, vcc_lo
	s_or_b32 s64, s22, s23
	s_branch .LBB4_2174
.LBB4_2173:                             ;   in Loop: Header=BB4_2169 Depth=2
	s_mov_b32 s64, 0
.LBB4_2174:                             ;   in Loop: Header=BB4_2169 Depth=2
	flat_load_ubyte v8, v[2:3] glc slc
	v_mov_b32_e32 v9, 0
	s_waitcnt vmcnt(0) lgkmcnt(0)
	v_cmp_ne_u16_e32 vcc, 0, v8
	s_and_saveexec_b64 s[22:23], vcc
	s_cbranch_execz .LBB4_2180
; %bb.2175:                             ;   in Loop: Header=BB4_2169 Depth=2
	v_cmp_ne_u16_e32 vcc, s76, v8
	v_bfrev_b32_e32 v9, 1
	s_and_saveexec_b64 s[58:59], vcc
	s_cbranch_execz .LBB4_2179
; %bb.2176:                             ;   in Loop: Header=BB4_2169 Depth=2
	v_and_b32_e32 v14, 0xffff, v8
	v_and_b32_e32 v15, 0x7f, v14
	v_cmp_ne_u32_e32 vcc, s75, v15
	v_mov_b32_e32 v9, 0x7f800001
	s_and_saveexec_b64 s[60:61], vcc
	s_cbranch_execz .LBB4_2178
; %bb.2177:                             ;   in Loop: Header=BB4_2169 Depth=2
	v_and_b32_e32 v9, 7, v14
	v_ffbh_u32_e32 v16, v9
	v_min_u32_e32 v19, 32, v16
	v_subrev_u32_e32 v16, 28, v19
	v_lshlrev_b64 v[16:17], v16, v[14:15]
	v_lshrrev_b32_e32 v18, 3, v15
	v_sub_u32_e32 v14, 29, v19
	v_and_b32_e32 v16, 7, v16
	v_cmp_gt_u32_e32 vcc, 8, v15
	v_cndmask_b32_e32 v14, v18, v14, vcc
	v_cndmask_b32_e32 v9, v9, v16, vcc
	v_lshlrev_b32_e32 v8, 24, v8
	v_bfrev_b32_e32 v15, 60
	v_lshlrev_b32_e32 v9, 20, v9
	v_and_b32_e32 v8, 0x80000000, v8
	v_lshl_add_u32 v14, v14, 23, v15
	v_or3_b32 v9, v8, v14, v9
.LBB4_2178:                             ;   in Loop: Header=BB4_2169 Depth=2
	s_or_b64 exec, exec, s[60:61]
.LBB4_2179:                             ;   in Loop: Header=BB4_2169 Depth=2
	s_or_b64 exec, exec, s[58:59]
.LBB4_2180:                             ;   in Loop: Header=BB4_2169 Depth=2
	s_or_b64 exec, exec, s[22:23]
	v_mul_f32_e32 v14, s64, v9
	v_and_b32_sdwa v8, v14, s76 dst_sel:DWORD dst_unused:UNUSED_PAD src0_sel:BYTE_3 src1_sel:DWORD
	v_and_b32_e32 v16, 0x7f800000, v14
	v_mov_b32_e32 v17, v39
	v_and_b32_e32 v38, 0x7fffff, v14
	v_or_b32_e32 v9, 0x7e, v8
	v_cmp_ne_u64_e32 vcc, s[42:43], v[16:17]
	s_and_saveexec_b64 s[22:23], vcc
	s_xor_b64 s[58:59], exec, s[22:23]
	s_cbranch_execz .LBB4_2194
; %bb.2181:                             ;   in Loop: Header=BB4_2169 Depth=2
	v_and_b32_e32 v16, 0x7fffffff, v14
	v_mov_b32_e32 v17, v39
	v_cmp_gt_u64_e32 vcc, s[44:45], v[16:17]
	s_and_saveexec_b64 s[22:23], vcc
	s_xor_b64 s[60:61], exec, s[22:23]
	s_cbranch_execz .LBB4_2193
; %bb.2182:                             ;   in Loop: Header=BB4_2169 Depth=2
	v_cmp_ne_u32_e32 vcc, 0, v14
	v_mov_b32_e32 v9, 0
	s_and_saveexec_b64 s[62:63], vcc
	s_cbranch_execz .LBB4_2192
; %bb.2183:                             ;   in Loop: Header=BB4_2169 Depth=2
	v_bfe_u32 v9, v14, 23, 8
	v_sub_u32_e32 v15, 0x79, v9
	v_cmp_gt_u32_e32 vcc, s77, v9
	v_add_u32_e32 v14, 0xffffff81, v9
	v_cndmask_b32_e32 v15, 0, v15, vcc
	v_cmp_eq_u32_e32 vcc, 0, v9
	v_mov_b32_e32 v9, 0xffffff82
	v_cndmask_b32_e32 v9, v14, v9, vcc
	v_mov_b32_e32 v14, 0x78
	v_or_b32_e32 v16, 0x800000, v38
	v_cndmask_b32_e32 v17, v15, v14, vcc
	v_cndmask_b32_e32 v38, v16, v38, vcc
	v_add_u32_e32 v14, 20, v17
	v_lshlrev_b64 v[14:15], v14, -1
	v_add_u32_e32 v16, 19, v17
	v_lshrrev_b64 v[20:21], v17, v[38:39]
	v_not_b32_e32 v15, v15
	v_not_b32_e32 v14, v14
	v_lshlrev_b64 v[18:19], v16, 1
	v_lshrrev_b32_e32 v16, 23, v20
	v_and_b32_e32 v15, 0, v15
	v_and_b32_e32 v14, v38, v14
	v_add3_u32 v17, v17, v9, v16
	v_bfe_u32 v16, v20, 20, 1
	v_add_u32_e32 v16, -1, v16
	v_cmp_eq_u64_e32 vcc, v[14:15], v[18:19]
	v_cndmask_b32_e32 v14, 0, v16, vcc
	v_add_u32_e32 v14, v14, v20
	v_and_b32_e32 v14, 0xfffff, v14
	v_add_co_u32_e32 v14, vcc, v14, v20
	v_add_u32_e32 v9, 6, v17
	v_addc_co_u32_e32 v15, vcc, 0, v21, vcc
	v_cmp_ne_u32_e32 vcc, 0, v9
                                        ; implicit-def: $vgpr16
	s_and_saveexec_b64 s[22:23], vcc
	s_xor_b64 s[22:23], exec, s[22:23]
; %bb.2184:                             ;   in Loop: Header=BB4_2169 Depth=2
	v_add_u32_e32 v16, 7, v17
	v_cmp_lt_u64_e32 vcc, s[48:49], v[14:15]
	v_cndmask_b32_e32 v16, v9, v16, vcc
	v_cndmask_b32_e64 v9, 0, 1, vcc
	v_lshrrev_b64 v[14:15], v9, v[14:15]
; %bb.2185:                             ;   in Loop: Header=BB4_2169 Depth=2
	s_andn2_saveexec_b64 s[22:23], s[22:23]
; %bb.2186:                             ;   in Loop: Header=BB4_2169 Depth=2
	v_bfe_u32 v16, v14, 23, 1
; %bb.2187:                             ;   in Loop: Header=BB4_2169 Depth=2
	s_or_b64 exec, exec, s[22:23]
	v_lshrrev_b64 v[14:15], 20, v[14:15]
	v_cmp_gt_i32_e32 vcc, 16, v16
	v_cndmask_b32_e32 v15, 0, v15, vcc
	v_cndmask_b32_e32 v14, 7, v14, vcc
	v_cmp_ne_u32_e32 vcc, 0, v16
	v_cmp_ne_u64_e64 s[22:23], 0, v[14:15]
	s_or_b64 s[22:23], vcc, s[22:23]
                                        ; implicit-def: $vgpr9
	s_and_saveexec_b64 vcc, s[22:23]
	s_xor_b64 s[22:23], exec, vcc
; %bb.2188:                             ;   in Loop: Header=BB4_2169 Depth=2
	v_min_i32_e32 v9, 15, v16
	v_lshl_or_b32 v8, v9, 3, v8
	v_and_or_b32 v9, v14, 7, v8
                                        ; implicit-def: $vgpr8
; %bb.2189:                             ;   in Loop: Header=BB4_2169 Depth=2
	s_andn2_saveexec_b64 s[22:23], s[22:23]
; %bb.2190:                             ;   in Loop: Header=BB4_2169 Depth=2
	v_mov_b32_e32 v9, v8
; %bb.2191:                             ;   in Loop: Header=BB4_2169 Depth=2
	s_or_b64 exec, exec, s[22:23]
.LBB4_2192:                             ;   in Loop: Header=BB4_2169 Depth=2
	s_or_b64 exec, exec, s[62:63]
.LBB4_2193:                             ;   in Loop: Header=BB4_2169 Depth=2
	s_andn2_saveexec_b64 s[22:23], s[60:61]
	s_or_b64 exec, exec, s[22:23]
                                        ; implicit-def: $vgpr14
.LBB4_2194:                             ;   in Loop: Header=BB4_2169 Depth=2
	s_andn2_saveexec_b64 s[22:23], s[58:59]
; %bb.2195:                             ;   in Loop: Header=BB4_2169 Depth=2
	v_or_b32_sdwa v8, v14, s75 dst_sel:DWORD dst_unused:UNUSED_PAD src0_sel:BYTE_3 src1_sel:DWORD
	v_cmp_eq_u64_e32 vcc, 0, v[38:39]
	v_cndmask_b32_e32 v9, v8, v9, vcc
; %bb.2196:                             ;   in Loop: Header=BB4_2169 Depth=2
	s_or_b64 exec, exec, s[22:23]
	flat_load_ubyte v8, v[2:3] offset:64 glc slc
	v_mov_b32_e32 v15, 0
	s_waitcnt vmcnt(0) lgkmcnt(0)
	v_cmp_ne_u16_e32 vcc, 0, v8
	s_and_saveexec_b64 s[22:23], vcc
	s_cbranch_execz .LBB4_2202
; %bb.2197:                             ;   in Loop: Header=BB4_2169 Depth=2
	v_cmp_ne_u16_e32 vcc, s76, v8
	v_bfrev_b32_e32 v15, 1
	s_and_saveexec_b64 s[58:59], vcc
	s_cbranch_execz .LBB4_2201
; %bb.2198:                             ;   in Loop: Header=BB4_2169 Depth=2
	v_and_b32_e32 v14, 0xffff, v8
	v_and_b32_e32 v16, 0x7f, v14
	v_cmp_ne_u32_e32 vcc, s75, v16
	v_mov_b32_e32 v15, 0x7f800001
	s_and_saveexec_b64 s[60:61], vcc
	s_cbranch_execz .LBB4_2200
; %bb.2199:                             ;   in Loop: Header=BB4_2169 Depth=2
	v_and_b32_e32 v17, 7, v14
	v_ffbh_u32_e32 v15, v17
	v_min_u32_e32 v19, 32, v15
	v_subrev_u32_e32 v15, 28, v19
	v_lshlrev_b64 v[14:15], v15, v[14:15]
	v_lshrrev_b32_e32 v18, 3, v16
	v_sub_u32_e32 v15, 29, v19
	v_and_b32_e32 v14, 7, v14
	v_cmp_gt_u32_e32 vcc, 8, v16
	v_cndmask_b32_e32 v15, v18, v15, vcc
	v_cndmask_b32_e32 v14, v17, v14, vcc
	v_lshlrev_b32_e32 v8, 24, v8
	v_bfrev_b32_e32 v16, 60
	v_lshlrev_b32_e32 v14, 20, v14
	v_and_b32_e32 v8, 0x80000000, v8
	v_lshl_add_u32 v15, v15, 23, v16
	v_or3_b32 v15, v8, v15, v14
.LBB4_2200:                             ;   in Loop: Header=BB4_2169 Depth=2
	s_or_b64 exec, exec, s[60:61]
.LBB4_2201:                             ;   in Loop: Header=BB4_2169 Depth=2
	s_or_b64 exec, exec, s[58:59]
.LBB4_2202:                             ;   in Loop: Header=BB4_2169 Depth=2
	s_or_b64 exec, exec, s[22:23]
	v_mul_f32_e32 v14, s64, v15
	v_and_b32_sdwa v8, v14, s76 dst_sel:DWORD dst_unused:UNUSED_PAD src0_sel:BYTE_3 src1_sel:DWORD
	v_and_b32_e32 v16, 0x7f800000, v14
	v_mov_b32_e32 v17, v39
	v_and_b32_e32 v38, 0x7fffff, v14
	v_or_b32_e32 v24, 0x7e, v8
	v_cmp_ne_u64_e32 vcc, s[42:43], v[16:17]
	s_and_saveexec_b64 s[22:23], vcc
	s_xor_b64 s[58:59], exec, s[22:23]
	s_cbranch_execz .LBB4_2216
; %bb.2203:                             ;   in Loop: Header=BB4_2169 Depth=2
	v_and_b32_e32 v16, 0x7fffffff, v14
	v_mov_b32_e32 v17, v39
	v_cmp_gt_u64_e32 vcc, s[44:45], v[16:17]
	s_and_saveexec_b64 s[22:23], vcc
	s_xor_b64 s[60:61], exec, s[22:23]
	s_cbranch_execz .LBB4_2215
; %bb.2204:                             ;   in Loop: Header=BB4_2169 Depth=2
	v_cmp_ne_u32_e32 vcc, 0, v14
	v_mov_b32_e32 v24, 0
	s_and_saveexec_b64 s[62:63], vcc
	s_cbranch_execz .LBB4_2214
; %bb.2205:                             ;   in Loop: Header=BB4_2169 Depth=2
	v_bfe_u32 v14, v14, 23, 8
	v_sub_u32_e32 v16, 0x79, v14
	v_cmp_gt_u32_e32 vcc, s77, v14
	v_add_u32_e32 v15, 0xffffff81, v14
	v_cndmask_b32_e32 v16, 0, v16, vcc
	v_cmp_eq_u32_e32 vcc, 0, v14
	v_mov_b32_e32 v14, 0xffffff82
	v_cndmask_b32_e32 v18, v15, v14, vcc
	v_mov_b32_e32 v14, 0x78
	v_or_b32_e32 v17, 0x800000, v38
	v_cndmask_b32_e32 v16, v16, v14, vcc
	v_cndmask_b32_e32 v38, v17, v38, vcc
	v_add_u32_e32 v14, 20, v16
	v_lshlrev_b64 v[14:15], v14, -1
	v_add_u32_e32 v17, 19, v16
	v_lshrrev_b64 v[22:23], v16, v[38:39]
	v_not_b32_e32 v15, v15
	v_not_b32_e32 v14, v14
	v_lshlrev_b64 v[20:21], v17, 1
	v_lshrrev_b32_e32 v17, 23, v22
	v_and_b32_e32 v15, 0, v15
	v_and_b32_e32 v14, v38, v14
	v_add3_u32 v19, v16, v18, v17
	v_bfe_u32 v16, v22, 20, 1
	v_add_u32_e32 v16, -1, v16
	v_cmp_eq_u64_e32 vcc, v[14:15], v[20:21]
	v_cndmask_b32_e32 v14, 0, v16, vcc
	v_add_u32_e32 v14, v14, v22
	v_and_b32_e32 v14, 0xfffff, v14
	v_add_co_u32_e32 v14, vcc, v14, v22
	v_add_u32_e32 v17, 6, v19
	v_addc_co_u32_e32 v15, vcc, 0, v23, vcc
	v_cmp_ne_u32_e32 vcc, 0, v17
                                        ; implicit-def: $vgpr16
	s_and_saveexec_b64 s[22:23], vcc
	s_xor_b64 s[22:23], exec, s[22:23]
; %bb.2206:                             ;   in Loop: Header=BB4_2169 Depth=2
	v_add_u32_e32 v16, 7, v19
	v_cmp_lt_u64_e32 vcc, s[48:49], v[14:15]
	v_cndmask_b32_e32 v16, v17, v16, vcc
	v_cndmask_b32_e64 v17, 0, 1, vcc
	v_lshrrev_b64 v[14:15], v17, v[14:15]
; %bb.2207:                             ;   in Loop: Header=BB4_2169 Depth=2
	s_andn2_saveexec_b64 s[22:23], s[22:23]
; %bb.2208:                             ;   in Loop: Header=BB4_2169 Depth=2
	v_bfe_u32 v16, v14, 23, 1
; %bb.2209:                             ;   in Loop: Header=BB4_2169 Depth=2
	s_or_b64 exec, exec, s[22:23]
	v_lshrrev_b64 v[14:15], 20, v[14:15]
	v_cmp_gt_i32_e32 vcc, 16, v16
	v_cndmask_b32_e32 v15, 0, v15, vcc
	v_cndmask_b32_e32 v14, 7, v14, vcc
	v_cmp_ne_u32_e32 vcc, 0, v16
	v_cmp_ne_u64_e64 s[22:23], 0, v[14:15]
	s_or_b64 s[22:23], vcc, s[22:23]
                                        ; implicit-def: $vgpr24
	s_and_saveexec_b64 vcc, s[22:23]
	s_xor_b64 s[22:23], exec, vcc
; %bb.2210:                             ;   in Loop: Header=BB4_2169 Depth=2
	v_min_i32_e32 v15, 15, v16
	v_lshl_or_b32 v8, v15, 3, v8
	v_and_or_b32 v24, v14, 7, v8
                                        ; implicit-def: $vgpr8
; %bb.2211:                             ;   in Loop: Header=BB4_2169 Depth=2
	s_andn2_saveexec_b64 s[22:23], s[22:23]
; %bb.2212:                             ;   in Loop: Header=BB4_2169 Depth=2
	v_mov_b32_e32 v24, v8
; %bb.2213:                             ;   in Loop: Header=BB4_2169 Depth=2
	s_or_b64 exec, exec, s[22:23]
.LBB4_2214:                             ;   in Loop: Header=BB4_2169 Depth=2
	s_or_b64 exec, exec, s[62:63]
.LBB4_2215:                             ;   in Loop: Header=BB4_2169 Depth=2
	s_andn2_saveexec_b64 s[22:23], s[60:61]
	s_or_b64 exec, exec, s[22:23]
                                        ; implicit-def: $vgpr14
.LBB4_2216:                             ;   in Loop: Header=BB4_2169 Depth=2
	s_andn2_saveexec_b64 s[22:23], s[58:59]
; %bb.2217:                             ;   in Loop: Header=BB4_2169 Depth=2
	v_or_b32_sdwa v8, v14, s75 dst_sel:DWORD dst_unused:UNUSED_PAD src0_sel:BYTE_3 src1_sel:DWORD
	v_cmp_eq_u64_e32 vcc, 0, v[38:39]
	v_cndmask_b32_e32 v24, v8, v24, vcc
; %bb.2218:                             ;   in Loop: Header=BB4_2169 Depth=2
	s_or_b64 exec, exec, s[22:23]
	flat_load_ubyte v8, v[2:3] offset:128 glc slc
	v_mov_b32_e32 v15, 0
	s_waitcnt vmcnt(0) lgkmcnt(0)
	v_cmp_ne_u16_e32 vcc, 0, v8
	s_and_saveexec_b64 s[22:23], vcc
	s_cbranch_execz .LBB4_2224
; %bb.2219:                             ;   in Loop: Header=BB4_2169 Depth=2
	v_cmp_ne_u16_e32 vcc, s76, v8
	v_bfrev_b32_e32 v15, 1
	s_and_saveexec_b64 s[58:59], vcc
	s_cbranch_execz .LBB4_2223
; %bb.2220:                             ;   in Loop: Header=BB4_2169 Depth=2
	v_and_b32_e32 v14, 0xffff, v8
	v_and_b32_e32 v16, 0x7f, v14
	v_cmp_ne_u32_e32 vcc, s75, v16
	v_mov_b32_e32 v15, 0x7f800001
	s_and_saveexec_b64 s[60:61], vcc
	s_cbranch_execz .LBB4_2222
; %bb.2221:                             ;   in Loop: Header=BB4_2169 Depth=2
	v_and_b32_e32 v17, 7, v14
	v_ffbh_u32_e32 v15, v17
	v_min_u32_e32 v19, 32, v15
	v_subrev_u32_e32 v15, 28, v19
	v_lshlrev_b64 v[14:15], v15, v[14:15]
	v_lshrrev_b32_e32 v18, 3, v16
	v_sub_u32_e32 v15, 29, v19
	v_and_b32_e32 v14, 7, v14
	v_cmp_gt_u32_e32 vcc, 8, v16
	v_cndmask_b32_e32 v15, v18, v15, vcc
	v_cndmask_b32_e32 v14, v17, v14, vcc
	v_lshlrev_b32_e32 v8, 24, v8
	v_bfrev_b32_e32 v16, 60
	v_lshlrev_b32_e32 v14, 20, v14
	v_and_b32_e32 v8, 0x80000000, v8
	v_lshl_add_u32 v15, v15, 23, v16
	v_or3_b32 v15, v8, v15, v14
.LBB4_2222:                             ;   in Loop: Header=BB4_2169 Depth=2
	s_or_b64 exec, exec, s[60:61]
.LBB4_2223:                             ;   in Loop: Header=BB4_2169 Depth=2
	s_or_b64 exec, exec, s[58:59]
.LBB4_2224:                             ;   in Loop: Header=BB4_2169 Depth=2
	s_or_b64 exec, exec, s[22:23]
	v_mul_f32_e32 v14, s64, v15
	v_and_b32_sdwa v8, v14, s76 dst_sel:DWORD dst_unused:UNUSED_PAD src0_sel:BYTE_3 src1_sel:DWORD
	v_and_b32_e32 v16, 0x7f800000, v14
	v_mov_b32_e32 v17, v39
	v_and_b32_e32 v38, 0x7fffff, v14
	v_or_b32_e32 v23, 0x7e, v8
	v_cmp_ne_u64_e32 vcc, s[42:43], v[16:17]
	s_and_saveexec_b64 s[22:23], vcc
	s_xor_b64 s[58:59], exec, s[22:23]
	s_cbranch_execz .LBB4_2238
; %bb.2225:                             ;   in Loop: Header=BB4_2169 Depth=2
	v_and_b32_e32 v16, 0x7fffffff, v14
	v_mov_b32_e32 v17, v39
	v_cmp_gt_u64_e32 vcc, s[44:45], v[16:17]
	s_and_saveexec_b64 s[22:23], vcc
	s_xor_b64 s[60:61], exec, s[22:23]
	s_cbranch_execz .LBB4_2237
; %bb.2226:                             ;   in Loop: Header=BB4_2169 Depth=2
	v_cmp_ne_u32_e32 vcc, 0, v14
	v_mov_b32_e32 v23, 0
	s_and_saveexec_b64 s[62:63], vcc
	s_cbranch_execz .LBB4_2236
; %bb.2227:                             ;   in Loop: Header=BB4_2169 Depth=2
	v_bfe_u32 v14, v14, 23, 8
	v_sub_u32_e32 v16, 0x79, v14
	v_cmp_gt_u32_e32 vcc, s77, v14
	v_add_u32_e32 v15, 0xffffff81, v14
	v_cndmask_b32_e32 v16, 0, v16, vcc
	v_cmp_eq_u32_e32 vcc, 0, v14
	v_mov_b32_e32 v14, 0xffffff82
	v_cndmask_b32_e32 v18, v15, v14, vcc
	v_mov_b32_e32 v14, 0x78
	v_or_b32_e32 v17, 0x800000, v38
	v_cndmask_b32_e32 v16, v16, v14, vcc
	v_cndmask_b32_e32 v38, v17, v38, vcc
	v_add_u32_e32 v14, 20, v16
	v_lshlrev_b64 v[14:15], v14, -1
	v_add_u32_e32 v17, 19, v16
	v_lshrrev_b64 v[22:23], v16, v[38:39]
	v_not_b32_e32 v15, v15
	v_not_b32_e32 v14, v14
	v_lshlrev_b64 v[20:21], v17, 1
	v_lshrrev_b32_e32 v17, 23, v22
	v_and_b32_e32 v15, 0, v15
	v_and_b32_e32 v14, v38, v14
	v_add3_u32 v19, v16, v18, v17
	v_bfe_u32 v16, v22, 20, 1
	v_add_u32_e32 v16, -1, v16
	v_cmp_eq_u64_e32 vcc, v[14:15], v[20:21]
	v_cndmask_b32_e32 v14, 0, v16, vcc
	v_add_u32_e32 v14, v14, v22
	v_and_b32_e32 v14, 0xfffff, v14
	v_add_co_u32_e32 v14, vcc, v14, v22
	v_add_u32_e32 v17, 6, v19
	v_addc_co_u32_e32 v15, vcc, 0, v23, vcc
	v_cmp_ne_u32_e32 vcc, 0, v17
                                        ; implicit-def: $vgpr16
	s_and_saveexec_b64 s[22:23], vcc
	s_xor_b64 s[22:23], exec, s[22:23]
; %bb.2228:                             ;   in Loop: Header=BB4_2169 Depth=2
	v_add_u32_e32 v16, 7, v19
	v_cmp_lt_u64_e32 vcc, s[48:49], v[14:15]
	v_cndmask_b32_e32 v16, v17, v16, vcc
	v_cndmask_b32_e64 v17, 0, 1, vcc
	v_lshrrev_b64 v[14:15], v17, v[14:15]
; %bb.2229:                             ;   in Loop: Header=BB4_2169 Depth=2
	s_andn2_saveexec_b64 s[22:23], s[22:23]
; %bb.2230:                             ;   in Loop: Header=BB4_2169 Depth=2
	v_bfe_u32 v16, v14, 23, 1
; %bb.2231:                             ;   in Loop: Header=BB4_2169 Depth=2
	s_or_b64 exec, exec, s[22:23]
	v_lshrrev_b64 v[14:15], 20, v[14:15]
	v_cmp_gt_i32_e32 vcc, 16, v16
	v_cndmask_b32_e32 v15, 0, v15, vcc
	v_cndmask_b32_e32 v14, 7, v14, vcc
	v_cmp_ne_u32_e32 vcc, 0, v16
	v_cmp_ne_u64_e64 s[22:23], 0, v[14:15]
	s_or_b64 s[22:23], vcc, s[22:23]
                                        ; implicit-def: $vgpr23
	s_and_saveexec_b64 vcc, s[22:23]
	s_xor_b64 s[22:23], exec, vcc
; %bb.2232:                             ;   in Loop: Header=BB4_2169 Depth=2
	v_min_i32_e32 v15, 15, v16
	v_lshl_or_b32 v8, v15, 3, v8
	v_and_or_b32 v23, v14, 7, v8
                                        ; implicit-def: $vgpr8
; %bb.2233:                             ;   in Loop: Header=BB4_2169 Depth=2
	s_andn2_saveexec_b64 s[22:23], s[22:23]
; %bb.2234:                             ;   in Loop: Header=BB4_2169 Depth=2
	v_mov_b32_e32 v23, v8
; %bb.2235:                             ;   in Loop: Header=BB4_2169 Depth=2
	s_or_b64 exec, exec, s[22:23]
.LBB4_2236:                             ;   in Loop: Header=BB4_2169 Depth=2
	s_or_b64 exec, exec, s[62:63]
.LBB4_2237:                             ;   in Loop: Header=BB4_2169 Depth=2
	s_andn2_saveexec_b64 s[22:23], s[60:61]
	s_or_b64 exec, exec, s[22:23]
                                        ; implicit-def: $vgpr14
.LBB4_2238:                             ;   in Loop: Header=BB4_2169 Depth=2
	s_andn2_saveexec_b64 s[22:23], s[58:59]
; %bb.2239:                             ;   in Loop: Header=BB4_2169 Depth=2
	v_or_b32_sdwa v8, v14, s75 dst_sel:DWORD dst_unused:UNUSED_PAD src0_sel:BYTE_3 src1_sel:DWORD
	v_cmp_eq_u64_e32 vcc, 0, v[38:39]
	v_cndmask_b32_e32 v23, v8, v23, vcc
; %bb.2240:                             ;   in Loop: Header=BB4_2169 Depth=2
	s_or_b64 exec, exec, s[22:23]
	flat_load_ubyte v8, v[2:3] offset:192 glc slc
	v_mov_b32_e32 v15, 0
	s_waitcnt vmcnt(0) lgkmcnt(0)
	v_cmp_ne_u16_e32 vcc, 0, v8
	s_and_saveexec_b64 s[22:23], vcc
	s_cbranch_execz .LBB4_2246
; %bb.2241:                             ;   in Loop: Header=BB4_2169 Depth=2
	v_cmp_ne_u16_e32 vcc, s76, v8
	v_bfrev_b32_e32 v15, 1
	s_and_saveexec_b64 s[58:59], vcc
	s_cbranch_execz .LBB4_2245
; %bb.2242:                             ;   in Loop: Header=BB4_2169 Depth=2
	v_and_b32_e32 v14, 0xffff, v8
	v_and_b32_e32 v16, 0x7f, v14
	v_cmp_ne_u32_e32 vcc, s75, v16
	v_mov_b32_e32 v15, 0x7f800001
	s_and_saveexec_b64 s[60:61], vcc
	s_cbranch_execz .LBB4_2244
; %bb.2243:                             ;   in Loop: Header=BB4_2169 Depth=2
	v_and_b32_e32 v17, 7, v14
	v_ffbh_u32_e32 v15, v17
	v_min_u32_e32 v19, 32, v15
	v_subrev_u32_e32 v15, 28, v19
	v_lshlrev_b64 v[14:15], v15, v[14:15]
	v_lshrrev_b32_e32 v18, 3, v16
	v_sub_u32_e32 v15, 29, v19
	v_and_b32_e32 v14, 7, v14
	v_cmp_gt_u32_e32 vcc, 8, v16
	v_cndmask_b32_e32 v15, v18, v15, vcc
	v_cndmask_b32_e32 v14, v17, v14, vcc
	v_lshlrev_b32_e32 v8, 24, v8
	v_bfrev_b32_e32 v16, 60
	v_lshlrev_b32_e32 v14, 20, v14
	v_and_b32_e32 v8, 0x80000000, v8
	v_lshl_add_u32 v15, v15, 23, v16
	v_or3_b32 v15, v8, v15, v14
.LBB4_2244:                             ;   in Loop: Header=BB4_2169 Depth=2
	s_or_b64 exec, exec, s[60:61]
.LBB4_2245:                             ;   in Loop: Header=BB4_2169 Depth=2
	s_or_b64 exec, exec, s[58:59]
.LBB4_2246:                             ;   in Loop: Header=BB4_2169 Depth=2
	s_or_b64 exec, exec, s[22:23]
	v_mul_f32_e32 v14, s64, v15
	v_and_b32_sdwa v8, v14, s76 dst_sel:DWORD dst_unused:UNUSED_PAD src0_sel:BYTE_3 src1_sel:DWORD
	v_and_b32_e32 v16, 0x7f800000, v14
	v_mov_b32_e32 v17, v39
	v_and_b32_e32 v38, 0x7fffff, v14
	v_or_b32_e32 v22, 0x7e, v8
	v_cmp_ne_u64_e32 vcc, s[42:43], v[16:17]
	s_and_saveexec_b64 s[22:23], vcc
	s_xor_b64 s[58:59], exec, s[22:23]
	s_cbranch_execz .LBB4_2260
; %bb.2247:                             ;   in Loop: Header=BB4_2169 Depth=2
	v_and_b32_e32 v16, 0x7fffffff, v14
	v_mov_b32_e32 v17, v39
	v_cmp_gt_u64_e32 vcc, s[44:45], v[16:17]
	s_and_saveexec_b64 s[22:23], vcc
	s_xor_b64 s[60:61], exec, s[22:23]
	s_cbranch_execz .LBB4_2259
; %bb.2248:                             ;   in Loop: Header=BB4_2169 Depth=2
	v_cmp_ne_u32_e32 vcc, 0, v14
	v_mov_b32_e32 v22, 0
	s_and_saveexec_b64 s[62:63], vcc
	s_cbranch_execz .LBB4_2258
; %bb.2249:                             ;   in Loop: Header=BB4_2169 Depth=2
	v_bfe_u32 v14, v14, 23, 8
	v_sub_u32_e32 v16, 0x79, v14
	v_cmp_gt_u32_e32 vcc, s77, v14
	v_add_u32_e32 v15, 0xffffff81, v14
	v_cndmask_b32_e32 v16, 0, v16, vcc
	v_cmp_eq_u32_e32 vcc, 0, v14
	v_mov_b32_e32 v14, 0xffffff82
	v_cndmask_b32_e32 v18, v15, v14, vcc
	v_mov_b32_e32 v14, 0x78
	v_or_b32_e32 v17, 0x800000, v38
	v_cndmask_b32_e32 v16, v16, v14, vcc
	v_cndmask_b32_e32 v38, v17, v38, vcc
	v_add_u32_e32 v14, 20, v16
	v_lshlrev_b64 v[14:15], v14, -1
	v_add_u32_e32 v17, 19, v16
	v_lshrrev_b64 v[26:27], v16, v[38:39]
	v_not_b32_e32 v15, v15
	v_not_b32_e32 v14, v14
	v_lshlrev_b64 v[20:21], v17, 1
	v_lshrrev_b32_e32 v17, 23, v26
	v_and_b32_e32 v15, 0, v15
	v_and_b32_e32 v14, v38, v14
	v_add3_u32 v19, v16, v18, v17
	v_bfe_u32 v16, v26, 20, 1
	v_add_u32_e32 v16, -1, v16
	v_cmp_eq_u64_e32 vcc, v[14:15], v[20:21]
	v_cndmask_b32_e32 v14, 0, v16, vcc
	v_add_u32_e32 v14, v14, v26
	v_and_b32_e32 v14, 0xfffff, v14
	v_add_co_u32_e32 v14, vcc, v14, v26
	v_add_u32_e32 v17, 6, v19
	v_addc_co_u32_e32 v15, vcc, 0, v27, vcc
	v_cmp_ne_u32_e32 vcc, 0, v17
                                        ; implicit-def: $vgpr16
	s_and_saveexec_b64 s[22:23], vcc
	s_xor_b64 s[22:23], exec, s[22:23]
; %bb.2250:                             ;   in Loop: Header=BB4_2169 Depth=2
	v_add_u32_e32 v16, 7, v19
	v_cmp_lt_u64_e32 vcc, s[48:49], v[14:15]
	v_cndmask_b32_e32 v16, v17, v16, vcc
	v_cndmask_b32_e64 v17, 0, 1, vcc
	v_lshrrev_b64 v[14:15], v17, v[14:15]
; %bb.2251:                             ;   in Loop: Header=BB4_2169 Depth=2
	s_andn2_saveexec_b64 s[22:23], s[22:23]
; %bb.2252:                             ;   in Loop: Header=BB4_2169 Depth=2
	v_bfe_u32 v16, v14, 23, 1
; %bb.2253:                             ;   in Loop: Header=BB4_2169 Depth=2
	s_or_b64 exec, exec, s[22:23]
	v_lshrrev_b64 v[14:15], 20, v[14:15]
	v_cmp_gt_i32_e32 vcc, 16, v16
	v_cndmask_b32_e32 v15, 0, v15, vcc
	v_cndmask_b32_e32 v14, 7, v14, vcc
	v_cmp_ne_u32_e32 vcc, 0, v16
	v_cmp_ne_u64_e64 s[22:23], 0, v[14:15]
	s_or_b64 s[22:23], vcc, s[22:23]
                                        ; implicit-def: $vgpr22
	s_and_saveexec_b64 vcc, s[22:23]
	s_xor_b64 s[22:23], exec, vcc
; %bb.2254:                             ;   in Loop: Header=BB4_2169 Depth=2
	v_min_i32_e32 v15, 15, v16
	v_lshl_or_b32 v8, v15, 3, v8
	v_and_or_b32 v22, v14, 7, v8
                                        ; implicit-def: $vgpr8
; %bb.2255:                             ;   in Loop: Header=BB4_2169 Depth=2
	s_andn2_saveexec_b64 s[22:23], s[22:23]
; %bb.2256:                             ;   in Loop: Header=BB4_2169 Depth=2
	v_mov_b32_e32 v22, v8
; %bb.2257:                             ;   in Loop: Header=BB4_2169 Depth=2
	s_or_b64 exec, exec, s[22:23]
.LBB4_2258:                             ;   in Loop: Header=BB4_2169 Depth=2
	s_or_b64 exec, exec, s[62:63]
.LBB4_2259:                             ;   in Loop: Header=BB4_2169 Depth=2
	s_andn2_saveexec_b64 s[22:23], s[60:61]
	s_or_b64 exec, exec, s[22:23]
                                        ; implicit-def: $vgpr14
.LBB4_2260:                             ;   in Loop: Header=BB4_2169 Depth=2
	s_andn2_saveexec_b64 s[22:23], s[58:59]
; %bb.2261:                             ;   in Loop: Header=BB4_2169 Depth=2
	v_or_b32_sdwa v8, v14, s75 dst_sel:DWORD dst_unused:UNUSED_PAD src0_sel:BYTE_3 src1_sel:DWORD
	v_cmp_eq_u64_e32 vcc, 0, v[38:39]
	v_cndmask_b32_e32 v22, v8, v22, vcc
; %bb.2262:                             ;   in Loop: Header=BB4_2169 Depth=2
	s_or_b64 exec, exec, s[22:23]
	flat_load_ubyte v8, v[2:3] offset:256 glc slc
	v_mov_b32_e32 v15, 0
	s_waitcnt vmcnt(0) lgkmcnt(0)
	v_cmp_ne_u16_e32 vcc, 0, v8
	s_and_saveexec_b64 s[22:23], vcc
	s_cbranch_execz .LBB4_2268
; %bb.2263:                             ;   in Loop: Header=BB4_2169 Depth=2
	v_cmp_ne_u16_e32 vcc, s76, v8
	v_bfrev_b32_e32 v15, 1
	s_and_saveexec_b64 s[58:59], vcc
	s_cbranch_execz .LBB4_2267
; %bb.2264:                             ;   in Loop: Header=BB4_2169 Depth=2
	v_and_b32_e32 v14, 0xffff, v8
	v_and_b32_e32 v16, 0x7f, v14
	v_cmp_ne_u32_e32 vcc, s75, v16
	v_mov_b32_e32 v15, 0x7f800001
	s_and_saveexec_b64 s[60:61], vcc
	s_cbranch_execz .LBB4_2266
; %bb.2265:                             ;   in Loop: Header=BB4_2169 Depth=2
	v_and_b32_e32 v17, 7, v14
	v_ffbh_u32_e32 v15, v17
	v_min_u32_e32 v19, 32, v15
	v_subrev_u32_e32 v15, 28, v19
	v_lshlrev_b64 v[14:15], v15, v[14:15]
	v_lshrrev_b32_e32 v18, 3, v16
	v_sub_u32_e32 v15, 29, v19
	v_and_b32_e32 v14, 7, v14
	v_cmp_gt_u32_e32 vcc, 8, v16
	v_cndmask_b32_e32 v15, v18, v15, vcc
	v_cndmask_b32_e32 v14, v17, v14, vcc
	v_lshlrev_b32_e32 v8, 24, v8
	v_bfrev_b32_e32 v16, 60
	v_lshlrev_b32_e32 v14, 20, v14
	v_and_b32_e32 v8, 0x80000000, v8
	v_lshl_add_u32 v15, v15, 23, v16
	v_or3_b32 v15, v8, v15, v14
.LBB4_2266:                             ;   in Loop: Header=BB4_2169 Depth=2
	s_or_b64 exec, exec, s[60:61]
.LBB4_2267:                             ;   in Loop: Header=BB4_2169 Depth=2
	s_or_b64 exec, exec, s[58:59]
.LBB4_2268:                             ;   in Loop: Header=BB4_2169 Depth=2
	s_or_b64 exec, exec, s[22:23]
	v_mul_f32_e32 v14, s64, v15
	v_and_b32_sdwa v8, v14, s76 dst_sel:DWORD dst_unused:UNUSED_PAD src0_sel:BYTE_3 src1_sel:DWORD
	v_and_b32_e32 v16, 0x7f800000, v14
	v_mov_b32_e32 v17, v39
	v_and_b32_e32 v38, 0x7fffff, v14
	v_or_b32_e32 v21, 0x7e, v8
	v_cmp_ne_u64_e32 vcc, s[42:43], v[16:17]
	s_and_saveexec_b64 s[22:23], vcc
	s_xor_b64 s[58:59], exec, s[22:23]
	s_cbranch_execz .LBB4_2282
; %bb.2269:                             ;   in Loop: Header=BB4_2169 Depth=2
	v_and_b32_e32 v16, 0x7fffffff, v14
	v_mov_b32_e32 v17, v39
	v_cmp_gt_u64_e32 vcc, s[44:45], v[16:17]
	s_and_saveexec_b64 s[22:23], vcc
	s_xor_b64 s[60:61], exec, s[22:23]
	s_cbranch_execz .LBB4_2281
; %bb.2270:                             ;   in Loop: Header=BB4_2169 Depth=2
	v_cmp_ne_u32_e32 vcc, 0, v14
	v_mov_b32_e32 v21, 0
	s_and_saveexec_b64 s[62:63], vcc
	s_cbranch_execz .LBB4_2280
; %bb.2271:                             ;   in Loop: Header=BB4_2169 Depth=2
	v_bfe_u32 v14, v14, 23, 8
	v_sub_u32_e32 v16, 0x79, v14
	v_cmp_gt_u32_e32 vcc, s77, v14
	v_add_u32_e32 v15, 0xffffff81, v14
	v_cndmask_b32_e32 v16, 0, v16, vcc
	v_cmp_eq_u32_e32 vcc, 0, v14
	v_mov_b32_e32 v14, 0xffffff82
	v_cndmask_b32_e32 v18, v15, v14, vcc
	v_mov_b32_e32 v14, 0x78
	v_or_b32_e32 v17, 0x800000, v38
	v_cndmask_b32_e32 v16, v16, v14, vcc
	v_cndmask_b32_e32 v38, v17, v38, vcc
	v_add_u32_e32 v14, 20, v16
	v_lshlrev_b64 v[14:15], v14, -1
	v_add_u32_e32 v17, 19, v16
	v_lshrrev_b64 v[26:27], v16, v[38:39]
	v_not_b32_e32 v15, v15
	v_not_b32_e32 v14, v14
	v_lshlrev_b64 v[20:21], v17, 1
	v_lshrrev_b32_e32 v17, 23, v26
	v_and_b32_e32 v15, 0, v15
	v_and_b32_e32 v14, v38, v14
	v_add3_u32 v19, v16, v18, v17
	v_bfe_u32 v16, v26, 20, 1
	v_add_u32_e32 v16, -1, v16
	v_cmp_eq_u64_e32 vcc, v[14:15], v[20:21]
	v_cndmask_b32_e32 v14, 0, v16, vcc
	v_add_u32_e32 v14, v14, v26
	v_and_b32_e32 v14, 0xfffff, v14
	v_add_co_u32_e32 v14, vcc, v14, v26
	v_add_u32_e32 v17, 6, v19
	v_addc_co_u32_e32 v15, vcc, 0, v27, vcc
	v_cmp_ne_u32_e32 vcc, 0, v17
                                        ; implicit-def: $vgpr16
	s_and_saveexec_b64 s[22:23], vcc
	s_xor_b64 s[22:23], exec, s[22:23]
; %bb.2272:                             ;   in Loop: Header=BB4_2169 Depth=2
	v_add_u32_e32 v16, 7, v19
	v_cmp_lt_u64_e32 vcc, s[48:49], v[14:15]
	v_cndmask_b32_e32 v16, v17, v16, vcc
	v_cndmask_b32_e64 v17, 0, 1, vcc
	v_lshrrev_b64 v[14:15], v17, v[14:15]
; %bb.2273:                             ;   in Loop: Header=BB4_2169 Depth=2
	s_andn2_saveexec_b64 s[22:23], s[22:23]
; %bb.2274:                             ;   in Loop: Header=BB4_2169 Depth=2
	v_bfe_u32 v16, v14, 23, 1
; %bb.2275:                             ;   in Loop: Header=BB4_2169 Depth=2
	s_or_b64 exec, exec, s[22:23]
	v_lshrrev_b64 v[14:15], 20, v[14:15]
	v_cmp_gt_i32_e32 vcc, 16, v16
	v_cndmask_b32_e32 v15, 0, v15, vcc
	v_cndmask_b32_e32 v14, 7, v14, vcc
	v_cmp_ne_u32_e32 vcc, 0, v16
	v_cmp_ne_u64_e64 s[22:23], 0, v[14:15]
	s_or_b64 s[22:23], vcc, s[22:23]
                                        ; implicit-def: $vgpr21
	s_and_saveexec_b64 vcc, s[22:23]
	s_xor_b64 s[22:23], exec, vcc
; %bb.2276:                             ;   in Loop: Header=BB4_2169 Depth=2
	v_min_i32_e32 v15, 15, v16
	v_lshl_or_b32 v8, v15, 3, v8
	v_and_or_b32 v21, v14, 7, v8
                                        ; implicit-def: $vgpr8
; %bb.2277:                             ;   in Loop: Header=BB4_2169 Depth=2
	s_andn2_saveexec_b64 s[22:23], s[22:23]
; %bb.2278:                             ;   in Loop: Header=BB4_2169 Depth=2
	v_mov_b32_e32 v21, v8
; %bb.2279:                             ;   in Loop: Header=BB4_2169 Depth=2
	s_or_b64 exec, exec, s[22:23]
.LBB4_2280:                             ;   in Loop: Header=BB4_2169 Depth=2
	s_or_b64 exec, exec, s[62:63]
.LBB4_2281:                             ;   in Loop: Header=BB4_2169 Depth=2
	s_andn2_saveexec_b64 s[22:23], s[60:61]
	s_or_b64 exec, exec, s[22:23]
                                        ; implicit-def: $vgpr14
.LBB4_2282:                             ;   in Loop: Header=BB4_2169 Depth=2
	s_andn2_saveexec_b64 s[22:23], s[58:59]
; %bb.2283:                             ;   in Loop: Header=BB4_2169 Depth=2
	v_or_b32_sdwa v8, v14, s75 dst_sel:DWORD dst_unused:UNUSED_PAD src0_sel:BYTE_3 src1_sel:DWORD
	v_cmp_eq_u64_e32 vcc, 0, v[38:39]
	v_cndmask_b32_e32 v21, v8, v21, vcc
; %bb.2284:                             ;   in Loop: Header=BB4_2169 Depth=2
	s_or_b64 exec, exec, s[22:23]
	flat_load_ubyte v8, v[2:3] offset:320 glc slc
	v_mov_b32_e32 v15, 0
	s_waitcnt vmcnt(0) lgkmcnt(0)
	v_cmp_ne_u16_e32 vcc, 0, v8
	s_and_saveexec_b64 s[22:23], vcc
	s_cbranch_execz .LBB4_2290
; %bb.2285:                             ;   in Loop: Header=BB4_2169 Depth=2
	v_cmp_ne_u16_e32 vcc, s76, v8
	v_bfrev_b32_e32 v15, 1
	s_and_saveexec_b64 s[58:59], vcc
	s_cbranch_execz .LBB4_2289
; %bb.2286:                             ;   in Loop: Header=BB4_2169 Depth=2
	v_and_b32_e32 v14, 0xffff, v8
	v_and_b32_e32 v16, 0x7f, v14
	v_cmp_ne_u32_e32 vcc, s75, v16
	v_mov_b32_e32 v15, 0x7f800001
	s_and_saveexec_b64 s[60:61], vcc
	s_cbranch_execz .LBB4_2288
; %bb.2287:                             ;   in Loop: Header=BB4_2169 Depth=2
	v_and_b32_e32 v17, 7, v14
	v_ffbh_u32_e32 v15, v17
	v_min_u32_e32 v19, 32, v15
	v_subrev_u32_e32 v15, 28, v19
	v_lshlrev_b64 v[14:15], v15, v[14:15]
	v_lshrrev_b32_e32 v18, 3, v16
	v_sub_u32_e32 v15, 29, v19
	v_and_b32_e32 v14, 7, v14
	v_cmp_gt_u32_e32 vcc, 8, v16
	v_cndmask_b32_e32 v15, v18, v15, vcc
	v_cndmask_b32_e32 v14, v17, v14, vcc
	v_lshlrev_b32_e32 v8, 24, v8
	v_bfrev_b32_e32 v16, 60
	v_lshlrev_b32_e32 v14, 20, v14
	v_and_b32_e32 v8, 0x80000000, v8
	v_lshl_add_u32 v15, v15, 23, v16
	v_or3_b32 v15, v8, v15, v14
.LBB4_2288:                             ;   in Loop: Header=BB4_2169 Depth=2
	s_or_b64 exec, exec, s[60:61]
.LBB4_2289:                             ;   in Loop: Header=BB4_2169 Depth=2
	s_or_b64 exec, exec, s[58:59]
.LBB4_2290:                             ;   in Loop: Header=BB4_2169 Depth=2
	s_or_b64 exec, exec, s[22:23]
	v_mul_f32_e32 v14, s64, v15
	v_and_b32_sdwa v8, v14, s76 dst_sel:DWORD dst_unused:UNUSED_PAD src0_sel:BYTE_3 src1_sel:DWORD
	v_and_b32_e32 v16, 0x7f800000, v14
	v_mov_b32_e32 v17, v39
	v_and_b32_e32 v38, 0x7fffff, v14
	v_or_b32_e32 v19, 0x7e, v8
	v_cmp_ne_u64_e32 vcc, s[42:43], v[16:17]
	s_and_saveexec_b64 s[22:23], vcc
	s_xor_b64 s[58:59], exec, s[22:23]
	s_cbranch_execz .LBB4_2304
; %bb.2291:                             ;   in Loop: Header=BB4_2169 Depth=2
	v_and_b32_e32 v16, 0x7fffffff, v14
	v_mov_b32_e32 v17, v39
	v_cmp_gt_u64_e32 vcc, s[44:45], v[16:17]
	s_and_saveexec_b64 s[22:23], vcc
	s_xor_b64 s[60:61], exec, s[22:23]
	s_cbranch_execz .LBB4_2303
; %bb.2292:                             ;   in Loop: Header=BB4_2169 Depth=2
	v_cmp_ne_u32_e32 vcc, 0, v14
	v_mov_b32_e32 v19, 0
	s_and_saveexec_b64 s[62:63], vcc
	s_cbranch_execz .LBB4_2302
; %bb.2293:                             ;   in Loop: Header=BB4_2169 Depth=2
	v_bfe_u32 v14, v14, 23, 8
	v_sub_u32_e32 v16, 0x79, v14
	v_cmp_gt_u32_e32 vcc, s77, v14
	v_add_u32_e32 v15, 0xffffff81, v14
	v_cndmask_b32_e32 v16, 0, v16, vcc
	v_cmp_eq_u32_e32 vcc, 0, v14
	v_mov_b32_e32 v14, 0xffffff82
	v_cndmask_b32_e32 v18, v15, v14, vcc
	v_mov_b32_e32 v14, 0x78
	v_or_b32_e32 v17, 0x800000, v38
	v_cndmask_b32_e32 v16, v16, v14, vcc
	v_cndmask_b32_e32 v38, v17, v38, vcc
	v_add_u32_e32 v14, 20, v16
	v_lshlrev_b64 v[14:15], v14, -1
	v_add_u32_e32 v17, 19, v16
	v_lshrrev_b64 v[30:31], v16, v[38:39]
	v_not_b32_e32 v15, v15
	v_not_b32_e32 v14, v14
	v_lshlrev_b64 v[26:27], v17, 1
	v_lshrrev_b32_e32 v17, 23, v30
	v_and_b32_e32 v15, 0, v15
	v_and_b32_e32 v14, v38, v14
	v_add3_u32 v19, v16, v18, v17
	v_bfe_u32 v16, v30, 20, 1
	v_add_u32_e32 v16, -1, v16
	v_cmp_eq_u64_e32 vcc, v[14:15], v[26:27]
	v_cndmask_b32_e32 v14, 0, v16, vcc
	v_add_u32_e32 v14, v14, v30
	v_and_b32_e32 v14, 0xfffff, v14
	v_add_co_u32_e32 v14, vcc, v14, v30
	v_add_u32_e32 v17, 6, v19
	v_addc_co_u32_e32 v15, vcc, 0, v31, vcc
	v_cmp_ne_u32_e32 vcc, 0, v17
                                        ; implicit-def: $vgpr16
	s_and_saveexec_b64 s[22:23], vcc
	s_xor_b64 s[22:23], exec, s[22:23]
; %bb.2294:                             ;   in Loop: Header=BB4_2169 Depth=2
	v_add_u32_e32 v16, 7, v19
	v_cmp_lt_u64_e32 vcc, s[48:49], v[14:15]
	v_cndmask_b32_e32 v16, v17, v16, vcc
	v_cndmask_b32_e64 v17, 0, 1, vcc
	v_lshrrev_b64 v[14:15], v17, v[14:15]
; %bb.2295:                             ;   in Loop: Header=BB4_2169 Depth=2
	s_andn2_saveexec_b64 s[22:23], s[22:23]
; %bb.2296:                             ;   in Loop: Header=BB4_2169 Depth=2
	v_bfe_u32 v16, v14, 23, 1
; %bb.2297:                             ;   in Loop: Header=BB4_2169 Depth=2
	s_or_b64 exec, exec, s[22:23]
	v_lshrrev_b64 v[14:15], 20, v[14:15]
	v_cmp_gt_i32_e32 vcc, 16, v16
	v_cndmask_b32_e32 v15, 0, v15, vcc
	v_cndmask_b32_e32 v14, 7, v14, vcc
	v_cmp_ne_u32_e32 vcc, 0, v16
	v_cmp_ne_u64_e64 s[22:23], 0, v[14:15]
	s_or_b64 s[22:23], vcc, s[22:23]
                                        ; implicit-def: $vgpr19
	s_and_saveexec_b64 vcc, s[22:23]
	s_xor_b64 s[22:23], exec, vcc
; %bb.2298:                             ;   in Loop: Header=BB4_2169 Depth=2
	v_min_i32_e32 v15, 15, v16
	v_lshl_or_b32 v8, v15, 3, v8
	v_and_or_b32 v19, v14, 7, v8
                                        ; implicit-def: $vgpr8
; %bb.2299:                             ;   in Loop: Header=BB4_2169 Depth=2
	s_andn2_saveexec_b64 s[22:23], s[22:23]
; %bb.2300:                             ;   in Loop: Header=BB4_2169 Depth=2
	v_mov_b32_e32 v19, v8
; %bb.2301:                             ;   in Loop: Header=BB4_2169 Depth=2
	s_or_b64 exec, exec, s[22:23]
.LBB4_2302:                             ;   in Loop: Header=BB4_2169 Depth=2
	s_or_b64 exec, exec, s[62:63]
.LBB4_2303:                             ;   in Loop: Header=BB4_2169 Depth=2
	s_andn2_saveexec_b64 s[22:23], s[60:61]
	s_or_b64 exec, exec, s[22:23]
                                        ; implicit-def: $vgpr14
.LBB4_2304:                             ;   in Loop: Header=BB4_2169 Depth=2
	s_andn2_saveexec_b64 s[22:23], s[58:59]
; %bb.2305:                             ;   in Loop: Header=BB4_2169 Depth=2
	v_or_b32_sdwa v8, v14, s75 dst_sel:DWORD dst_unused:UNUSED_PAD src0_sel:BYTE_3 src1_sel:DWORD
	v_cmp_eq_u64_e32 vcc, 0, v[38:39]
	v_cndmask_b32_e32 v19, v8, v19, vcc
; %bb.2306:                             ;   in Loop: Header=BB4_2169 Depth=2
	s_or_b64 exec, exec, s[22:23]
	flat_load_ubyte v8, v[2:3] offset:384 glc slc
	v_mov_b32_e32 v15, 0
	s_waitcnt vmcnt(0) lgkmcnt(0)
	v_cmp_ne_u16_e32 vcc, 0, v8
	s_and_saveexec_b64 s[22:23], vcc
	s_cbranch_execz .LBB4_2312
; %bb.2307:                             ;   in Loop: Header=BB4_2169 Depth=2
	v_cmp_ne_u16_e32 vcc, s76, v8
	v_bfrev_b32_e32 v15, 1
	s_and_saveexec_b64 s[58:59], vcc
	s_cbranch_execz .LBB4_2311
; %bb.2308:                             ;   in Loop: Header=BB4_2169 Depth=2
	v_and_b32_e32 v14, 0xffff, v8
	v_and_b32_e32 v16, 0x7f, v14
	v_cmp_ne_u32_e32 vcc, s75, v16
	v_mov_b32_e32 v15, 0x7f800001
	s_and_saveexec_b64 s[60:61], vcc
	s_cbranch_execz .LBB4_2310
; %bb.2309:                             ;   in Loop: Header=BB4_2169 Depth=2
	v_and_b32_e32 v17, 7, v14
	v_ffbh_u32_e32 v15, v17
	v_min_u32_e32 v20, 32, v15
	v_subrev_u32_e32 v15, 28, v20
	v_lshlrev_b64 v[14:15], v15, v[14:15]
	v_lshrrev_b32_e32 v18, 3, v16
	v_sub_u32_e32 v15, 29, v20
	v_and_b32_e32 v14, 7, v14
	v_cmp_gt_u32_e32 vcc, 8, v16
	v_cndmask_b32_e32 v15, v18, v15, vcc
	v_cndmask_b32_e32 v14, v17, v14, vcc
	v_lshlrev_b32_e32 v8, 24, v8
	v_bfrev_b32_e32 v16, 60
	v_lshlrev_b32_e32 v14, 20, v14
	v_and_b32_e32 v8, 0x80000000, v8
	v_lshl_add_u32 v15, v15, 23, v16
	v_or3_b32 v15, v8, v15, v14
.LBB4_2310:                             ;   in Loop: Header=BB4_2169 Depth=2
	s_or_b64 exec, exec, s[60:61]
.LBB4_2311:                             ;   in Loop: Header=BB4_2169 Depth=2
	s_or_b64 exec, exec, s[58:59]
.LBB4_2312:                             ;   in Loop: Header=BB4_2169 Depth=2
	s_or_b64 exec, exec, s[22:23]
	v_mul_f32_e32 v14, s64, v15
	v_and_b32_sdwa v8, v14, s76 dst_sel:DWORD dst_unused:UNUSED_PAD src0_sel:BYTE_3 src1_sel:DWORD
	v_and_b32_e32 v26, 0x7f800000, v14
	v_mov_b32_e32 v27, v39
	v_and_b32_e32 v38, 0x7fffff, v14
	v_or_b32_e32 v16, 0x7e, v8
	v_cmp_ne_u64_e32 vcc, s[42:43], v[26:27]
	s_and_saveexec_b64 s[22:23], vcc
	s_xor_b64 s[58:59], exec, s[22:23]
	s_cbranch_execz .LBB4_2326
; %bb.2313:                             ;   in Loop: Header=BB4_2169 Depth=2
	v_and_b32_e32 v26, 0x7fffffff, v14
	v_mov_b32_e32 v27, v39
	v_cmp_gt_u64_e32 vcc, s[44:45], v[26:27]
	s_and_saveexec_b64 s[22:23], vcc
	s_xor_b64 s[60:61], exec, s[22:23]
	s_cbranch_execz .LBB4_2325
; %bb.2314:                             ;   in Loop: Header=BB4_2169 Depth=2
	v_cmp_ne_u32_e32 vcc, 0, v14
	v_mov_b32_e32 v16, 0
	s_and_saveexec_b64 s[62:63], vcc
	s_cbranch_execz .LBB4_2324
; %bb.2315:                             ;   in Loop: Header=BB4_2169 Depth=2
	v_bfe_u32 v14, v14, 23, 8
	v_sub_u32_e32 v16, 0x79, v14
	v_cmp_gt_u32_e32 vcc, s77, v14
	v_add_u32_e32 v15, 0xffffff81, v14
	v_cndmask_b32_e32 v16, 0, v16, vcc
	v_cmp_eq_u32_e32 vcc, 0, v14
	v_mov_b32_e32 v14, 0xffffff82
	v_cndmask_b32_e32 v18, v15, v14, vcc
	v_mov_b32_e32 v14, 0x78
	v_or_b32_e32 v17, 0x800000, v38
	v_cndmask_b32_e32 v16, v16, v14, vcc
	v_cndmask_b32_e32 v38, v17, v38, vcc
	v_add_u32_e32 v14, 20, v16
	v_lshlrev_b64 v[14:15], v14, -1
	v_add_u32_e32 v17, 19, v16
	v_lshrrev_b64 v[30:31], v16, v[38:39]
	v_not_b32_e32 v15, v15
	v_not_b32_e32 v14, v14
	v_lshlrev_b64 v[26:27], v17, 1
	v_lshrrev_b32_e32 v17, 23, v30
	v_and_b32_e32 v15, 0, v15
	v_and_b32_e32 v14, v38, v14
	v_add3_u32 v25, v16, v18, v17
	v_bfe_u32 v17, v30, 20, 1
	v_add_u32_e32 v17, -1, v17
	v_cmp_eq_u64_e32 vcc, v[14:15], v[26:27]
	v_cndmask_b32_e32 v14, 0, v17, vcc
	v_add_u32_e32 v14, v14, v30
	v_and_b32_e32 v14, 0xfffff, v14
	v_add_co_u32_e32 v14, vcc, v14, v30
	v_add_u32_e32 v16, 6, v25
	v_addc_co_u32_e32 v15, vcc, 0, v31, vcc
	v_cmp_ne_u32_e32 vcc, 0, v16
                                        ; implicit-def: $vgpr17
	s_and_saveexec_b64 s[22:23], vcc
	s_xor_b64 s[22:23], exec, s[22:23]
; %bb.2316:                             ;   in Loop: Header=BB4_2169 Depth=2
	v_add_u32_e32 v17, 7, v25
	v_cmp_lt_u64_e32 vcc, s[48:49], v[14:15]
	v_cndmask_b32_e32 v17, v16, v17, vcc
	v_cndmask_b32_e64 v16, 0, 1, vcc
	v_lshrrev_b64 v[14:15], v16, v[14:15]
; %bb.2317:                             ;   in Loop: Header=BB4_2169 Depth=2
	s_andn2_saveexec_b64 s[22:23], s[22:23]
; %bb.2318:                             ;   in Loop: Header=BB4_2169 Depth=2
	v_bfe_u32 v17, v14, 23, 1
; %bb.2319:                             ;   in Loop: Header=BB4_2169 Depth=2
	s_or_b64 exec, exec, s[22:23]
	v_lshrrev_b64 v[14:15], 20, v[14:15]
	v_cmp_gt_i32_e32 vcc, 16, v17
	v_cndmask_b32_e32 v15, 0, v15, vcc
	v_cndmask_b32_e32 v14, 7, v14, vcc
	v_cmp_ne_u32_e32 vcc, 0, v17
	v_cmp_ne_u64_e64 s[22:23], 0, v[14:15]
	s_or_b64 s[22:23], vcc, s[22:23]
                                        ; implicit-def: $vgpr16
	s_and_saveexec_b64 vcc, s[22:23]
	s_xor_b64 s[22:23], exec, vcc
; %bb.2320:                             ;   in Loop: Header=BB4_2169 Depth=2
	v_min_i32_e32 v15, 15, v17
	v_lshl_or_b32 v8, v15, 3, v8
	v_and_or_b32 v16, v14, 7, v8
                                        ; implicit-def: $vgpr8
; %bb.2321:                             ;   in Loop: Header=BB4_2169 Depth=2
	s_andn2_saveexec_b64 s[22:23], s[22:23]
; %bb.2322:                             ;   in Loop: Header=BB4_2169 Depth=2
	v_mov_b32_e32 v16, v8
; %bb.2323:                             ;   in Loop: Header=BB4_2169 Depth=2
	s_or_b64 exec, exec, s[22:23]
.LBB4_2324:                             ;   in Loop: Header=BB4_2169 Depth=2
	s_or_b64 exec, exec, s[62:63]
.LBB4_2325:                             ;   in Loop: Header=BB4_2169 Depth=2
	s_andn2_saveexec_b64 s[22:23], s[60:61]
	s_or_b64 exec, exec, s[22:23]
                                        ; implicit-def: $vgpr14
.LBB4_2326:                             ;   in Loop: Header=BB4_2169 Depth=2
	s_andn2_saveexec_b64 s[22:23], s[58:59]
; %bb.2327:                             ;   in Loop: Header=BB4_2169 Depth=2
	v_or_b32_sdwa v8, v14, s75 dst_sel:DWORD dst_unused:UNUSED_PAD src0_sel:BYTE_3 src1_sel:DWORD
	v_cmp_eq_u64_e32 vcc, 0, v[38:39]
	v_cndmask_b32_e32 v16, v8, v16, vcc
; %bb.2328:                             ;   in Loop: Header=BB4_2169 Depth=2
	s_or_b64 exec, exec, s[22:23]
	flat_load_ubyte v8, v[2:3] offset:448 glc slc
	v_mov_b32_e32 v15, 0
	s_waitcnt vmcnt(0) lgkmcnt(0)
	v_cmp_ne_u16_e32 vcc, 0, v8
	s_and_saveexec_b64 s[22:23], vcc
	s_cbranch_execz .LBB4_2334
; %bb.2329:                             ;   in Loop: Header=BB4_2169 Depth=2
	v_cmp_ne_u16_e32 vcc, s76, v8
	v_bfrev_b32_e32 v15, 1
	s_and_saveexec_b64 s[58:59], vcc
	s_cbranch_execz .LBB4_2333
; %bb.2330:                             ;   in Loop: Header=BB4_2169 Depth=2
	v_and_b32_e32 v14, 0xffff, v8
	v_and_b32_e32 v17, 0x7f, v14
	v_cmp_ne_u32_e32 vcc, s75, v17
	v_mov_b32_e32 v15, 0x7f800001
	s_and_saveexec_b64 s[60:61], vcc
	s_cbranch_execz .LBB4_2332
; %bb.2331:                             ;   in Loop: Header=BB4_2169 Depth=2
	v_and_b32_e32 v18, 7, v14
	v_ffbh_u32_e32 v15, v18
	v_min_u32_e32 v25, 32, v15
	v_subrev_u32_e32 v15, 28, v25
	v_lshlrev_b64 v[14:15], v15, v[14:15]
	v_lshrrev_b32_e32 v20, 3, v17
	v_sub_u32_e32 v15, 29, v25
	v_and_b32_e32 v14, 7, v14
	v_cmp_gt_u32_e32 vcc, 8, v17
	v_cndmask_b32_e32 v15, v20, v15, vcc
	v_cndmask_b32_e32 v14, v18, v14, vcc
	v_lshlrev_b32_e32 v8, 24, v8
	v_bfrev_b32_e32 v17, 60
	v_lshlrev_b32_e32 v14, 20, v14
	v_and_b32_e32 v8, 0x80000000, v8
	v_lshl_add_u32 v15, v15, 23, v17
	v_or3_b32 v15, v8, v15, v14
.LBB4_2332:                             ;   in Loop: Header=BB4_2169 Depth=2
	s_or_b64 exec, exec, s[60:61]
.LBB4_2333:                             ;   in Loop: Header=BB4_2169 Depth=2
	s_or_b64 exec, exec, s[58:59]
.LBB4_2334:                             ;   in Loop: Header=BB4_2169 Depth=2
	s_or_b64 exec, exec, s[22:23]
	v_mul_f32_e32 v14, s64, v15
	v_and_b32_sdwa v17, v14, s76 dst_sel:DWORD dst_unused:UNUSED_PAD src0_sel:BYTE_3 src1_sel:DWORD
	v_and_b32_e32 v26, 0x7f800000, v14
	v_mov_b32_e32 v27, v39
	v_and_b32_e32 v38, 0x7fffff, v14
	v_or_b32_e32 v8, 0x7e, v17
	v_cmp_ne_u64_e32 vcc, s[42:43], v[26:27]
	s_and_saveexec_b64 s[22:23], vcc
	s_xor_b64 s[58:59], exec, s[22:23]
	s_cbranch_execz .LBB4_2348
; %bb.2335:                             ;   in Loop: Header=BB4_2169 Depth=2
	v_and_b32_e32 v26, 0x7fffffff, v14
	v_mov_b32_e32 v27, v39
	v_cmp_gt_u64_e32 vcc, s[44:45], v[26:27]
	s_and_saveexec_b64 s[22:23], vcc
	s_xor_b64 s[60:61], exec, s[22:23]
	s_cbranch_execz .LBB4_2347
; %bb.2336:                             ;   in Loop: Header=BB4_2169 Depth=2
	v_cmp_ne_u32_e32 vcc, 0, v14
	v_mov_b32_e32 v8, 0
	s_and_saveexec_b64 s[62:63], vcc
	s_cbranch_execz .LBB4_2346
; %bb.2337:                             ;   in Loop: Header=BB4_2169 Depth=2
	v_bfe_u32 v8, v14, 23, 8
	v_sub_u32_e32 v15, 0x79, v8
	v_cmp_gt_u32_e32 vcc, s77, v8
	v_add_u32_e32 v14, 0xffffff81, v8
	v_cndmask_b32_e32 v15, 0, v15, vcc
	v_cmp_eq_u32_e32 vcc, 0, v8
	v_mov_b32_e32 v8, 0xffffff82
	v_cndmask_b32_e32 v8, v14, v8, vcc
	v_mov_b32_e32 v14, 0x78
	v_or_b32_e32 v18, 0x800000, v38
	v_cndmask_b32_e32 v20, v15, v14, vcc
	v_cndmask_b32_e32 v38, v18, v38, vcc
	v_add_u32_e32 v14, 20, v20
	v_lshlrev_b64 v[14:15], v14, -1
	v_add_u32_e32 v18, 19, v20
	v_lshrrev_b64 v[32:33], v20, v[38:39]
	v_not_b32_e32 v15, v15
	v_not_b32_e32 v14, v14
	v_lshlrev_b64 v[30:31], v18, 1
	v_lshrrev_b32_e32 v18, 23, v32
	v_and_b32_e32 v15, 0, v15
	v_and_b32_e32 v14, v38, v14
	v_add3_u32 v26, v20, v8, v18
	v_bfe_u32 v18, v32, 20, 1
	v_add_u32_e32 v18, -1, v18
	v_cmp_eq_u64_e32 vcc, v[14:15], v[30:31]
	v_cndmask_b32_e32 v14, 0, v18, vcc
	v_add_u32_e32 v14, v14, v32
	v_and_b32_e32 v14, 0xfffff, v14
	v_add_co_u32_e32 v14, vcc, v14, v32
	v_add_u32_e32 v8, 6, v26
	v_addc_co_u32_e32 v15, vcc, 0, v33, vcc
	v_cmp_ne_u32_e32 vcc, 0, v8
                                        ; implicit-def: $vgpr25
	s_and_saveexec_b64 s[22:23], vcc
	s_xor_b64 s[22:23], exec, s[22:23]
; %bb.2338:                             ;   in Loop: Header=BB4_2169 Depth=2
	v_add_u32_e32 v18, 7, v26
	v_cmp_lt_u64_e32 vcc, s[48:49], v[14:15]
	v_cndmask_b32_e32 v25, v8, v18, vcc
	v_cndmask_b32_e64 v8, 0, 1, vcc
	v_lshrrev_b64 v[14:15], v8, v[14:15]
; %bb.2339:                             ;   in Loop: Header=BB4_2169 Depth=2
	s_andn2_saveexec_b64 s[22:23], s[22:23]
; %bb.2340:                             ;   in Loop: Header=BB4_2169 Depth=2
	v_bfe_u32 v25, v14, 23, 1
; %bb.2341:                             ;   in Loop: Header=BB4_2169 Depth=2
	s_or_b64 exec, exec, s[22:23]
	v_lshrrev_b64 v[14:15], 20, v[14:15]
	v_cmp_gt_i32_e32 vcc, 16, v25
	v_cndmask_b32_e32 v15, 0, v15, vcc
	v_cndmask_b32_e32 v14, 7, v14, vcc
	v_cmp_ne_u32_e32 vcc, 0, v25
	v_cmp_ne_u64_e64 s[22:23], 0, v[14:15]
	s_or_b64 s[22:23], vcc, s[22:23]
                                        ; implicit-def: $vgpr8
	s_and_saveexec_b64 vcc, s[22:23]
	s_xor_b64 s[22:23], exec, vcc
; %bb.2342:                             ;   in Loop: Header=BB4_2169 Depth=2
	v_min_i32_e32 v8, 15, v25
	v_lshl_or_b32 v8, v8, 3, v17
	v_and_or_b32 v8, v14, 7, v8
                                        ; implicit-def: $vgpr17
; %bb.2343:                             ;   in Loop: Header=BB4_2169 Depth=2
	s_andn2_saveexec_b64 s[22:23], s[22:23]
; %bb.2344:                             ;   in Loop: Header=BB4_2169 Depth=2
	v_mov_b32_e32 v8, v17
; %bb.2345:                             ;   in Loop: Header=BB4_2169 Depth=2
	s_or_b64 exec, exec, s[22:23]
.LBB4_2346:                             ;   in Loop: Header=BB4_2169 Depth=2
	s_or_b64 exec, exec, s[62:63]
.LBB4_2347:                             ;   in Loop: Header=BB4_2169 Depth=2
	s_andn2_saveexec_b64 s[22:23], s[60:61]
	s_or_b64 exec, exec, s[22:23]
                                        ; implicit-def: $vgpr14
.LBB4_2348:                             ;   in Loop: Header=BB4_2169 Depth=2
	s_andn2_saveexec_b64 s[22:23], s[58:59]
; %bb.2349:                             ;   in Loop: Header=BB4_2169 Depth=2
	v_or_b32_sdwa v14, v14, s75 dst_sel:DWORD dst_unused:UNUSED_PAD src0_sel:BYTE_3 src1_sel:DWORD
	v_cmp_eq_u64_e32 vcc, 0, v[38:39]
	v_cndmask_b32_e32 v8, v14, v8, vcc
; %bb.2350:                             ;   in Loop: Header=BB4_2169 Depth=2
	s_or_b64 exec, exec, s[22:23]
	flat_load_ubyte v15, v[10:11] glc slc
	flat_load_ubyte v32, v[10:11] offset:64 glc slc
	flat_load_ubyte v31, v[10:11] offset:128 glc slc
	;; [unrolled: 1-line block ×7, first 2 shown]
	v_and_b32_e32 v14, 0xff, v9
	v_cmp_ne_u16_e32 vcc, 0, v14
	v_mov_b32_e32 v33, 0
	v_mov_b32_e32 v34, 0
	s_and_saveexec_b64 s[22:23], vcc
	s_cbranch_execz .LBB4_2356
; %bb.2351:                             ;   in Loop: Header=BB4_2169 Depth=2
	v_cmp_ne_u16_e32 vcc, s76, v14
	v_bfrev_b32_e32 v34, 1
	s_and_saveexec_b64 s[58:59], vcc
	s_cbranch_execz .LBB4_2355
; %bb.2352:                             ;   in Loop: Header=BB4_2169 Depth=2
	v_and_b32_e32 v35, 0x7f, v9
	v_cmp_ne_u32_e32 vcc, s75, v35
	v_mov_b32_e32 v34, 0x7f800001
	s_and_saveexec_b64 s[60:61], vcc
	s_cbranch_execz .LBB4_2354
; %bb.2353:                             ;   in Loop: Header=BB4_2169 Depth=2
	v_and_b32_e32 v18, 7, v14
	v_ffbh_u32_e32 v34, v18
	v_min_u32_e32 v34, 32, v34
	v_subrev_u32_e32 v36, 28, v34
	s_waitcnt vmcnt(0) lgkmcnt(0)
	v_lshlrev_b64 v[36:37], v36, v[14:15]
	v_lshrrev_b32_e32 v20, 3, v35
	v_sub_u32_e32 v14, 29, v34
	v_and_b32_e32 v34, 7, v36
	v_cmp_gt_u32_e32 vcc, 8, v35
	v_cndmask_b32_e32 v14, v20, v14, vcc
	v_cndmask_b32_e32 v18, v18, v34, vcc
	v_lshlrev_b32_e32 v9, 24, v9
	v_bfrev_b32_e32 v20, 60
	v_lshlrev_b32_e32 v18, 20, v18
	v_and_b32_e32 v9, 0x80000000, v9
	v_lshl_add_u32 v14, v14, 23, v20
	v_or3_b32 v34, v9, v14, v18
.LBB4_2354:                             ;   in Loop: Header=BB4_2169 Depth=2
	s_or_b64 exec, exec, s[60:61]
.LBB4_2355:                             ;   in Loop: Header=BB4_2169 Depth=2
	s_or_b64 exec, exec, s[58:59]
.LBB4_2356:                             ;   in Loop: Header=BB4_2169 Depth=2
	s_or_b64 exec, exec, s[22:23]
	s_waitcnt vmcnt(0) lgkmcnt(0)
	v_and_b32_e32 v14, 0xff, v15
	v_cmp_ne_u16_e32 vcc, 0, v14
	s_and_saveexec_b64 s[22:23], vcc
	s_cbranch_execz .LBB4_2362
; %bb.2357:                             ;   in Loop: Header=BB4_2169 Depth=2
	v_cmp_ne_u16_e32 vcc, s76, v14
	v_bfrev_b32_e32 v33, 1
	s_and_saveexec_b64 s[58:59], vcc
	s_cbranch_execz .LBB4_2361
; %bb.2358:                             ;   in Loop: Header=BB4_2169 Depth=2
	v_and_b32_e32 v9, 0x7f, v15
	v_cmp_ne_u32_e32 vcc, s75, v9
	v_mov_b32_e32 v33, 0x7f800001
	s_and_saveexec_b64 s[60:61], vcc
	s_cbranch_execz .LBB4_2360
; %bb.2359:                             ;   in Loop: Header=BB4_2169 Depth=2
	v_and_b32_e32 v18, 7, v14
	v_ffbh_u32_e32 v33, v18
	v_min_u32_e32 v33, 32, v33
	v_subrev_u32_e32 v35, 28, v33
	v_lshlrev_b64 v[36:37], v35, v[14:15]
	v_lshrrev_b32_e32 v20, 3, v9
	v_sub_u32_e32 v14, 29, v33
	v_and_b32_e32 v33, 7, v36
	v_cmp_gt_u32_e32 vcc, 8, v9
	v_cndmask_b32_e32 v9, v20, v14, vcc
	v_cndmask_b32_e32 v14, v18, v33, vcc
	v_lshlrev_b32_e32 v15, 24, v15
	v_bfrev_b32_e32 v18, 60
	v_lshlrev_b32_e32 v14, 20, v14
	v_and_b32_e32 v15, 0x80000000, v15
	v_lshl_add_u32 v9, v9, 23, v18
	v_or3_b32 v33, v15, v9, v14
.LBB4_2360:                             ;   in Loop: Header=BB4_2169 Depth=2
	s_or_b64 exec, exec, s[60:61]
.LBB4_2361:                             ;   in Loop: Header=BB4_2169 Depth=2
	s_or_b64 exec, exec, s[58:59]
.LBB4_2362:                             ;   in Loop: Header=BB4_2169 Depth=2
	s_or_b64 exec, exec, s[22:23]
	v_add_f32_e32 v14, v34, v33
	v_and_b32_sdwa v33, v14, s76 dst_sel:DWORD dst_unused:UNUSED_PAD src0_sel:BYTE_3 src1_sel:DWORD
	v_and_b32_e32 v34, 0x7f800000, v14
	v_mov_b32_e32 v35, v39
	v_and_b32_e32 v38, 0x7fffff, v14
	v_or_b32_e32 v9, 0x7e, v33
	v_cmp_ne_u64_e32 vcc, s[42:43], v[34:35]
	s_and_saveexec_b64 s[22:23], vcc
	s_xor_b64 s[58:59], exec, s[22:23]
	s_cbranch_execz .LBB4_2376
; %bb.2363:                             ;   in Loop: Header=BB4_2169 Depth=2
	v_and_b32_e32 v34, 0x7fffffff, v14
	v_mov_b32_e32 v35, v39
	v_cmp_gt_u64_e32 vcc, s[44:45], v[34:35]
	s_and_saveexec_b64 s[22:23], vcc
	s_xor_b64 s[60:61], exec, s[22:23]
	s_cbranch_execz .LBB4_2375
; %bb.2364:                             ;   in Loop: Header=BB4_2169 Depth=2
	v_cmp_ne_u32_e32 vcc, 0, v14
	v_mov_b32_e32 v9, 0
	s_and_saveexec_b64 s[62:63], vcc
	s_cbranch_execz .LBB4_2374
; %bb.2365:                             ;   in Loop: Header=BB4_2169 Depth=2
	v_bfe_u32 v9, v14, 23, 8
	v_sub_u32_e32 v15, 0x79, v9
	v_cmp_gt_u32_e32 vcc, s77, v9
	v_add_u32_e32 v14, 0xffffff81, v9
	v_cndmask_b32_e32 v15, 0, v15, vcc
	v_cmp_eq_u32_e32 vcc, 0, v9
	v_mov_b32_e32 v9, 0xffffff82
	v_cndmask_b32_e32 v9, v14, v9, vcc
	v_mov_b32_e32 v14, 0x78
	v_or_b32_e32 v18, 0x800000, v38
	v_cndmask_b32_e32 v20, v15, v14, vcc
	v_cndmask_b32_e32 v38, v18, v38, vcc
	v_add_u32_e32 v14, 20, v20
	v_lshlrev_b64 v[14:15], v14, -1
	v_add_u32_e32 v18, 19, v20
	v_lshrrev_b64 v[48:49], v20, v[38:39]
	v_not_b32_e32 v15, v15
	v_not_b32_e32 v14, v14
	v_lshlrev_b64 v[36:37], v18, 1
	v_lshrrev_b32_e32 v18, 23, v48
	v_and_b32_e32 v15, 0, v15
	v_and_b32_e32 v14, v38, v14
	v_add3_u32 v35, v20, v9, v18
	v_bfe_u32 v18, v48, 20, 1
	v_add_u32_e32 v18, -1, v18
	v_cmp_eq_u64_e32 vcc, v[14:15], v[36:37]
	v_cndmask_b32_e32 v14, 0, v18, vcc
	v_add_u32_e32 v14, v14, v48
	v_and_b32_e32 v14, 0xfffff, v14
	v_add_co_u32_e32 v14, vcc, v14, v48
	v_add_u32_e32 v9, 6, v35
	v_addc_co_u32_e32 v15, vcc, 0, v49, vcc
	v_cmp_ne_u32_e32 vcc, 0, v9
                                        ; implicit-def: $vgpr34
	s_and_saveexec_b64 s[22:23], vcc
	s_xor_b64 s[22:23], exec, s[22:23]
; %bb.2366:                             ;   in Loop: Header=BB4_2169 Depth=2
	v_add_u32_e32 v18, 7, v35
	v_cmp_lt_u64_e32 vcc, s[48:49], v[14:15]
	v_cndmask_b32_e32 v34, v9, v18, vcc
	v_cndmask_b32_e64 v9, 0, 1, vcc
	v_lshrrev_b64 v[14:15], v9, v[14:15]
; %bb.2367:                             ;   in Loop: Header=BB4_2169 Depth=2
	s_andn2_saveexec_b64 s[22:23], s[22:23]
; %bb.2368:                             ;   in Loop: Header=BB4_2169 Depth=2
	v_bfe_u32 v34, v14, 23, 1
; %bb.2369:                             ;   in Loop: Header=BB4_2169 Depth=2
	s_or_b64 exec, exec, s[22:23]
	v_lshrrev_b64 v[14:15], 20, v[14:15]
	v_cmp_gt_i32_e32 vcc, 16, v34
	v_cndmask_b32_e32 v15, 0, v15, vcc
	v_cndmask_b32_e32 v14, 7, v14, vcc
	v_cmp_ne_u32_e32 vcc, 0, v34
	v_cmp_ne_u64_e64 s[22:23], 0, v[14:15]
	s_or_b64 s[22:23], vcc, s[22:23]
                                        ; implicit-def: $vgpr9
	s_and_saveexec_b64 vcc, s[22:23]
	s_xor_b64 s[22:23], exec, vcc
; %bb.2370:                             ;   in Loop: Header=BB4_2169 Depth=2
	v_min_i32_e32 v9, 15, v34
	v_lshl_or_b32 v9, v9, 3, v33
	v_and_or_b32 v9, v14, 7, v9
                                        ; implicit-def: $vgpr33
; %bb.2371:                             ;   in Loop: Header=BB4_2169 Depth=2
	s_andn2_saveexec_b64 s[22:23], s[22:23]
; %bb.2372:                             ;   in Loop: Header=BB4_2169 Depth=2
	v_mov_b32_e32 v9, v33
; %bb.2373:                             ;   in Loop: Header=BB4_2169 Depth=2
	s_or_b64 exec, exec, s[22:23]
.LBB4_2374:                             ;   in Loop: Header=BB4_2169 Depth=2
	s_or_b64 exec, exec, s[62:63]
.LBB4_2375:                             ;   in Loop: Header=BB4_2169 Depth=2
	s_andn2_saveexec_b64 s[22:23], s[60:61]
	s_or_b64 exec, exec, s[22:23]
                                        ; implicit-def: $vgpr14
.LBB4_2376:                             ;   in Loop: Header=BB4_2169 Depth=2
	s_andn2_saveexec_b64 s[22:23], s[58:59]
; %bb.2377:                             ;   in Loop: Header=BB4_2169 Depth=2
	v_or_b32_sdwa v14, v14, s75 dst_sel:DWORD dst_unused:UNUSED_PAD src0_sel:BYTE_3 src1_sel:DWORD
	v_cmp_eq_u64_e32 vcc, 0, v[38:39]
	v_cndmask_b32_e32 v9, v14, v9, vcc
; %bb.2378:                             ;   in Loop: Header=BB4_2169 Depth=2
	s_or_b64 exec, exec, s[22:23]
	v_and_b32_e32 v14, 0xff, v24
	v_cmp_ne_u16_e32 vcc, 0, v14
	v_mov_b32_e32 v15, 0
	v_mov_b32_e32 v33, 0
	s_and_saveexec_b64 s[22:23], vcc
	s_cbranch_execz .LBB4_2384
; %bb.2379:                             ;   in Loop: Header=BB4_2169 Depth=2
	v_cmp_ne_u16_e32 vcc, s76, v14
	v_bfrev_b32_e32 v33, 1
	s_and_saveexec_b64 s[58:59], vcc
	s_cbranch_execz .LBB4_2383
; %bb.2380:                             ;   in Loop: Header=BB4_2169 Depth=2
	v_and_b32_e32 v34, 0x7f, v24
	v_cmp_ne_u32_e32 vcc, s75, v34
	v_mov_b32_e32 v33, 0x7f800001
	s_and_saveexec_b64 s[60:61], vcc
	s_cbranch_execz .LBB4_2382
; %bb.2381:                             ;   in Loop: Header=BB4_2169 Depth=2
	v_and_b32_e32 v18, 7, v14
	v_ffbh_u32_e32 v33, v18
	v_min_u32_e32 v33, 32, v33
	v_subrev_u32_e32 v35, 28, v33
	v_lshlrev_b64 v[36:37], v35, v[14:15]
	v_lshrrev_b32_e32 v20, 3, v34
	v_sub_u32_e32 v14, 29, v33
	v_and_b32_e32 v33, 7, v36
	v_cmp_gt_u32_e32 vcc, 8, v34
	v_cndmask_b32_e32 v14, v20, v14, vcc
	v_cndmask_b32_e32 v18, v18, v33, vcc
	v_lshlrev_b32_e32 v20, 24, v24
	v_bfrev_b32_e32 v24, 60
	v_lshlrev_b32_e32 v18, 20, v18
	v_and_b32_e32 v20, 0x80000000, v20
	v_lshl_add_u32 v14, v14, 23, v24
	v_or3_b32 v33, v20, v14, v18
.LBB4_2382:                             ;   in Loop: Header=BB4_2169 Depth=2
	s_or_b64 exec, exec, s[60:61]
.LBB4_2383:                             ;   in Loop: Header=BB4_2169 Depth=2
	s_or_b64 exec, exec, s[58:59]
.LBB4_2384:                             ;   in Loop: Header=BB4_2169 Depth=2
	s_or_b64 exec, exec, s[22:23]
	v_and_b32_e32 v14, 0xff, v32
	v_cmp_ne_u16_e32 vcc, 0, v14
	s_and_saveexec_b64 s[22:23], vcc
	s_cbranch_execz .LBB4_2390
; %bb.2385:                             ;   in Loop: Header=BB4_2169 Depth=2
	v_cmp_ne_u16_e32 vcc, s76, v14
	v_bfrev_b32_e32 v15, 1
	s_and_saveexec_b64 s[58:59], vcc
	s_cbranch_execz .LBB4_2389
; %bb.2386:                             ;   in Loop: Header=BB4_2169 Depth=2
	v_and_b32_e32 v24, 0x7f, v32
	v_cmp_ne_u32_e32 vcc, s75, v24
	v_mov_b32_e32 v15, 0x7f800001
	s_and_saveexec_b64 s[60:61], vcc
	s_cbranch_execz .LBB4_2388
; %bb.2387:                             ;   in Loop: Header=BB4_2169 Depth=2
	v_and_b32_e32 v18, 7, v14
	v_ffbh_u32_e32 v15, v18
	v_min_u32_e32 v34, 32, v15
	v_subrev_u32_e32 v15, 28, v34
	v_lshlrev_b64 v[14:15], v15, v[14:15]
	v_lshrrev_b32_e32 v20, 3, v24
	v_sub_u32_e32 v15, 29, v34
	v_and_b32_e32 v14, 7, v14
	v_cmp_gt_u32_e32 vcc, 8, v24
	v_cndmask_b32_e32 v15, v20, v15, vcc
	v_cndmask_b32_e32 v14, v18, v14, vcc
	v_lshlrev_b32_e32 v18, 24, v32
	v_bfrev_b32_e32 v20, 60
	v_lshlrev_b32_e32 v14, 20, v14
	v_and_b32_e32 v18, 0x80000000, v18
	v_lshl_add_u32 v15, v15, 23, v20
	v_or3_b32 v15, v18, v15, v14
.LBB4_2388:                             ;   in Loop: Header=BB4_2169 Depth=2
	s_or_b64 exec, exec, s[60:61]
.LBB4_2389:                             ;   in Loop: Header=BB4_2169 Depth=2
	s_or_b64 exec, exec, s[58:59]
.LBB4_2390:                             ;   in Loop: Header=BB4_2169 Depth=2
	s_or_b64 exec, exec, s[22:23]
	v_add_f32_e32 v14, v33, v15
	v_and_b32_sdwa v32, v14, s76 dst_sel:DWORD dst_unused:UNUSED_PAD src0_sel:BYTE_3 src1_sel:DWORD
	v_and_b32_e32 v34, 0x7f800000, v14
	v_mov_b32_e32 v35, v39
	v_and_b32_e32 v38, 0x7fffff, v14
	v_or_b32_e32 v24, 0x7e, v32
	v_cmp_ne_u64_e32 vcc, s[42:43], v[34:35]
	s_and_saveexec_b64 s[22:23], vcc
	s_xor_b64 s[58:59], exec, s[22:23]
	s_cbranch_execz .LBB4_2404
; %bb.2391:                             ;   in Loop: Header=BB4_2169 Depth=2
	v_and_b32_e32 v34, 0x7fffffff, v14
	v_mov_b32_e32 v35, v39
	v_cmp_gt_u64_e32 vcc, s[44:45], v[34:35]
	s_and_saveexec_b64 s[22:23], vcc
	s_xor_b64 s[60:61], exec, s[22:23]
	s_cbranch_execz .LBB4_2403
; %bb.2392:                             ;   in Loop: Header=BB4_2169 Depth=2
	v_cmp_ne_u32_e32 vcc, 0, v14
	v_mov_b32_e32 v24, 0
	s_and_saveexec_b64 s[62:63], vcc
	s_cbranch_execz .LBB4_2402
; %bb.2393:                             ;   in Loop: Header=BB4_2169 Depth=2
	v_bfe_u32 v14, v14, 23, 8
	v_sub_u32_e32 v18, 0x79, v14
	v_cmp_gt_u32_e32 vcc, s77, v14
	v_add_u32_e32 v15, 0xffffff81, v14
	v_cndmask_b32_e32 v18, 0, v18, vcc
	v_cmp_eq_u32_e32 vcc, 0, v14
	v_mov_b32_e32 v14, 0xffffff82
	v_cndmask_b32_e32 v24, v15, v14, vcc
	v_mov_b32_e32 v14, 0x78
	v_or_b32_e32 v20, 0x800000, v38
	v_cndmask_b32_e32 v18, v18, v14, vcc
	v_cndmask_b32_e32 v38, v20, v38, vcc
	v_add_u32_e32 v14, 20, v18
	v_lshlrev_b64 v[14:15], v14, -1
	v_add_u32_e32 v20, 19, v18
	v_lshrrev_b64 v[48:49], v18, v[38:39]
	v_not_b32_e32 v15, v15
	v_not_b32_e32 v14, v14
	v_lshlrev_b64 v[36:37], v20, 1
	v_lshrrev_b32_e32 v20, 23, v48
	v_and_b32_e32 v15, 0, v15
	v_and_b32_e32 v14, v38, v14
	v_add3_u32 v34, v18, v24, v20
	v_bfe_u32 v18, v48, 20, 1
	v_add_u32_e32 v18, -1, v18
	v_cmp_eq_u64_e32 vcc, v[14:15], v[36:37]
	v_cndmask_b32_e32 v14, 0, v18, vcc
	v_add_u32_e32 v14, v14, v48
	v_and_b32_e32 v14, 0xfffff, v14
	v_add_co_u32_e32 v14, vcc, v14, v48
	v_add_u32_e32 v24, 6, v34
	v_addc_co_u32_e32 v15, vcc, 0, v49, vcc
	v_cmp_ne_u32_e32 vcc, 0, v24
                                        ; implicit-def: $vgpr33
	s_and_saveexec_b64 s[22:23], vcc
	s_xor_b64 s[22:23], exec, s[22:23]
; %bb.2394:                             ;   in Loop: Header=BB4_2169 Depth=2
	v_add_u32_e32 v18, 7, v34
	v_cmp_lt_u64_e32 vcc, s[48:49], v[14:15]
	v_cndmask_b32_e32 v33, v24, v18, vcc
	v_cndmask_b32_e64 v18, 0, 1, vcc
	v_lshrrev_b64 v[14:15], v18, v[14:15]
; %bb.2395:                             ;   in Loop: Header=BB4_2169 Depth=2
	s_andn2_saveexec_b64 s[22:23], s[22:23]
; %bb.2396:                             ;   in Loop: Header=BB4_2169 Depth=2
	v_bfe_u32 v33, v14, 23, 1
; %bb.2397:                             ;   in Loop: Header=BB4_2169 Depth=2
	s_or_b64 exec, exec, s[22:23]
	v_lshrrev_b64 v[14:15], 20, v[14:15]
	v_cmp_gt_i32_e32 vcc, 16, v33
	v_cndmask_b32_e32 v15, 0, v15, vcc
	v_cndmask_b32_e32 v14, 7, v14, vcc
	v_cmp_ne_u32_e32 vcc, 0, v33
	v_cmp_ne_u64_e64 s[22:23], 0, v[14:15]
	s_or_b64 s[22:23], vcc, s[22:23]
                                        ; implicit-def: $vgpr24
	s_and_saveexec_b64 vcc, s[22:23]
	s_xor_b64 s[22:23], exec, vcc
; %bb.2398:                             ;   in Loop: Header=BB4_2169 Depth=2
	v_min_i32_e32 v15, 15, v33
	v_lshl_or_b32 v15, v15, 3, v32
	v_and_or_b32 v24, v14, 7, v15
                                        ; implicit-def: $vgpr32
; %bb.2399:                             ;   in Loop: Header=BB4_2169 Depth=2
	s_andn2_saveexec_b64 s[22:23], s[22:23]
; %bb.2400:                             ;   in Loop: Header=BB4_2169 Depth=2
	v_mov_b32_e32 v24, v32
; %bb.2401:                             ;   in Loop: Header=BB4_2169 Depth=2
	s_or_b64 exec, exec, s[22:23]
.LBB4_2402:                             ;   in Loop: Header=BB4_2169 Depth=2
	s_or_b64 exec, exec, s[62:63]
.LBB4_2403:                             ;   in Loop: Header=BB4_2169 Depth=2
	s_andn2_saveexec_b64 s[22:23], s[60:61]
	s_or_b64 exec, exec, s[22:23]
                                        ; implicit-def: $vgpr14
.LBB4_2404:                             ;   in Loop: Header=BB4_2169 Depth=2
	s_andn2_saveexec_b64 s[22:23], s[58:59]
; %bb.2405:                             ;   in Loop: Header=BB4_2169 Depth=2
	v_or_b32_sdwa v14, v14, s75 dst_sel:DWORD dst_unused:UNUSED_PAD src0_sel:BYTE_3 src1_sel:DWORD
	v_cmp_eq_u64_e32 vcc, 0, v[38:39]
	v_cndmask_b32_e32 v24, v14, v24, vcc
; %bb.2406:                             ;   in Loop: Header=BB4_2169 Depth=2
	s_or_b64 exec, exec, s[22:23]
	v_and_b32_e32 v14, 0xff, v23
	v_cmp_ne_u16_e32 vcc, 0, v14
	v_mov_b32_e32 v15, 0
	v_mov_b32_e32 v32, 0
	s_and_saveexec_b64 s[22:23], vcc
	s_cbranch_execz .LBB4_2412
; %bb.2407:                             ;   in Loop: Header=BB4_2169 Depth=2
	v_cmp_ne_u16_e32 vcc, s76, v14
	v_bfrev_b32_e32 v32, 1
	s_and_saveexec_b64 s[58:59], vcc
	s_cbranch_execz .LBB4_2411
; %bb.2408:                             ;   in Loop: Header=BB4_2169 Depth=2
	v_and_b32_e32 v33, 0x7f, v23
	v_cmp_ne_u32_e32 vcc, s75, v33
	v_mov_b32_e32 v32, 0x7f800001
	s_and_saveexec_b64 s[60:61], vcc
	s_cbranch_execz .LBB4_2410
; %bb.2409:                             ;   in Loop: Header=BB4_2169 Depth=2
	v_and_b32_e32 v18, 7, v14
	v_ffbh_u32_e32 v32, v18
	v_min_u32_e32 v32, 32, v32
	v_subrev_u32_e32 v34, 28, v32
	v_lshlrev_b64 v[34:35], v34, v[14:15]
	v_lshrrev_b32_e32 v20, 3, v33
	v_sub_u32_e32 v14, 29, v32
	v_and_b32_e32 v32, 7, v34
	v_cmp_gt_u32_e32 vcc, 8, v33
	v_cndmask_b32_e32 v14, v20, v14, vcc
	v_cndmask_b32_e32 v18, v18, v32, vcc
	v_lshlrev_b32_e32 v20, 24, v23
	v_bfrev_b32_e32 v23, 60
	v_lshlrev_b32_e32 v18, 20, v18
	v_and_b32_e32 v20, 0x80000000, v20
	v_lshl_add_u32 v14, v14, 23, v23
	v_or3_b32 v32, v20, v14, v18
.LBB4_2410:                             ;   in Loop: Header=BB4_2169 Depth=2
	s_or_b64 exec, exec, s[60:61]
.LBB4_2411:                             ;   in Loop: Header=BB4_2169 Depth=2
	s_or_b64 exec, exec, s[58:59]
.LBB4_2412:                             ;   in Loop: Header=BB4_2169 Depth=2
	s_or_b64 exec, exec, s[22:23]
	v_and_b32_e32 v14, 0xff, v31
	v_cmp_ne_u16_e32 vcc, 0, v14
	s_and_saveexec_b64 s[22:23], vcc
	s_cbranch_execz .LBB4_2418
; %bb.2413:                             ;   in Loop: Header=BB4_2169 Depth=2
	v_cmp_ne_u16_e32 vcc, s76, v14
	v_bfrev_b32_e32 v15, 1
	s_and_saveexec_b64 s[58:59], vcc
	s_cbranch_execz .LBB4_2417
; %bb.2414:                             ;   in Loop: Header=BB4_2169 Depth=2
	v_and_b32_e32 v23, 0x7f, v31
	v_cmp_ne_u32_e32 vcc, s75, v23
	v_mov_b32_e32 v15, 0x7f800001
	s_and_saveexec_b64 s[60:61], vcc
	s_cbranch_execz .LBB4_2416
; %bb.2415:                             ;   in Loop: Header=BB4_2169 Depth=2
	v_and_b32_e32 v18, 7, v14
	v_ffbh_u32_e32 v15, v18
	v_min_u32_e32 v33, 32, v15
	v_subrev_u32_e32 v15, 28, v33
	v_lshlrev_b64 v[14:15], v15, v[14:15]
	v_lshrrev_b32_e32 v20, 3, v23
	v_sub_u32_e32 v15, 29, v33
	v_and_b32_e32 v14, 7, v14
	v_cmp_gt_u32_e32 vcc, 8, v23
	v_cndmask_b32_e32 v15, v20, v15, vcc
	v_cndmask_b32_e32 v14, v18, v14, vcc
	v_lshlrev_b32_e32 v18, 24, v31
	v_bfrev_b32_e32 v20, 60
	v_lshlrev_b32_e32 v14, 20, v14
	v_and_b32_e32 v18, 0x80000000, v18
	v_lshl_add_u32 v15, v15, 23, v20
	v_or3_b32 v15, v18, v15, v14
.LBB4_2416:                             ;   in Loop: Header=BB4_2169 Depth=2
	s_or_b64 exec, exec, s[60:61]
.LBB4_2417:                             ;   in Loop: Header=BB4_2169 Depth=2
	s_or_b64 exec, exec, s[58:59]
.LBB4_2418:                             ;   in Loop: Header=BB4_2169 Depth=2
	s_or_b64 exec, exec, s[22:23]
	v_add_f32_e32 v14, v32, v15
	v_and_b32_sdwa v31, v14, s76 dst_sel:DWORD dst_unused:UNUSED_PAD src0_sel:BYTE_3 src1_sel:DWORD
	v_and_b32_e32 v32, 0x7f800000, v14
	v_mov_b32_e32 v33, v39
	v_and_b32_e32 v38, 0x7fffff, v14
	v_or_b32_e32 v23, 0x7e, v31
	v_cmp_ne_u64_e32 vcc, s[42:43], v[32:33]
	s_and_saveexec_b64 s[22:23], vcc
	s_xor_b64 s[58:59], exec, s[22:23]
	s_cbranch_execz .LBB4_2432
; %bb.2419:                             ;   in Loop: Header=BB4_2169 Depth=2
	v_and_b32_e32 v32, 0x7fffffff, v14
	v_mov_b32_e32 v33, v39
	v_cmp_gt_u64_e32 vcc, s[44:45], v[32:33]
	s_and_saveexec_b64 s[22:23], vcc
	s_xor_b64 s[60:61], exec, s[22:23]
	s_cbranch_execz .LBB4_2431
; %bb.2420:                             ;   in Loop: Header=BB4_2169 Depth=2
	v_cmp_ne_u32_e32 vcc, 0, v14
	v_mov_b32_e32 v23, 0
	s_and_saveexec_b64 s[62:63], vcc
	s_cbranch_execz .LBB4_2430
; %bb.2421:                             ;   in Loop: Header=BB4_2169 Depth=2
	v_bfe_u32 v14, v14, 23, 8
	v_sub_u32_e32 v18, 0x79, v14
	v_cmp_gt_u32_e32 vcc, s77, v14
	v_add_u32_e32 v15, 0xffffff81, v14
	v_cndmask_b32_e32 v18, 0, v18, vcc
	v_cmp_eq_u32_e32 vcc, 0, v14
	v_mov_b32_e32 v14, 0xffffff82
	v_cndmask_b32_e32 v23, v15, v14, vcc
	v_mov_b32_e32 v14, 0x78
	v_or_b32_e32 v20, 0x800000, v38
	v_cndmask_b32_e32 v18, v18, v14, vcc
	v_cndmask_b32_e32 v38, v20, v38, vcc
	v_add_u32_e32 v14, 20, v18
	v_lshlrev_b64 v[14:15], v14, -1
	v_add_u32_e32 v20, 19, v18
	v_lshrrev_b64 v[36:37], v18, v[38:39]
	v_not_b32_e32 v15, v15
	v_not_b32_e32 v14, v14
	v_lshlrev_b64 v[34:35], v20, 1
	v_lshrrev_b32_e32 v20, 23, v36
	v_and_b32_e32 v15, 0, v15
	v_and_b32_e32 v14, v38, v14
	v_add3_u32 v33, v18, v23, v20
	v_bfe_u32 v18, v36, 20, 1
	v_add_u32_e32 v18, -1, v18
	v_cmp_eq_u64_e32 vcc, v[14:15], v[34:35]
	v_cndmask_b32_e32 v14, 0, v18, vcc
	v_add_u32_e32 v14, v14, v36
	v_and_b32_e32 v14, 0xfffff, v14
	v_add_co_u32_e32 v14, vcc, v14, v36
	v_add_u32_e32 v23, 6, v33
	v_addc_co_u32_e32 v15, vcc, 0, v37, vcc
	v_cmp_ne_u32_e32 vcc, 0, v23
                                        ; implicit-def: $vgpr32
	s_and_saveexec_b64 s[22:23], vcc
	s_xor_b64 s[22:23], exec, s[22:23]
; %bb.2422:                             ;   in Loop: Header=BB4_2169 Depth=2
	v_add_u32_e32 v18, 7, v33
	v_cmp_lt_u64_e32 vcc, s[48:49], v[14:15]
	v_cndmask_b32_e32 v32, v23, v18, vcc
	v_cndmask_b32_e64 v18, 0, 1, vcc
	v_lshrrev_b64 v[14:15], v18, v[14:15]
; %bb.2423:                             ;   in Loop: Header=BB4_2169 Depth=2
	s_andn2_saveexec_b64 s[22:23], s[22:23]
; %bb.2424:                             ;   in Loop: Header=BB4_2169 Depth=2
	v_bfe_u32 v32, v14, 23, 1
; %bb.2425:                             ;   in Loop: Header=BB4_2169 Depth=2
	s_or_b64 exec, exec, s[22:23]
	v_lshrrev_b64 v[14:15], 20, v[14:15]
	v_cmp_gt_i32_e32 vcc, 16, v32
	v_cndmask_b32_e32 v15, 0, v15, vcc
	v_cndmask_b32_e32 v14, 7, v14, vcc
	v_cmp_ne_u32_e32 vcc, 0, v32
	v_cmp_ne_u64_e64 s[22:23], 0, v[14:15]
	s_or_b64 s[22:23], vcc, s[22:23]
                                        ; implicit-def: $vgpr23
	s_and_saveexec_b64 vcc, s[22:23]
	s_xor_b64 s[22:23], exec, vcc
; %bb.2426:                             ;   in Loop: Header=BB4_2169 Depth=2
	v_min_i32_e32 v15, 15, v32
	v_lshl_or_b32 v15, v15, 3, v31
	v_and_or_b32 v23, v14, 7, v15
                                        ; implicit-def: $vgpr31
; %bb.2427:                             ;   in Loop: Header=BB4_2169 Depth=2
	s_andn2_saveexec_b64 s[22:23], s[22:23]
; %bb.2428:                             ;   in Loop: Header=BB4_2169 Depth=2
	v_mov_b32_e32 v23, v31
; %bb.2429:                             ;   in Loop: Header=BB4_2169 Depth=2
	s_or_b64 exec, exec, s[22:23]
.LBB4_2430:                             ;   in Loop: Header=BB4_2169 Depth=2
	s_or_b64 exec, exec, s[62:63]
.LBB4_2431:                             ;   in Loop: Header=BB4_2169 Depth=2
	s_andn2_saveexec_b64 s[22:23], s[60:61]
	s_or_b64 exec, exec, s[22:23]
                                        ; implicit-def: $vgpr14
.LBB4_2432:                             ;   in Loop: Header=BB4_2169 Depth=2
	s_andn2_saveexec_b64 s[22:23], s[58:59]
; %bb.2433:                             ;   in Loop: Header=BB4_2169 Depth=2
	v_or_b32_sdwa v14, v14, s75 dst_sel:DWORD dst_unused:UNUSED_PAD src0_sel:BYTE_3 src1_sel:DWORD
	v_cmp_eq_u64_e32 vcc, 0, v[38:39]
	v_cndmask_b32_e32 v23, v14, v23, vcc
; %bb.2434:                             ;   in Loop: Header=BB4_2169 Depth=2
	s_or_b64 exec, exec, s[22:23]
	v_and_b32_e32 v14, 0xff, v22
	v_cmp_ne_u16_e32 vcc, 0, v14
	v_mov_b32_e32 v15, 0
	v_mov_b32_e32 v31, 0
	s_and_saveexec_b64 s[22:23], vcc
	s_cbranch_execz .LBB4_2440
; %bb.2435:                             ;   in Loop: Header=BB4_2169 Depth=2
	v_cmp_ne_u16_e32 vcc, s76, v14
	v_bfrev_b32_e32 v31, 1
	s_and_saveexec_b64 s[58:59], vcc
	s_cbranch_execz .LBB4_2439
; %bb.2436:                             ;   in Loop: Header=BB4_2169 Depth=2
	v_and_b32_e32 v32, 0x7f, v22
	v_cmp_ne_u32_e32 vcc, s75, v32
	v_mov_b32_e32 v31, 0x7f800001
	s_and_saveexec_b64 s[60:61], vcc
	s_cbranch_execz .LBB4_2438
; %bb.2437:                             ;   in Loop: Header=BB4_2169 Depth=2
	v_and_b32_e32 v18, 7, v14
	v_ffbh_u32_e32 v31, v18
	v_min_u32_e32 v31, 32, v31
	v_subrev_u32_e32 v33, 28, v31
	v_lshlrev_b64 v[34:35], v33, v[14:15]
	v_lshrrev_b32_e32 v20, 3, v32
	v_sub_u32_e32 v14, 29, v31
	v_and_b32_e32 v31, 7, v34
	v_cmp_gt_u32_e32 vcc, 8, v32
	v_cndmask_b32_e32 v14, v20, v14, vcc
	v_cndmask_b32_e32 v18, v18, v31, vcc
	v_lshlrev_b32_e32 v20, 24, v22
	v_bfrev_b32_e32 v22, 60
	v_lshlrev_b32_e32 v18, 20, v18
	v_and_b32_e32 v20, 0x80000000, v20
	v_lshl_add_u32 v14, v14, 23, v22
	v_or3_b32 v31, v20, v14, v18
.LBB4_2438:                             ;   in Loop: Header=BB4_2169 Depth=2
	s_or_b64 exec, exec, s[60:61]
.LBB4_2439:                             ;   in Loop: Header=BB4_2169 Depth=2
	s_or_b64 exec, exec, s[58:59]
.LBB4_2440:                             ;   in Loop: Header=BB4_2169 Depth=2
	s_or_b64 exec, exec, s[22:23]
	v_and_b32_e32 v14, 0xff, v30
	v_cmp_ne_u16_e32 vcc, 0, v14
	s_and_saveexec_b64 s[22:23], vcc
	s_cbranch_execz .LBB4_2446
; %bb.2441:                             ;   in Loop: Header=BB4_2169 Depth=2
	v_cmp_ne_u16_e32 vcc, s76, v14
	v_bfrev_b32_e32 v15, 1
	s_and_saveexec_b64 s[58:59], vcc
	s_cbranch_execz .LBB4_2445
; %bb.2442:                             ;   in Loop: Header=BB4_2169 Depth=2
	v_and_b32_e32 v22, 0x7f, v30
	v_cmp_ne_u32_e32 vcc, s75, v22
	v_mov_b32_e32 v15, 0x7f800001
	s_and_saveexec_b64 s[60:61], vcc
	s_cbranch_execz .LBB4_2444
; %bb.2443:                             ;   in Loop: Header=BB4_2169 Depth=2
	v_and_b32_e32 v18, 7, v14
	v_ffbh_u32_e32 v15, v18
	v_min_u32_e32 v32, 32, v15
	v_subrev_u32_e32 v15, 28, v32
	v_lshlrev_b64 v[14:15], v15, v[14:15]
	v_lshrrev_b32_e32 v20, 3, v22
	v_sub_u32_e32 v15, 29, v32
	v_and_b32_e32 v14, 7, v14
	v_cmp_gt_u32_e32 vcc, 8, v22
	v_cndmask_b32_e32 v15, v20, v15, vcc
	v_cndmask_b32_e32 v14, v18, v14, vcc
	v_lshlrev_b32_e32 v18, 24, v30
	v_bfrev_b32_e32 v20, 60
	v_lshlrev_b32_e32 v14, 20, v14
	v_and_b32_e32 v18, 0x80000000, v18
	v_lshl_add_u32 v15, v15, 23, v20
	v_or3_b32 v15, v18, v15, v14
.LBB4_2444:                             ;   in Loop: Header=BB4_2169 Depth=2
	s_or_b64 exec, exec, s[60:61]
.LBB4_2445:                             ;   in Loop: Header=BB4_2169 Depth=2
	s_or_b64 exec, exec, s[58:59]
.LBB4_2446:                             ;   in Loop: Header=BB4_2169 Depth=2
	s_or_b64 exec, exec, s[22:23]
	v_add_f32_e32 v14, v31, v15
	v_and_b32_sdwa v30, v14, s76 dst_sel:DWORD dst_unused:UNUSED_PAD src0_sel:BYTE_3 src1_sel:DWORD
	v_and_b32_e32 v32, 0x7f800000, v14
	v_mov_b32_e32 v33, v39
	v_and_b32_e32 v38, 0x7fffff, v14
	v_or_b32_e32 v22, 0x7e, v30
	v_cmp_ne_u64_e32 vcc, s[42:43], v[32:33]
	s_and_saveexec_b64 s[22:23], vcc
	s_xor_b64 s[58:59], exec, s[22:23]
	s_cbranch_execz .LBB4_2460
; %bb.2447:                             ;   in Loop: Header=BB4_2169 Depth=2
	v_and_b32_e32 v32, 0x7fffffff, v14
	v_mov_b32_e32 v33, v39
	v_cmp_gt_u64_e32 vcc, s[44:45], v[32:33]
	s_and_saveexec_b64 s[22:23], vcc
	s_xor_b64 s[60:61], exec, s[22:23]
	s_cbranch_execz .LBB4_2459
; %bb.2448:                             ;   in Loop: Header=BB4_2169 Depth=2
	v_cmp_ne_u32_e32 vcc, 0, v14
	v_mov_b32_e32 v22, 0
	s_and_saveexec_b64 s[62:63], vcc
	s_cbranch_execz .LBB4_2458
; %bb.2449:                             ;   in Loop: Header=BB4_2169 Depth=2
	v_bfe_u32 v14, v14, 23, 8
	v_sub_u32_e32 v18, 0x79, v14
	v_cmp_gt_u32_e32 vcc, s77, v14
	v_add_u32_e32 v15, 0xffffff81, v14
	v_cndmask_b32_e32 v18, 0, v18, vcc
	v_cmp_eq_u32_e32 vcc, 0, v14
	v_mov_b32_e32 v14, 0xffffff82
	v_cndmask_b32_e32 v22, v15, v14, vcc
	v_mov_b32_e32 v14, 0x78
	v_or_b32_e32 v20, 0x800000, v38
	v_cndmask_b32_e32 v18, v18, v14, vcc
	v_cndmask_b32_e32 v38, v20, v38, vcc
	v_add_u32_e32 v14, 20, v18
	v_lshlrev_b64 v[14:15], v14, -1
	v_add_u32_e32 v20, 19, v18
	v_lshrrev_b64 v[36:37], v18, v[38:39]
	v_not_b32_e32 v15, v15
	v_not_b32_e32 v14, v14
	v_lshlrev_b64 v[34:35], v20, 1
	v_lshrrev_b32_e32 v20, 23, v36
	v_and_b32_e32 v15, 0, v15
	v_and_b32_e32 v14, v38, v14
	v_add3_u32 v32, v18, v22, v20
	v_bfe_u32 v18, v36, 20, 1
	v_add_u32_e32 v18, -1, v18
	v_cmp_eq_u64_e32 vcc, v[14:15], v[34:35]
	v_cndmask_b32_e32 v14, 0, v18, vcc
	v_add_u32_e32 v14, v14, v36
	v_and_b32_e32 v14, 0xfffff, v14
	v_add_co_u32_e32 v14, vcc, v14, v36
	v_add_u32_e32 v22, 6, v32
	v_addc_co_u32_e32 v15, vcc, 0, v37, vcc
	v_cmp_ne_u32_e32 vcc, 0, v22
                                        ; implicit-def: $vgpr31
	s_and_saveexec_b64 s[22:23], vcc
	s_xor_b64 s[22:23], exec, s[22:23]
; %bb.2450:                             ;   in Loop: Header=BB4_2169 Depth=2
	v_add_u32_e32 v18, 7, v32
	v_cmp_lt_u64_e32 vcc, s[48:49], v[14:15]
	v_cndmask_b32_e32 v31, v22, v18, vcc
	v_cndmask_b32_e64 v18, 0, 1, vcc
	v_lshrrev_b64 v[14:15], v18, v[14:15]
; %bb.2451:                             ;   in Loop: Header=BB4_2169 Depth=2
	s_andn2_saveexec_b64 s[22:23], s[22:23]
; %bb.2452:                             ;   in Loop: Header=BB4_2169 Depth=2
	v_bfe_u32 v31, v14, 23, 1
; %bb.2453:                             ;   in Loop: Header=BB4_2169 Depth=2
	s_or_b64 exec, exec, s[22:23]
	v_lshrrev_b64 v[14:15], 20, v[14:15]
	v_cmp_gt_i32_e32 vcc, 16, v31
	v_cndmask_b32_e32 v15, 0, v15, vcc
	v_cndmask_b32_e32 v14, 7, v14, vcc
	v_cmp_ne_u32_e32 vcc, 0, v31
	v_cmp_ne_u64_e64 s[22:23], 0, v[14:15]
	s_or_b64 s[22:23], vcc, s[22:23]
                                        ; implicit-def: $vgpr22
	s_and_saveexec_b64 vcc, s[22:23]
	s_xor_b64 s[22:23], exec, vcc
; %bb.2454:                             ;   in Loop: Header=BB4_2169 Depth=2
	v_min_i32_e32 v15, 15, v31
	v_lshl_or_b32 v15, v15, 3, v30
	v_and_or_b32 v22, v14, 7, v15
                                        ; implicit-def: $vgpr30
; %bb.2455:                             ;   in Loop: Header=BB4_2169 Depth=2
	s_andn2_saveexec_b64 s[22:23], s[22:23]
; %bb.2456:                             ;   in Loop: Header=BB4_2169 Depth=2
	v_mov_b32_e32 v22, v30
; %bb.2457:                             ;   in Loop: Header=BB4_2169 Depth=2
	s_or_b64 exec, exec, s[22:23]
.LBB4_2458:                             ;   in Loop: Header=BB4_2169 Depth=2
	s_or_b64 exec, exec, s[62:63]
.LBB4_2459:                             ;   in Loop: Header=BB4_2169 Depth=2
	s_andn2_saveexec_b64 s[22:23], s[60:61]
	s_or_b64 exec, exec, s[22:23]
                                        ; implicit-def: $vgpr14
.LBB4_2460:                             ;   in Loop: Header=BB4_2169 Depth=2
	s_andn2_saveexec_b64 s[22:23], s[58:59]
; %bb.2461:                             ;   in Loop: Header=BB4_2169 Depth=2
	v_or_b32_sdwa v14, v14, s75 dst_sel:DWORD dst_unused:UNUSED_PAD src0_sel:BYTE_3 src1_sel:DWORD
	v_cmp_eq_u64_e32 vcc, 0, v[38:39]
	v_cndmask_b32_e32 v22, v14, v22, vcc
; %bb.2462:                             ;   in Loop: Header=BB4_2169 Depth=2
	s_or_b64 exec, exec, s[22:23]
	v_and_b32_e32 v14, 0xff, v21
	v_cmp_ne_u16_e32 vcc, 0, v14
	v_mov_b32_e32 v15, 0
	v_mov_b32_e32 v30, 0
	s_and_saveexec_b64 s[22:23], vcc
	s_cbranch_execz .LBB4_2468
; %bb.2463:                             ;   in Loop: Header=BB4_2169 Depth=2
	v_cmp_ne_u16_e32 vcc, s76, v14
	v_bfrev_b32_e32 v30, 1
	s_and_saveexec_b64 s[58:59], vcc
	s_cbranch_execz .LBB4_2467
; %bb.2464:                             ;   in Loop: Header=BB4_2169 Depth=2
	v_and_b32_e32 v31, 0x7f, v21
	v_cmp_ne_u32_e32 vcc, s75, v31
	v_mov_b32_e32 v30, 0x7f800001
	s_and_saveexec_b64 s[60:61], vcc
	s_cbranch_execz .LBB4_2466
; %bb.2465:                             ;   in Loop: Header=BB4_2169 Depth=2
	v_and_b32_e32 v18, 7, v14
	v_ffbh_u32_e32 v30, v18
	v_min_u32_e32 v30, 32, v30
	v_subrev_u32_e32 v32, 28, v30
	v_lshlrev_b64 v[32:33], v32, v[14:15]
	v_lshrrev_b32_e32 v20, 3, v31
	v_sub_u32_e32 v14, 29, v30
	v_and_b32_e32 v30, 7, v32
	v_cmp_gt_u32_e32 vcc, 8, v31
	v_cndmask_b32_e32 v14, v20, v14, vcc
	v_cndmask_b32_e32 v18, v18, v30, vcc
	v_lshlrev_b32_e32 v20, 24, v21
	v_bfrev_b32_e32 v21, 60
	v_lshlrev_b32_e32 v18, 20, v18
	v_and_b32_e32 v20, 0x80000000, v20
	v_lshl_add_u32 v14, v14, 23, v21
	v_or3_b32 v30, v20, v14, v18
.LBB4_2466:                             ;   in Loop: Header=BB4_2169 Depth=2
	s_or_b64 exec, exec, s[60:61]
.LBB4_2467:                             ;   in Loop: Header=BB4_2169 Depth=2
	s_or_b64 exec, exec, s[58:59]
.LBB4_2468:                             ;   in Loop: Header=BB4_2169 Depth=2
	s_or_b64 exec, exec, s[22:23]
	v_and_b32_e32 v14, 0xff, v27
	v_cmp_ne_u16_e32 vcc, 0, v14
	s_and_saveexec_b64 s[22:23], vcc
	s_cbranch_execz .LBB4_2474
; %bb.2469:                             ;   in Loop: Header=BB4_2169 Depth=2
	v_cmp_ne_u16_e32 vcc, s76, v14
	v_bfrev_b32_e32 v15, 1
	s_and_saveexec_b64 s[58:59], vcc
	s_cbranch_execz .LBB4_2473
; %bb.2470:                             ;   in Loop: Header=BB4_2169 Depth=2
	v_and_b32_e32 v21, 0x7f, v27
	v_cmp_ne_u32_e32 vcc, s75, v21
	v_mov_b32_e32 v15, 0x7f800001
	s_and_saveexec_b64 s[60:61], vcc
	s_cbranch_execz .LBB4_2472
; %bb.2471:                             ;   in Loop: Header=BB4_2169 Depth=2
	v_and_b32_e32 v18, 7, v14
	v_ffbh_u32_e32 v15, v18
	v_min_u32_e32 v31, 32, v15
	v_subrev_u32_e32 v15, 28, v31
	v_lshlrev_b64 v[14:15], v15, v[14:15]
	v_lshrrev_b32_e32 v20, 3, v21
	v_sub_u32_e32 v15, 29, v31
	v_and_b32_e32 v14, 7, v14
	v_cmp_gt_u32_e32 vcc, 8, v21
	v_cndmask_b32_e32 v15, v20, v15, vcc
	v_cndmask_b32_e32 v14, v18, v14, vcc
	v_lshlrev_b32_e32 v18, 24, v27
	v_bfrev_b32_e32 v20, 60
	v_lshlrev_b32_e32 v14, 20, v14
	v_and_b32_e32 v18, 0x80000000, v18
	v_lshl_add_u32 v15, v15, 23, v20
	v_or3_b32 v15, v18, v15, v14
.LBB4_2472:                             ;   in Loop: Header=BB4_2169 Depth=2
	s_or_b64 exec, exec, s[60:61]
.LBB4_2473:                             ;   in Loop: Header=BB4_2169 Depth=2
	s_or_b64 exec, exec, s[58:59]
.LBB4_2474:                             ;   in Loop: Header=BB4_2169 Depth=2
	s_or_b64 exec, exec, s[22:23]
	v_add_f32_e32 v14, v30, v15
	v_and_b32_sdwa v27, v14, s76 dst_sel:DWORD dst_unused:UNUSED_PAD src0_sel:BYTE_3 src1_sel:DWORD
	v_and_b32_e32 v30, 0x7f800000, v14
	v_mov_b32_e32 v31, v39
	v_and_b32_e32 v38, 0x7fffff, v14
	v_or_b32_e32 v21, 0x7e, v27
	v_cmp_ne_u64_e32 vcc, s[42:43], v[30:31]
	s_and_saveexec_b64 s[22:23], vcc
	s_xor_b64 s[58:59], exec, s[22:23]
	s_cbranch_execz .LBB4_2488
; %bb.2475:                             ;   in Loop: Header=BB4_2169 Depth=2
	v_and_b32_e32 v30, 0x7fffffff, v14
	v_mov_b32_e32 v31, v39
	v_cmp_gt_u64_e32 vcc, s[44:45], v[30:31]
	s_and_saveexec_b64 s[22:23], vcc
	s_xor_b64 s[60:61], exec, s[22:23]
	s_cbranch_execz .LBB4_2487
; %bb.2476:                             ;   in Loop: Header=BB4_2169 Depth=2
	v_cmp_ne_u32_e32 vcc, 0, v14
	v_mov_b32_e32 v21, 0
	s_and_saveexec_b64 s[62:63], vcc
	s_cbranch_execz .LBB4_2486
; %bb.2477:                             ;   in Loop: Header=BB4_2169 Depth=2
	v_bfe_u32 v14, v14, 23, 8
	v_sub_u32_e32 v18, 0x79, v14
	v_cmp_gt_u32_e32 vcc, s77, v14
	v_add_u32_e32 v15, 0xffffff81, v14
	v_cndmask_b32_e32 v18, 0, v18, vcc
	v_cmp_eq_u32_e32 vcc, 0, v14
	v_mov_b32_e32 v14, 0xffffff82
	v_cndmask_b32_e32 v21, v15, v14, vcc
	v_mov_b32_e32 v14, 0x78
	v_or_b32_e32 v20, 0x800000, v38
	v_cndmask_b32_e32 v18, v18, v14, vcc
	v_cndmask_b32_e32 v38, v20, v38, vcc
	v_add_u32_e32 v14, 20, v18
	v_lshlrev_b64 v[14:15], v14, -1
	v_add_u32_e32 v20, 19, v18
	v_lshrrev_b64 v[34:35], v18, v[38:39]
	v_not_b32_e32 v15, v15
	v_not_b32_e32 v14, v14
	v_lshlrev_b64 v[32:33], v20, 1
	v_lshrrev_b32_e32 v20, 23, v34
	v_and_b32_e32 v15, 0, v15
	v_and_b32_e32 v14, v38, v14
	v_add3_u32 v31, v18, v21, v20
	v_bfe_u32 v18, v34, 20, 1
	v_add_u32_e32 v18, -1, v18
	v_cmp_eq_u64_e32 vcc, v[14:15], v[32:33]
	v_cndmask_b32_e32 v14, 0, v18, vcc
	v_add_u32_e32 v14, v14, v34
	v_and_b32_e32 v14, 0xfffff, v14
	v_add_co_u32_e32 v14, vcc, v14, v34
	v_add_u32_e32 v21, 6, v31
	v_addc_co_u32_e32 v15, vcc, 0, v35, vcc
	v_cmp_ne_u32_e32 vcc, 0, v21
                                        ; implicit-def: $vgpr30
	s_and_saveexec_b64 s[22:23], vcc
	s_xor_b64 s[22:23], exec, s[22:23]
; %bb.2478:                             ;   in Loop: Header=BB4_2169 Depth=2
	v_add_u32_e32 v18, 7, v31
	v_cmp_lt_u64_e32 vcc, s[48:49], v[14:15]
	v_cndmask_b32_e32 v30, v21, v18, vcc
	v_cndmask_b32_e64 v18, 0, 1, vcc
	v_lshrrev_b64 v[14:15], v18, v[14:15]
; %bb.2479:                             ;   in Loop: Header=BB4_2169 Depth=2
	s_andn2_saveexec_b64 s[22:23], s[22:23]
; %bb.2480:                             ;   in Loop: Header=BB4_2169 Depth=2
	v_bfe_u32 v30, v14, 23, 1
; %bb.2481:                             ;   in Loop: Header=BB4_2169 Depth=2
	s_or_b64 exec, exec, s[22:23]
	v_lshrrev_b64 v[14:15], 20, v[14:15]
	v_cmp_gt_i32_e32 vcc, 16, v30
	v_cndmask_b32_e32 v15, 0, v15, vcc
	v_cndmask_b32_e32 v14, 7, v14, vcc
	v_cmp_ne_u32_e32 vcc, 0, v30
	v_cmp_ne_u64_e64 s[22:23], 0, v[14:15]
	s_or_b64 s[22:23], vcc, s[22:23]
                                        ; implicit-def: $vgpr21
	s_and_saveexec_b64 vcc, s[22:23]
	s_xor_b64 s[22:23], exec, vcc
; %bb.2482:                             ;   in Loop: Header=BB4_2169 Depth=2
	v_min_i32_e32 v15, 15, v30
	v_lshl_or_b32 v15, v15, 3, v27
	v_and_or_b32 v21, v14, 7, v15
                                        ; implicit-def: $vgpr27
; %bb.2483:                             ;   in Loop: Header=BB4_2169 Depth=2
	s_andn2_saveexec_b64 s[22:23], s[22:23]
; %bb.2484:                             ;   in Loop: Header=BB4_2169 Depth=2
	v_mov_b32_e32 v21, v27
; %bb.2485:                             ;   in Loop: Header=BB4_2169 Depth=2
	s_or_b64 exec, exec, s[22:23]
.LBB4_2486:                             ;   in Loop: Header=BB4_2169 Depth=2
	s_or_b64 exec, exec, s[62:63]
.LBB4_2487:                             ;   in Loop: Header=BB4_2169 Depth=2
	s_andn2_saveexec_b64 s[22:23], s[60:61]
	s_or_b64 exec, exec, s[22:23]
                                        ; implicit-def: $vgpr14
.LBB4_2488:                             ;   in Loop: Header=BB4_2169 Depth=2
	s_andn2_saveexec_b64 s[22:23], s[58:59]
; %bb.2489:                             ;   in Loop: Header=BB4_2169 Depth=2
	v_or_b32_sdwa v14, v14, s75 dst_sel:DWORD dst_unused:UNUSED_PAD src0_sel:BYTE_3 src1_sel:DWORD
	v_cmp_eq_u64_e32 vcc, 0, v[38:39]
	v_cndmask_b32_e32 v21, v14, v21, vcc
; %bb.2490:                             ;   in Loop: Header=BB4_2169 Depth=2
	s_or_b64 exec, exec, s[22:23]
	v_and_b32_e32 v14, 0xff, v19
	v_cmp_ne_u16_e32 vcc, 0, v14
	v_mov_b32_e32 v15, 0
	v_mov_b32_e32 v27, 0
	s_and_saveexec_b64 s[22:23], vcc
	s_cbranch_execz .LBB4_2496
; %bb.2491:                             ;   in Loop: Header=BB4_2169 Depth=2
	v_cmp_ne_u16_e32 vcc, s76, v14
	v_bfrev_b32_e32 v27, 1
	s_and_saveexec_b64 s[58:59], vcc
	s_cbranch_execz .LBB4_2495
; %bb.2492:                             ;   in Loop: Header=BB4_2169 Depth=2
	v_and_b32_e32 v30, 0x7f, v19
	v_cmp_ne_u32_e32 vcc, s75, v30
	v_mov_b32_e32 v27, 0x7f800001
	s_and_saveexec_b64 s[60:61], vcc
	s_cbranch_execz .LBB4_2494
; %bb.2493:                             ;   in Loop: Header=BB4_2169 Depth=2
	v_and_b32_e32 v18, 7, v14
	v_ffbh_u32_e32 v27, v18
	v_min_u32_e32 v27, 32, v27
	v_subrev_u32_e32 v31, 28, v27
	v_lshlrev_b64 v[32:33], v31, v[14:15]
	v_lshrrev_b32_e32 v20, 3, v30
	v_sub_u32_e32 v14, 29, v27
	v_and_b32_e32 v27, 7, v32
	v_cmp_gt_u32_e32 vcc, 8, v30
	v_cndmask_b32_e32 v14, v20, v14, vcc
	v_cndmask_b32_e32 v18, v18, v27, vcc
	v_lshlrev_b32_e32 v19, 24, v19
	v_bfrev_b32_e32 v20, 60
	v_lshlrev_b32_e32 v18, 20, v18
	v_and_b32_e32 v19, 0x80000000, v19
	v_lshl_add_u32 v14, v14, 23, v20
	v_or3_b32 v27, v19, v14, v18
.LBB4_2494:                             ;   in Loop: Header=BB4_2169 Depth=2
	s_or_b64 exec, exec, s[60:61]
.LBB4_2495:                             ;   in Loop: Header=BB4_2169 Depth=2
	s_or_b64 exec, exec, s[58:59]
.LBB4_2496:                             ;   in Loop: Header=BB4_2169 Depth=2
	s_or_b64 exec, exec, s[22:23]
	v_and_b32_e32 v14, 0xff, v26
	v_cmp_ne_u16_e32 vcc, 0, v14
	s_and_saveexec_b64 s[22:23], vcc
	s_cbranch_execz .LBB4_2502
; %bb.2497:                             ;   in Loop: Header=BB4_2169 Depth=2
	v_cmp_ne_u16_e32 vcc, s76, v14
	v_bfrev_b32_e32 v15, 1
	s_and_saveexec_b64 s[58:59], vcc
	s_cbranch_execz .LBB4_2501
; %bb.2498:                             ;   in Loop: Header=BB4_2169 Depth=2
	v_and_b32_e32 v19, 0x7f, v26
	v_cmp_ne_u32_e32 vcc, s75, v19
	v_mov_b32_e32 v15, 0x7f800001
	s_and_saveexec_b64 s[60:61], vcc
	s_cbranch_execz .LBB4_2500
; %bb.2499:                             ;   in Loop: Header=BB4_2169 Depth=2
	v_and_b32_e32 v18, 7, v14
	v_ffbh_u32_e32 v15, v18
	v_min_u32_e32 v30, 32, v15
	v_subrev_u32_e32 v15, 28, v30
	v_lshlrev_b64 v[14:15], v15, v[14:15]
	v_lshrrev_b32_e32 v20, 3, v19
	v_sub_u32_e32 v15, 29, v30
	v_and_b32_e32 v14, 7, v14
	v_cmp_gt_u32_e32 vcc, 8, v19
	v_cndmask_b32_e32 v15, v20, v15, vcc
	v_cndmask_b32_e32 v14, v18, v14, vcc
	v_lshlrev_b32_e32 v18, 24, v26
	v_bfrev_b32_e32 v19, 60
	v_lshlrev_b32_e32 v14, 20, v14
	v_and_b32_e32 v18, 0x80000000, v18
	v_lshl_add_u32 v15, v15, 23, v19
	v_or3_b32 v15, v18, v15, v14
.LBB4_2500:                             ;   in Loop: Header=BB4_2169 Depth=2
	s_or_b64 exec, exec, s[60:61]
.LBB4_2501:                             ;   in Loop: Header=BB4_2169 Depth=2
	s_or_b64 exec, exec, s[58:59]
.LBB4_2502:                             ;   in Loop: Header=BB4_2169 Depth=2
	s_or_b64 exec, exec, s[22:23]
	v_add_f32_e32 v14, v27, v15
	v_and_b32_sdwa v26, v14, s76 dst_sel:DWORD dst_unused:UNUSED_PAD src0_sel:BYTE_3 src1_sel:DWORD
	v_and_b32_e32 v30, 0x7f800000, v14
	v_mov_b32_e32 v31, v39
	v_and_b32_e32 v38, 0x7fffff, v14
	v_or_b32_e32 v19, 0x7e, v26
	v_cmp_ne_u64_e32 vcc, s[42:43], v[30:31]
	s_and_saveexec_b64 s[22:23], vcc
	s_xor_b64 s[58:59], exec, s[22:23]
	s_cbranch_execz .LBB4_2516
; %bb.2503:                             ;   in Loop: Header=BB4_2169 Depth=2
	v_and_b32_e32 v30, 0x7fffffff, v14
	v_mov_b32_e32 v31, v39
	v_cmp_gt_u64_e32 vcc, s[44:45], v[30:31]
	s_and_saveexec_b64 s[22:23], vcc
	s_xor_b64 s[60:61], exec, s[22:23]
	s_cbranch_execz .LBB4_2515
; %bb.2504:                             ;   in Loop: Header=BB4_2169 Depth=2
	v_cmp_ne_u32_e32 vcc, 0, v14
	v_mov_b32_e32 v19, 0
	s_and_saveexec_b64 s[62:63], vcc
	s_cbranch_execz .LBB4_2514
; %bb.2505:                             ;   in Loop: Header=BB4_2169 Depth=2
	v_bfe_u32 v14, v14, 23, 8
	v_sub_u32_e32 v18, 0x79, v14
	v_cmp_gt_u32_e32 vcc, s77, v14
	v_add_u32_e32 v15, 0xffffff81, v14
	v_cndmask_b32_e32 v18, 0, v18, vcc
	v_cmp_eq_u32_e32 vcc, 0, v14
	v_mov_b32_e32 v14, 0xffffff82
	v_cndmask_b32_e32 v20, v15, v14, vcc
	v_mov_b32_e32 v14, 0x78
	v_or_b32_e32 v19, 0x800000, v38
	v_cndmask_b32_e32 v18, v18, v14, vcc
	v_cndmask_b32_e32 v38, v19, v38, vcc
	v_add_u32_e32 v14, 20, v18
	v_lshlrev_b64 v[14:15], v14, -1
	v_add_u32_e32 v19, 19, v18
	v_lshrrev_b64 v[34:35], v18, v[38:39]
	v_not_b32_e32 v15, v15
	v_not_b32_e32 v14, v14
	v_lshlrev_b64 v[32:33], v19, 1
	v_lshrrev_b32_e32 v19, 23, v34
	v_and_b32_e32 v15, 0, v15
	v_and_b32_e32 v14, v38, v14
	v_add3_u32 v30, v18, v20, v19
	v_bfe_u32 v18, v34, 20, 1
	v_add_u32_e32 v18, -1, v18
	v_cmp_eq_u64_e32 vcc, v[14:15], v[32:33]
	v_cndmask_b32_e32 v14, 0, v18, vcc
	v_add_u32_e32 v14, v14, v34
	v_and_b32_e32 v14, 0xfffff, v14
	v_add_co_u32_e32 v14, vcc, v14, v34
	v_add_u32_e32 v19, 6, v30
	v_addc_co_u32_e32 v15, vcc, 0, v35, vcc
	v_cmp_ne_u32_e32 vcc, 0, v19
                                        ; implicit-def: $vgpr27
	s_and_saveexec_b64 s[22:23], vcc
	s_xor_b64 s[22:23], exec, s[22:23]
; %bb.2506:                             ;   in Loop: Header=BB4_2169 Depth=2
	v_add_u32_e32 v18, 7, v30
	v_cmp_lt_u64_e32 vcc, s[48:49], v[14:15]
	v_cndmask_b32_e32 v27, v19, v18, vcc
	v_cndmask_b32_e64 v18, 0, 1, vcc
	v_lshrrev_b64 v[14:15], v18, v[14:15]
; %bb.2507:                             ;   in Loop: Header=BB4_2169 Depth=2
	s_andn2_saveexec_b64 s[22:23], s[22:23]
; %bb.2508:                             ;   in Loop: Header=BB4_2169 Depth=2
	v_bfe_u32 v27, v14, 23, 1
; %bb.2509:                             ;   in Loop: Header=BB4_2169 Depth=2
	s_or_b64 exec, exec, s[22:23]
	v_lshrrev_b64 v[14:15], 20, v[14:15]
	v_cmp_gt_i32_e32 vcc, 16, v27
	v_cndmask_b32_e32 v15, 0, v15, vcc
	v_cndmask_b32_e32 v14, 7, v14, vcc
	v_cmp_ne_u32_e32 vcc, 0, v27
	v_cmp_ne_u64_e64 s[22:23], 0, v[14:15]
	s_or_b64 s[22:23], vcc, s[22:23]
                                        ; implicit-def: $vgpr19
	s_and_saveexec_b64 vcc, s[22:23]
	s_xor_b64 s[22:23], exec, vcc
; %bb.2510:                             ;   in Loop: Header=BB4_2169 Depth=2
	v_min_i32_e32 v15, 15, v27
	v_lshl_or_b32 v15, v15, 3, v26
	v_and_or_b32 v19, v14, 7, v15
                                        ; implicit-def: $vgpr26
; %bb.2511:                             ;   in Loop: Header=BB4_2169 Depth=2
	s_andn2_saveexec_b64 s[22:23], s[22:23]
; %bb.2512:                             ;   in Loop: Header=BB4_2169 Depth=2
	v_mov_b32_e32 v19, v26
; %bb.2513:                             ;   in Loop: Header=BB4_2169 Depth=2
	s_or_b64 exec, exec, s[22:23]
.LBB4_2514:                             ;   in Loop: Header=BB4_2169 Depth=2
	s_or_b64 exec, exec, s[62:63]
.LBB4_2515:                             ;   in Loop: Header=BB4_2169 Depth=2
	s_andn2_saveexec_b64 s[22:23], s[60:61]
	s_or_b64 exec, exec, s[22:23]
                                        ; implicit-def: $vgpr14
.LBB4_2516:                             ;   in Loop: Header=BB4_2169 Depth=2
	s_andn2_saveexec_b64 s[22:23], s[58:59]
; %bb.2517:                             ;   in Loop: Header=BB4_2169 Depth=2
	v_or_b32_sdwa v14, v14, s75 dst_sel:DWORD dst_unused:UNUSED_PAD src0_sel:BYTE_3 src1_sel:DWORD
	v_cmp_eq_u64_e32 vcc, 0, v[38:39]
	v_cndmask_b32_e32 v19, v14, v19, vcc
; %bb.2518:                             ;   in Loop: Header=BB4_2169 Depth=2
	s_or_b64 exec, exec, s[22:23]
	v_and_b32_e32 v14, 0xff, v16
	v_cmp_ne_u16_e32 vcc, 0, v14
	v_mov_b32_e32 v15, 0
	v_mov_b32_e32 v26, 0
	s_and_saveexec_b64 s[22:23], vcc
	s_cbranch_execz .LBB4_2524
; %bb.2519:                             ;   in Loop: Header=BB4_2169 Depth=2
	v_cmp_ne_u16_e32 vcc, s76, v14
	v_bfrev_b32_e32 v26, 1
	s_and_saveexec_b64 s[58:59], vcc
	s_cbranch_execz .LBB4_2523
; %bb.2520:                             ;   in Loop: Header=BB4_2169 Depth=2
	v_and_b32_e32 v27, 0x7f, v16
	v_cmp_ne_u32_e32 vcc, s75, v27
	v_mov_b32_e32 v26, 0x7f800001
	s_and_saveexec_b64 s[60:61], vcc
	s_cbranch_execz .LBB4_2522
; %bb.2521:                             ;   in Loop: Header=BB4_2169 Depth=2
	v_and_b32_e32 v18, 7, v14
	v_ffbh_u32_e32 v26, v18
	v_min_u32_e32 v26, 32, v26
	v_subrev_u32_e32 v30, 28, v26
	v_lshlrev_b64 v[30:31], v30, v[14:15]
	v_lshrrev_b32_e32 v20, 3, v27
	v_sub_u32_e32 v14, 29, v26
	v_and_b32_e32 v26, 7, v30
	v_cmp_gt_u32_e32 vcc, 8, v27
	v_cndmask_b32_e32 v14, v20, v14, vcc
	v_cndmask_b32_e32 v18, v18, v26, vcc
	v_lshlrev_b32_e32 v16, 24, v16
	v_bfrev_b32_e32 v20, 60
	v_lshlrev_b32_e32 v18, 20, v18
	v_and_b32_e32 v16, 0x80000000, v16
	v_lshl_add_u32 v14, v14, 23, v20
	v_or3_b32 v26, v16, v14, v18
.LBB4_2522:                             ;   in Loop: Header=BB4_2169 Depth=2
	s_or_b64 exec, exec, s[60:61]
.LBB4_2523:                             ;   in Loop: Header=BB4_2169 Depth=2
	s_or_b64 exec, exec, s[58:59]
.LBB4_2524:                             ;   in Loop: Header=BB4_2169 Depth=2
	s_or_b64 exec, exec, s[22:23]
	v_and_b32_e32 v14, 0xff, v25
	v_cmp_ne_u16_e32 vcc, 0, v14
	s_and_saveexec_b64 s[22:23], vcc
	s_cbranch_execz .LBB4_2530
; %bb.2525:                             ;   in Loop: Header=BB4_2169 Depth=2
	v_cmp_ne_u16_e32 vcc, s76, v14
	v_bfrev_b32_e32 v15, 1
	s_and_saveexec_b64 s[58:59], vcc
	s_cbranch_execz .LBB4_2529
; %bb.2526:                             ;   in Loop: Header=BB4_2169 Depth=2
	v_and_b32_e32 v16, 0x7f, v25
	v_cmp_ne_u32_e32 vcc, s75, v16
	v_mov_b32_e32 v15, 0x7f800001
	s_and_saveexec_b64 s[60:61], vcc
	s_cbranch_execz .LBB4_2528
; %bb.2527:                             ;   in Loop: Header=BB4_2169 Depth=2
	v_and_b32_e32 v18, 7, v14
	v_ffbh_u32_e32 v15, v18
	v_min_u32_e32 v27, 32, v15
	v_subrev_u32_e32 v15, 28, v27
	v_lshlrev_b64 v[14:15], v15, v[14:15]
	v_lshrrev_b32_e32 v20, 3, v16
	v_sub_u32_e32 v15, 29, v27
	v_and_b32_e32 v14, 7, v14
	v_cmp_gt_u32_e32 vcc, 8, v16
	v_cndmask_b32_e32 v15, v20, v15, vcc
	v_cndmask_b32_e32 v14, v18, v14, vcc
	v_lshlrev_b32_e32 v16, 24, v25
	v_bfrev_b32_e32 v18, 60
	v_lshlrev_b32_e32 v14, 20, v14
	v_and_b32_e32 v16, 0x80000000, v16
	v_lshl_add_u32 v15, v15, 23, v18
	v_or3_b32 v15, v16, v15, v14
.LBB4_2528:                             ;   in Loop: Header=BB4_2169 Depth=2
	s_or_b64 exec, exec, s[60:61]
.LBB4_2529:                             ;   in Loop: Header=BB4_2169 Depth=2
	s_or_b64 exec, exec, s[58:59]
.LBB4_2530:                             ;   in Loop: Header=BB4_2169 Depth=2
	s_or_b64 exec, exec, s[22:23]
	v_add_f32_e32 v14, v26, v15
	v_and_b32_sdwa v25, v14, s76 dst_sel:DWORD dst_unused:UNUSED_PAD src0_sel:BYTE_3 src1_sel:DWORD
	v_and_b32_e32 v26, 0x7f800000, v14
	v_mov_b32_e32 v27, v39
	v_and_b32_e32 v38, 0x7fffff, v14
	v_or_b32_e32 v16, 0x7e, v25
	v_cmp_ne_u64_e32 vcc, s[42:43], v[26:27]
	s_and_saveexec_b64 s[22:23], vcc
	s_xor_b64 s[58:59], exec, s[22:23]
	s_cbranch_execz .LBB4_2544
; %bb.2531:                             ;   in Loop: Header=BB4_2169 Depth=2
	v_and_b32_e32 v26, 0x7fffffff, v14
	v_mov_b32_e32 v27, v39
	v_cmp_gt_u64_e32 vcc, s[44:45], v[26:27]
	s_and_saveexec_b64 s[22:23], vcc
	s_xor_b64 s[60:61], exec, s[22:23]
	s_cbranch_execz .LBB4_2543
; %bb.2532:                             ;   in Loop: Header=BB4_2169 Depth=2
	v_cmp_ne_u32_e32 vcc, 0, v14
	v_mov_b32_e32 v16, 0
	s_and_saveexec_b64 s[62:63], vcc
	s_cbranch_execz .LBB4_2542
; %bb.2533:                             ;   in Loop: Header=BB4_2169 Depth=2
	v_bfe_u32 v14, v14, 23, 8
	v_sub_u32_e32 v16, 0x79, v14
	v_cmp_gt_u32_e32 vcc, s77, v14
	v_add_u32_e32 v15, 0xffffff81, v14
	v_cndmask_b32_e32 v16, 0, v16, vcc
	v_cmp_eq_u32_e32 vcc, 0, v14
	v_mov_b32_e32 v14, 0xffffff82
	v_cndmask_b32_e32 v20, v15, v14, vcc
	v_mov_b32_e32 v14, 0x78
	v_or_b32_e32 v18, 0x800000, v38
	v_cndmask_b32_e32 v16, v16, v14, vcc
	v_cndmask_b32_e32 v38, v18, v38, vcc
	v_add_u32_e32 v14, 20, v16
	v_lshlrev_b64 v[14:15], v14, -1
	v_add_u32_e32 v18, 19, v16
	v_lshrrev_b64 v[32:33], v16, v[38:39]
	v_not_b32_e32 v15, v15
	v_not_b32_e32 v14, v14
	v_lshlrev_b64 v[30:31], v18, 1
	v_lshrrev_b32_e32 v18, 23, v32
	v_and_b32_e32 v15, 0, v15
	v_and_b32_e32 v14, v38, v14
	v_add3_u32 v27, v16, v20, v18
	v_bfe_u32 v18, v32, 20, 1
	v_add_u32_e32 v18, -1, v18
	v_cmp_eq_u64_e32 vcc, v[14:15], v[30:31]
	v_cndmask_b32_e32 v14, 0, v18, vcc
	v_add_u32_e32 v14, v14, v32
	v_and_b32_e32 v14, 0xfffff, v14
	v_add_co_u32_e32 v14, vcc, v14, v32
	v_add_u32_e32 v16, 6, v27
	v_addc_co_u32_e32 v15, vcc, 0, v33, vcc
	v_cmp_ne_u32_e32 vcc, 0, v16
                                        ; implicit-def: $vgpr26
	s_and_saveexec_b64 s[22:23], vcc
	s_xor_b64 s[22:23], exec, s[22:23]
; %bb.2534:                             ;   in Loop: Header=BB4_2169 Depth=2
	v_add_u32_e32 v18, 7, v27
	v_cmp_lt_u64_e32 vcc, s[48:49], v[14:15]
	v_cndmask_b32_e32 v26, v16, v18, vcc
	v_cndmask_b32_e64 v16, 0, 1, vcc
	v_lshrrev_b64 v[14:15], v16, v[14:15]
; %bb.2535:                             ;   in Loop: Header=BB4_2169 Depth=2
	s_andn2_saveexec_b64 s[22:23], s[22:23]
; %bb.2536:                             ;   in Loop: Header=BB4_2169 Depth=2
	v_bfe_u32 v26, v14, 23, 1
; %bb.2537:                             ;   in Loop: Header=BB4_2169 Depth=2
	s_or_b64 exec, exec, s[22:23]
	v_lshrrev_b64 v[14:15], 20, v[14:15]
	v_cmp_gt_i32_e32 vcc, 16, v26
	v_cndmask_b32_e32 v15, 0, v15, vcc
	v_cndmask_b32_e32 v14, 7, v14, vcc
	v_cmp_ne_u32_e32 vcc, 0, v26
	v_cmp_ne_u64_e64 s[22:23], 0, v[14:15]
	s_or_b64 s[22:23], vcc, s[22:23]
                                        ; implicit-def: $vgpr16
	s_and_saveexec_b64 vcc, s[22:23]
	s_xor_b64 s[22:23], exec, vcc
; %bb.2538:                             ;   in Loop: Header=BB4_2169 Depth=2
	v_min_i32_e32 v15, 15, v26
	v_lshl_or_b32 v15, v15, 3, v25
	v_and_or_b32 v16, v14, 7, v15
                                        ; implicit-def: $vgpr25
; %bb.2539:                             ;   in Loop: Header=BB4_2169 Depth=2
	s_andn2_saveexec_b64 s[22:23], s[22:23]
; %bb.2540:                             ;   in Loop: Header=BB4_2169 Depth=2
	v_mov_b32_e32 v16, v25
; %bb.2541:                             ;   in Loop: Header=BB4_2169 Depth=2
	s_or_b64 exec, exec, s[22:23]
.LBB4_2542:                             ;   in Loop: Header=BB4_2169 Depth=2
	s_or_b64 exec, exec, s[62:63]
.LBB4_2543:                             ;   in Loop: Header=BB4_2169 Depth=2
	s_andn2_saveexec_b64 s[22:23], s[60:61]
	s_or_b64 exec, exec, s[22:23]
                                        ; implicit-def: $vgpr14
.LBB4_2544:                             ;   in Loop: Header=BB4_2169 Depth=2
	s_andn2_saveexec_b64 s[22:23], s[58:59]
; %bb.2545:                             ;   in Loop: Header=BB4_2169 Depth=2
	v_or_b32_sdwa v14, v14, s75 dst_sel:DWORD dst_unused:UNUSED_PAD src0_sel:BYTE_3 src1_sel:DWORD
	v_cmp_eq_u64_e32 vcc, 0, v[38:39]
	v_cndmask_b32_e32 v16, v14, v16, vcc
; %bb.2546:                             ;   in Loop: Header=BB4_2169 Depth=2
	s_or_b64 exec, exec, s[22:23]
	v_and_b32_e32 v14, 0xff, v8
	v_cmp_ne_u16_e32 vcc, 0, v14
	v_mov_b32_e32 v15, 0
	v_mov_b32_e32 v25, 0
	s_and_saveexec_b64 s[22:23], vcc
	s_cbranch_execz .LBB4_2552
; %bb.2547:                             ;   in Loop: Header=BB4_2169 Depth=2
	v_cmp_ne_u16_e32 vcc, s76, v14
	v_bfrev_b32_e32 v25, 1
	s_and_saveexec_b64 s[58:59], vcc
	s_cbranch_execz .LBB4_2551
; %bb.2548:                             ;   in Loop: Header=BB4_2169 Depth=2
	v_and_b32_e32 v26, 0x7f, v8
	v_cmp_ne_u32_e32 vcc, s75, v26
	v_mov_b32_e32 v25, 0x7f800001
	s_and_saveexec_b64 s[60:61], vcc
	s_cbranch_execz .LBB4_2550
; %bb.2549:                             ;   in Loop: Header=BB4_2169 Depth=2
	v_and_b32_e32 v18, 7, v14
	v_ffbh_u32_e32 v25, v18
	v_min_u32_e32 v25, 32, v25
	v_subrev_u32_e32 v27, 28, v25
	v_lshlrev_b64 v[30:31], v27, v[14:15]
	v_lshrrev_b32_e32 v20, 3, v26
	v_sub_u32_e32 v14, 29, v25
	v_and_b32_e32 v25, 7, v30
	v_cmp_gt_u32_e32 vcc, 8, v26
	v_cndmask_b32_e32 v14, v20, v14, vcc
	v_cndmask_b32_e32 v18, v18, v25, vcc
	v_lshlrev_b32_e32 v8, 24, v8
	v_bfrev_b32_e32 v20, 60
	v_lshlrev_b32_e32 v18, 20, v18
	v_and_b32_e32 v8, 0x80000000, v8
	v_lshl_add_u32 v14, v14, 23, v20
	v_or3_b32 v25, v8, v14, v18
.LBB4_2550:                             ;   in Loop: Header=BB4_2169 Depth=2
	s_or_b64 exec, exec, s[60:61]
.LBB4_2551:                             ;   in Loop: Header=BB4_2169 Depth=2
	s_or_b64 exec, exec, s[58:59]
.LBB4_2552:                             ;   in Loop: Header=BB4_2169 Depth=2
	s_or_b64 exec, exec, s[22:23]
	v_and_b32_e32 v14, 0xff, v17
	v_cmp_ne_u16_e32 vcc, 0, v14
	s_and_saveexec_b64 s[22:23], vcc
	s_cbranch_execz .LBB4_2558
; %bb.2553:                             ;   in Loop: Header=BB4_2169 Depth=2
	v_cmp_ne_u16_e32 vcc, s76, v14
	v_bfrev_b32_e32 v15, 1
	s_and_saveexec_b64 s[58:59], vcc
	s_cbranch_execz .LBB4_2557
; %bb.2554:                             ;   in Loop: Header=BB4_2169 Depth=2
	v_and_b32_e32 v8, 0x7f, v17
	v_cmp_ne_u32_e32 vcc, s75, v8
	v_mov_b32_e32 v15, 0x7f800001
	s_and_saveexec_b64 s[60:61], vcc
	s_cbranch_execz .LBB4_2556
; %bb.2555:                             ;   in Loop: Header=BB4_2169 Depth=2
	v_and_b32_e32 v18, 7, v14
	v_ffbh_u32_e32 v15, v18
	v_min_u32_e32 v26, 32, v15
	v_subrev_u32_e32 v15, 28, v26
	v_lshlrev_b64 v[14:15], v15, v[14:15]
	v_lshrrev_b32_e32 v20, 3, v8
	v_sub_u32_e32 v15, 29, v26
	v_and_b32_e32 v14, 7, v14
	v_cmp_gt_u32_e32 vcc, 8, v8
	v_cndmask_b32_e32 v8, v20, v15, vcc
	v_cndmask_b32_e32 v14, v18, v14, vcc
	v_lshlrev_b32_e32 v15, 24, v17
	v_bfrev_b32_e32 v17, 60
	v_lshlrev_b32_e32 v14, 20, v14
	v_and_b32_e32 v15, 0x80000000, v15
	v_lshl_add_u32 v8, v8, 23, v17
	v_or3_b32 v15, v15, v8, v14
.LBB4_2556:                             ;   in Loop: Header=BB4_2169 Depth=2
	s_or_b64 exec, exec, s[60:61]
.LBB4_2557:                             ;   in Loop: Header=BB4_2169 Depth=2
	s_or_b64 exec, exec, s[58:59]
.LBB4_2558:                             ;   in Loop: Header=BB4_2169 Depth=2
	s_or_b64 exec, exec, s[22:23]
	v_add_f32_e32 v14, v25, v15
	v_and_b32_sdwa v17, v14, s76 dst_sel:DWORD dst_unused:UNUSED_PAD src0_sel:BYTE_3 src1_sel:DWORD
	v_and_b32_e32 v26, 0x7f800000, v14
	v_mov_b32_e32 v27, v39
	v_and_b32_e32 v38, 0x7fffff, v14
	v_or_b32_e32 v8, 0x7e, v17
	v_cmp_ne_u64_e32 vcc, s[42:43], v[26:27]
	s_and_saveexec_b64 s[22:23], vcc
	s_xor_b64 s[58:59], exec, s[22:23]
	s_cbranch_execz .LBB4_2572
; %bb.2559:                             ;   in Loop: Header=BB4_2169 Depth=2
	v_and_b32_e32 v26, 0x7fffffff, v14
	v_mov_b32_e32 v27, v39
	v_cmp_gt_u64_e32 vcc, s[44:45], v[26:27]
	s_and_saveexec_b64 s[22:23], vcc
	s_xor_b64 s[60:61], exec, s[22:23]
	s_cbranch_execz .LBB4_2571
; %bb.2560:                             ;   in Loop: Header=BB4_2169 Depth=2
	v_cmp_ne_u32_e32 vcc, 0, v14
	v_mov_b32_e32 v8, 0
	s_and_saveexec_b64 s[62:63], vcc
	s_cbranch_execz .LBB4_2570
; %bb.2561:                             ;   in Loop: Header=BB4_2169 Depth=2
	v_bfe_u32 v8, v14, 23, 8
	v_sub_u32_e32 v15, 0x79, v8
	v_cmp_gt_u32_e32 vcc, s77, v8
	v_add_u32_e32 v14, 0xffffff81, v8
	v_cndmask_b32_e32 v15, 0, v15, vcc
	v_cmp_eq_u32_e32 vcc, 0, v8
	v_mov_b32_e32 v8, 0xffffff82
	v_cndmask_b32_e32 v8, v14, v8, vcc
	v_mov_b32_e32 v14, 0x78
	v_or_b32_e32 v18, 0x800000, v38
	v_cndmask_b32_e32 v20, v15, v14, vcc
	v_cndmask_b32_e32 v38, v18, v38, vcc
	v_add_u32_e32 v14, 20, v20
	v_lshlrev_b64 v[14:15], v14, -1
	v_add_u32_e32 v18, 19, v20
	v_lshrrev_b64 v[32:33], v20, v[38:39]
	v_not_b32_e32 v15, v15
	v_not_b32_e32 v14, v14
	v_lshlrev_b64 v[30:31], v18, 1
	v_lshrrev_b32_e32 v18, 23, v32
	v_and_b32_e32 v15, 0, v15
	v_and_b32_e32 v14, v38, v14
	v_add3_u32 v26, v20, v8, v18
	v_bfe_u32 v18, v32, 20, 1
	v_add_u32_e32 v18, -1, v18
	v_cmp_eq_u64_e32 vcc, v[14:15], v[30:31]
	v_cndmask_b32_e32 v14, 0, v18, vcc
	v_add_u32_e32 v14, v14, v32
	v_and_b32_e32 v14, 0xfffff, v14
	v_add_co_u32_e32 v14, vcc, v14, v32
	v_add_u32_e32 v8, 6, v26
	v_addc_co_u32_e32 v15, vcc, 0, v33, vcc
	v_cmp_ne_u32_e32 vcc, 0, v8
                                        ; implicit-def: $vgpr25
	s_and_saveexec_b64 s[22:23], vcc
	s_xor_b64 s[22:23], exec, s[22:23]
; %bb.2562:                             ;   in Loop: Header=BB4_2169 Depth=2
	v_add_u32_e32 v18, 7, v26
	v_cmp_lt_u64_e32 vcc, s[48:49], v[14:15]
	v_cndmask_b32_e32 v25, v8, v18, vcc
	v_cndmask_b32_e64 v8, 0, 1, vcc
	v_lshrrev_b64 v[14:15], v8, v[14:15]
; %bb.2563:                             ;   in Loop: Header=BB4_2169 Depth=2
	s_andn2_saveexec_b64 s[22:23], s[22:23]
; %bb.2564:                             ;   in Loop: Header=BB4_2169 Depth=2
	v_bfe_u32 v25, v14, 23, 1
; %bb.2565:                             ;   in Loop: Header=BB4_2169 Depth=2
	s_or_b64 exec, exec, s[22:23]
	v_lshrrev_b64 v[14:15], 20, v[14:15]
	v_cmp_gt_i32_e32 vcc, 16, v25
	v_cndmask_b32_e32 v15, 0, v15, vcc
	v_cndmask_b32_e32 v14, 7, v14, vcc
	v_cmp_ne_u32_e32 vcc, 0, v25
	v_cmp_ne_u64_e64 s[22:23], 0, v[14:15]
	s_or_b64 s[22:23], vcc, s[22:23]
                                        ; implicit-def: $vgpr8
	s_and_saveexec_b64 vcc, s[22:23]
	s_xor_b64 s[22:23], exec, vcc
; %bb.2566:                             ;   in Loop: Header=BB4_2169 Depth=2
	v_min_i32_e32 v8, 15, v25
	v_lshl_or_b32 v8, v8, 3, v17
	v_and_or_b32 v8, v14, 7, v8
                                        ; implicit-def: $vgpr17
; %bb.2567:                             ;   in Loop: Header=BB4_2169 Depth=2
	s_andn2_saveexec_b64 s[22:23], s[22:23]
; %bb.2568:                             ;   in Loop: Header=BB4_2169 Depth=2
	v_mov_b32_e32 v8, v17
; %bb.2569:                             ;   in Loop: Header=BB4_2169 Depth=2
	s_or_b64 exec, exec, s[22:23]
.LBB4_2570:                             ;   in Loop: Header=BB4_2169 Depth=2
	s_or_b64 exec, exec, s[62:63]
.LBB4_2571:                             ;   in Loop: Header=BB4_2169 Depth=2
	s_andn2_saveexec_b64 s[22:23], s[60:61]
	s_or_b64 exec, exec, s[22:23]
                                        ; implicit-def: $vgpr14
.LBB4_2572:                             ;   in Loop: Header=BB4_2169 Depth=2
	s_andn2_saveexec_b64 s[22:23], s[58:59]
	s_cbranch_execz .LBB4_2168
; %bb.2573:                             ;   in Loop: Header=BB4_2169 Depth=2
	v_or_b32_sdwa v14, v14, s75 dst_sel:DWORD dst_unused:UNUSED_PAD src0_sel:BYTE_3 src1_sel:DWORD
	v_cmp_eq_u64_e32 vcc, 0, v[38:39]
	v_cndmask_b32_e32 v8, v14, v8, vcc
	s_branch .LBB4_2168
.LBB4_2574:                             ;   in Loop: Header=BB4_49 Depth=1
	s_or_b64 exec, exec, s[56:57]
.LBB4_2575:                             ;   in Loop: Header=BB4_49 Depth=1
	s_or_b64 exec, exec, s[54:55]
	v_lshlrev_b32_e32 v2, 9, v7
	v_cmp_ne_u32_e32 vcc, v5, v2
	s_and_b64 exec, exec, vcc
	s_cbranch_execz .LBB4_2634
; %bb.2576:                             ;   in Loop: Header=BB4_49 Depth=1
	v_add_u32_e32 v1, v6, v1
	v_and_b32_e32 v1, 0xffffffc0, v1
	v_sub_u32_e32 v1, v6, v1
	v_lshlrev_b32_e32 v0, 6, v0
	v_sub_u32_e32 v0, v1, v0
	v_add_u32_e32 v1, v2, v0
	v_sub_u32_e32 v0, v5, v1
	v_cmp_lt_i32_e32 vcc, 0, v0
	s_and_b64 exec, exec, vcc
	s_cbranch_execz .LBB4_2634
; %bb.2577:                             ;   in Loop: Header=BB4_49 Depth=1
	s_trap 2
	ds_read_b128 v[6:9], v0
	v_add_u32_e32 v1, v1, v4
	ds_read_b64 v[4:5], v0
	v_ashrrev_i32_e32 v13, 31, v1
	s_mov_b64 s[54:55], 0
	s_waitcnt lgkmcnt(0)
	v_add_co_u32_e32 v2, vcc, v6, v1
	v_addc_co_u32_e32 v3, vcc, v7, v13, vcc
	v_add_co_u32_e32 v10, vcc, v8, v1
	v_addc_co_u32_e32 v11, vcc, v9, v13, vcc
	;; [unrolled: 2-line block ×3, first 2 shown]
	s_branch .LBB4_2579
.LBB4_2578:                             ;   in Loop: Header=BB4_2579 Depth=2
	s_or_b64 exec, exec, s[22:23]
	v_add_co_u32_e32 v2, vcc, v2, v42
	v_addc_co_u32_e32 v3, vcc, v3, v51, vcc
	v_add_co_u32_e32 v10, vcc, v10, v42
	v_addc_co_u32_e32 v11, vcc, v11, v51, vcc
	v_sub_u32_e32 v0, v0, v42
	v_cmp_gt_i32_e32 vcc, 1, v0
	flat_store_byte v[12:13], v4 glc slc
	s_or_b64 s[54:55], vcc, s[54:55]
	v_add_co_u32_e32 v12, vcc, v12, v42
	v_addc_co_u32_e32 v13, vcc, v13, v51, vcc
	s_andn2_b64 exec, exec, s[54:55]
	s_cbranch_execz .LBB4_2634
.LBB4_2579:                             ;   Parent Loop BB4_49 Depth=1
                                        ; =>  This Inner Loop Header: Depth=2
	s_trap 2
	ds_read_b64 v[14:15], v0
	s_waitcnt lgkmcnt(0)
	v_cmp_eq_u16_sdwa vcc, v14, v39 src0_sel:BYTE_0 src1_sel:DWORD
	v_readfirstlane_b32 s22, v14
	v_readfirstlane_b32 s23, v15
	s_and_b64 vcc, exec, vcc
	s_cbranch_vccnz .LBB4_2583
; %bb.2580:                             ;   in Loop: Header=BB4_2579 Depth=2
	v_cmp_eq_u32_sdwa vcc, v14, s76 src0_sel:BYTE_0 src1_sel:DWORD
	s_and_b64 vcc, exec, vcc
	s_brev_b32 s60, 1
	s_cbranch_vccnz .LBB4_2584
; %bb.2581:                             ;   in Loop: Header=BB4_2579 Depth=2
	s_and_b32 vcc_lo, s22, 0x7f
	s_cmpk_eq_i32 vcc_lo, 0x7f
	s_mov_b32 s60, 0x7f800001
	s_cbranch_scc1 .LBB4_2584
; %bb.2582:                             ;   in Loop: Header=BB4_2579 Depth=2
	s_and_b32 vcc_hi, s22, 7
	s_flbit_i32_b32 vcc_hi, vcc_hi
	s_min_u32 vcc_hi, vcc_hi, 32
	s_lshr_b32 s56, vcc_lo, 3
	s_sub_i32 s57, vcc_hi, 28
	s_sub_i32 vcc_hi, 29, vcc_hi
	s_cmp_lt_u32 vcc_lo, 8
	s_cselect_b32 vcc_lo, s57, 0
	s_cselect_b32 s56, vcc_hi, s56
	s_lshl_b64 vcc, s[22:23], vcc_lo
	s_lshl_b32 s23, vcc_lo, 20
	s_lshl_b32 s22, s22, 24
	s_lshl_b32 vcc_lo, s56, 23
	s_and_b32 s22, s22, 0x80000000
	s_add_i32 vcc_lo, vcc_lo, 0x3c000000
	s_and_b32 s23, s23, 0x700000
	s_or_b32 s22, s22, vcc_lo
	s_or_b32 s60, s22, s23
	s_branch .LBB4_2584
.LBB4_2583:                             ;   in Loop: Header=BB4_2579 Depth=2
	s_mov_b32 s60, 0
.LBB4_2584:                             ;   in Loop: Header=BB4_2579 Depth=2
	flat_load_ubyte v1, v[2:3] glc slc
	v_mov_b32_e32 v4, 0
	s_waitcnt vmcnt(0) lgkmcnt(0)
	v_cmp_ne_u16_e32 vcc, 0, v1
	s_and_saveexec_b64 s[22:23], vcc
	s_cbranch_execz .LBB4_2590
; %bb.2585:                             ;   in Loop: Header=BB4_2579 Depth=2
	v_cmp_ne_u16_e32 vcc, s76, v1
	v_bfrev_b32_e32 v4, 1
	s_and_saveexec_b64 s[56:57], vcc
	s_cbranch_execz .LBB4_2589
; %bb.2586:                             ;   in Loop: Header=BB4_2579 Depth=2
	v_and_b32_e32 v14, 0xffff, v1
	v_and_b32_e32 v5, 0x7f, v14
	v_cmp_ne_u32_e32 vcc, s75, v5
	v_mov_b32_e32 v4, 0x7f800001
	s_and_saveexec_b64 s[58:59], vcc
	s_cbranch_execz .LBB4_2588
; %bb.2587:                             ;   in Loop: Header=BB4_2579 Depth=2
	v_and_b32_e32 v4, 7, v14
	v_ffbh_u32_e32 v6, v4
	v_min_u32_e32 v9, 32, v6
	v_subrev_u32_e32 v6, 28, v9
	v_lshlrev_b64 v[6:7], v6, v[14:15]
	v_lshrrev_b32_e32 v8, 3, v5
	v_sub_u32_e32 v7, 29, v9
	v_and_b32_e32 v6, 7, v6
	v_cmp_gt_u32_e32 vcc, 8, v5
	v_cndmask_b32_e32 v5, v8, v7, vcc
	v_cndmask_b32_e32 v4, v4, v6, vcc
	v_lshlrev_b32_e32 v1, 24, v1
	v_bfrev_b32_e32 v6, 60
	v_lshlrev_b32_e32 v4, 20, v4
	v_and_b32_e32 v1, 0x80000000, v1
	v_lshl_add_u32 v5, v5, 23, v6
	v_or3_b32 v4, v1, v5, v4
.LBB4_2588:                             ;   in Loop: Header=BB4_2579 Depth=2
	s_or_b64 exec, exec, s[58:59]
.LBB4_2589:                             ;   in Loop: Header=BB4_2579 Depth=2
	s_or_b64 exec, exec, s[56:57]
.LBB4_2590:                             ;   in Loop: Header=BB4_2579 Depth=2
	s_or_b64 exec, exec, s[22:23]
	v_mul_f32_e32 v5, s60, v4
	v_and_b32_sdwa v4, v5, s76 dst_sel:DWORD dst_unused:UNUSED_PAD src0_sel:BYTE_3 src1_sel:DWORD
	v_and_b32_e32 v6, 0x7f800000, v5
	v_mov_b32_e32 v7, v39
	v_and_b32_e32 v38, 0x7fffff, v5
	v_or_b32_e32 v1, 0x7e, v4
	v_cmp_ne_u64_e32 vcc, s[42:43], v[6:7]
	s_and_saveexec_b64 s[22:23], vcc
	s_xor_b64 s[56:57], exec, s[22:23]
	s_cbranch_execz .LBB4_2604
; %bb.2591:                             ;   in Loop: Header=BB4_2579 Depth=2
	v_and_b32_e32 v6, 0x7fffffff, v5
	v_mov_b32_e32 v7, v39
	v_cmp_gt_u64_e32 vcc, s[44:45], v[6:7]
	s_and_saveexec_b64 s[22:23], vcc
	s_xor_b64 s[58:59], exec, s[22:23]
	s_cbranch_execz .LBB4_2603
; %bb.2592:                             ;   in Loop: Header=BB4_2579 Depth=2
	v_cmp_ne_u32_e32 vcc, 0, v5
	v_mov_b32_e32 v1, 0
	s_and_saveexec_b64 s[60:61], vcc
	s_cbranch_execz .LBB4_2602
; %bb.2593:                             ;   in Loop: Header=BB4_2579 Depth=2
	v_bfe_u32 v1, v5, 23, 8
	v_sub_u32_e32 v6, 0x79, v1
	v_cmp_gt_u32_e32 vcc, s77, v1
	v_add_u32_e32 v5, 0xffffff81, v1
	v_cndmask_b32_e32 v6, 0, v6, vcc
	v_cmp_eq_u32_e32 vcc, 0, v1
	v_mov_b32_e32 v1, 0xffffff82
	v_cndmask_b32_e32 v1, v5, v1, vcc
	v_mov_b32_e32 v5, 0x78
	v_cndmask_b32_e32 v5, v6, v5, vcc
	v_or_b32_e32 v7, 0x800000, v38
	v_add_u32_e32 v6, 20, v5
	v_cndmask_b32_e32 v38, v7, v38, vcc
	v_lshlrev_b64 v[6:7], v6, -1
	v_not_b32_e32 v6, v6
	v_and_b32_e32 v8, v38, v6
	v_add_u32_e32 v6, 19, v5
	v_lshrrev_b64 v[16:17], v5, v[38:39]
	v_not_b32_e32 v7, v7
	v_lshlrev_b64 v[14:15], v6, 1
	v_lshrrev_b32_e32 v6, 23, v16
	v_and_b32_e32 v9, 0, v7
	v_add3_u32 v6, v5, v1, v6
	v_bfe_u32 v5, v16, 20, 1
	v_add_u32_e32 v5, -1, v5
	v_cmp_eq_u64_e32 vcc, v[8:9], v[14:15]
	v_cndmask_b32_e32 v5, 0, v5, vcc
	v_add_u32_e32 v5, v5, v16
	v_and_b32_e32 v5, 0xfffff, v5
	v_add_co_u32_e32 v14, vcc, v5, v16
	v_add_u32_e32 v1, 6, v6
	v_addc_co_u32_e32 v15, vcc, 0, v17, vcc
	v_cmp_ne_u32_e32 vcc, 0, v1
                                        ; implicit-def: $vgpr5
	s_and_saveexec_b64 s[22:23], vcc
	s_xor_b64 s[22:23], exec, s[22:23]
; %bb.2594:                             ;   in Loop: Header=BB4_2579 Depth=2
	v_add_u32_e32 v5, 7, v6
	v_cmp_lt_u64_e32 vcc, s[48:49], v[14:15]
	v_cndmask_b32_e32 v5, v1, v5, vcc
	v_cndmask_b32_e64 v1, 0, 1, vcc
	v_lshrrev_b64 v[14:15], v1, v[14:15]
; %bb.2595:                             ;   in Loop: Header=BB4_2579 Depth=2
	s_andn2_saveexec_b64 s[22:23], s[22:23]
; %bb.2596:                             ;   in Loop: Header=BB4_2579 Depth=2
	v_bfe_u32 v5, v14, 23, 1
; %bb.2597:                             ;   in Loop: Header=BB4_2579 Depth=2
	s_or_b64 exec, exec, s[22:23]
	v_lshrrev_b64 v[6:7], 20, v[14:15]
	v_cmp_gt_i32_e32 vcc, 16, v5
	v_cndmask_b32_e32 v15, 0, v7, vcc
	v_cndmask_b32_e32 v14, 7, v6, vcc
	v_cmp_ne_u32_e32 vcc, 0, v5
	v_cmp_ne_u64_e64 s[22:23], 0, v[14:15]
	s_or_b64 s[22:23], vcc, s[22:23]
                                        ; implicit-def: $vgpr1
	s_and_saveexec_b64 vcc, s[22:23]
	s_xor_b64 s[22:23], exec, vcc
; %bb.2598:                             ;   in Loop: Header=BB4_2579 Depth=2
	v_min_i32_e32 v1, 15, v5
	v_lshl_or_b32 v1, v1, 3, v4
	v_and_or_b32 v1, v14, 7, v1
                                        ; implicit-def: $vgpr4
; %bb.2599:                             ;   in Loop: Header=BB4_2579 Depth=2
	s_andn2_saveexec_b64 s[22:23], s[22:23]
; %bb.2600:                             ;   in Loop: Header=BB4_2579 Depth=2
	v_mov_b32_e32 v1, v4
; %bb.2601:                             ;   in Loop: Header=BB4_2579 Depth=2
	s_or_b64 exec, exec, s[22:23]
.LBB4_2602:                             ;   in Loop: Header=BB4_2579 Depth=2
	s_or_b64 exec, exec, s[60:61]
.LBB4_2603:                             ;   in Loop: Header=BB4_2579 Depth=2
	s_andn2_saveexec_b64 s[22:23], s[58:59]
	s_or_b64 exec, exec, s[22:23]
                                        ; implicit-def: $vgpr5
.LBB4_2604:                             ;   in Loop: Header=BB4_2579 Depth=2
	s_andn2_saveexec_b64 s[22:23], s[56:57]
; %bb.2605:                             ;   in Loop: Header=BB4_2579 Depth=2
	v_or_b32_sdwa v4, v5, s75 dst_sel:DWORD dst_unused:UNUSED_PAD src0_sel:BYTE_3 src1_sel:DWORD
	v_cmp_eq_u64_e32 vcc, 0, v[38:39]
	v_cndmask_b32_e32 v1, v4, v1, vcc
; %bb.2606:                             ;   in Loop: Header=BB4_2579 Depth=2
	s_or_b64 exec, exec, s[22:23]
	flat_load_ubyte v5, v[10:11] glc slc
	v_and_b32_e32 v14, 0xff, v1
	v_cmp_ne_u16_e32 vcc, 0, v14
	v_mov_b32_e32 v4, 0
	v_mov_b32_e32 v6, 0
	s_and_saveexec_b64 s[22:23], vcc
	s_cbranch_execz .LBB4_2612
; %bb.2607:                             ;   in Loop: Header=BB4_2579 Depth=2
	v_cmp_ne_u16_e32 vcc, s76, v14
	v_bfrev_b32_e32 v6, 1
	s_and_saveexec_b64 s[56:57], vcc
	s_cbranch_execz .LBB4_2611
; %bb.2608:                             ;   in Loop: Header=BB4_2579 Depth=2
	v_and_b32_e32 v7, 0x7f, v1
	v_cmp_ne_u32_e32 vcc, s75, v7
	v_mov_b32_e32 v6, 0x7f800001
	s_and_saveexec_b64 s[58:59], vcc
	s_cbranch_execz .LBB4_2610
; %bb.2609:                             ;   in Loop: Header=BB4_2579 Depth=2
	v_and_b32_e32 v6, 7, v14
	v_ffbh_u32_e32 v8, v6
	v_min_u32_e32 v16, 32, v8
	v_lshrrev_b32_e32 v15, 3, v7
	v_subrev_u32_e32 v8, 28, v16
	v_lshlrev_b64 v[8:9], v8, v[14:15]
	v_sub_u32_e32 v9, 29, v16
	v_and_b32_e32 v8, 7, v8
	v_cmp_gt_u32_e32 vcc, 8, v7
	v_cndmask_b32_e32 v7, v15, v9, vcc
	v_cndmask_b32_e32 v6, v6, v8, vcc
	v_lshlrev_b32_e32 v1, 24, v1
	v_bfrev_b32_e32 v8, 60
	v_lshlrev_b32_e32 v6, 20, v6
	v_and_b32_e32 v1, 0x80000000, v1
	v_lshl_add_u32 v7, v7, 23, v8
	v_or3_b32 v6, v1, v7, v6
.LBB4_2610:                             ;   in Loop: Header=BB4_2579 Depth=2
	s_or_b64 exec, exec, s[58:59]
.LBB4_2611:                             ;   in Loop: Header=BB4_2579 Depth=2
	s_or_b64 exec, exec, s[56:57]
.LBB4_2612:                             ;   in Loop: Header=BB4_2579 Depth=2
	s_or_b64 exec, exec, s[22:23]
	s_waitcnt vmcnt(0) lgkmcnt(0)
	v_and_b32_e32 v14, 0xff, v5
	v_cmp_ne_u16_e32 vcc, 0, v14
	s_and_saveexec_b64 s[22:23], vcc
	s_cbranch_execz .LBB4_2618
; %bb.2613:                             ;   in Loop: Header=BB4_2579 Depth=2
	v_cmp_ne_u16_e32 vcc, s76, v14
	v_bfrev_b32_e32 v4, 1
	s_and_saveexec_b64 s[56:57], vcc
	s_cbranch_execz .LBB4_2617
; %bb.2614:                             ;   in Loop: Header=BB4_2579 Depth=2
	v_and_b32_e32 v1, 0x7f, v5
	v_cmp_ne_u32_e32 vcc, s75, v1
	v_mov_b32_e32 v4, 0x7f800001
	s_and_saveexec_b64 s[58:59], vcc
	s_cbranch_execz .LBB4_2616
; %bb.2615:                             ;   in Loop: Header=BB4_2579 Depth=2
	v_and_b32_e32 v7, 7, v14
	v_lshlrev_b32_e32 v4, 24, v5
	v_and_b32_e32 v9, 0x80000000, v4
	v_ffbh_u32_e32 v4, v7
	v_min_u32_e32 v15, 32, v4
	v_subrev_u32_e32 v4, 28, v15
	v_lshlrev_b64 v[4:5], v4, v[14:15]
	v_lshrrev_b32_e32 v8, 3, v1
	v_sub_u32_e32 v5, 29, v15
	v_and_b32_e32 v4, 7, v4
	v_cmp_gt_u32_e32 vcc, 8, v1
	v_cndmask_b32_e32 v1, v8, v5, vcc
	v_cndmask_b32_e32 v4, v7, v4, vcc
	v_bfrev_b32_e32 v5, 60
	v_lshlrev_b32_e32 v4, 20, v4
	v_lshl_add_u32 v1, v1, 23, v5
	v_or3_b32 v4, v9, v1, v4
.LBB4_2616:                             ;   in Loop: Header=BB4_2579 Depth=2
	s_or_b64 exec, exec, s[58:59]
.LBB4_2617:                             ;   in Loop: Header=BB4_2579 Depth=2
	s_or_b64 exec, exec, s[56:57]
.LBB4_2618:                             ;   in Loop: Header=BB4_2579 Depth=2
	s_or_b64 exec, exec, s[22:23]
	v_add_f32_e32 v5, v6, v4
	v_and_b32_sdwa v1, v5, s76 dst_sel:DWORD dst_unused:UNUSED_PAD src0_sel:BYTE_3 src1_sel:DWORD
	v_and_b32_e32 v6, 0x7f800000, v5
	v_mov_b32_e32 v7, v39
	v_and_b32_e32 v38, 0x7fffff, v5
	v_or_b32_e32 v4, 0x7e, v1
	v_cmp_ne_u64_e32 vcc, s[42:43], v[6:7]
	s_and_saveexec_b64 s[22:23], vcc
	s_xor_b64 s[56:57], exec, s[22:23]
	s_cbranch_execz .LBB4_2632
; %bb.2619:                             ;   in Loop: Header=BB4_2579 Depth=2
	v_and_b32_e32 v6, 0x7fffffff, v5
	v_mov_b32_e32 v7, v39
	v_cmp_gt_u64_e32 vcc, s[44:45], v[6:7]
	s_and_saveexec_b64 s[22:23], vcc
	s_xor_b64 s[58:59], exec, s[22:23]
	s_cbranch_execz .LBB4_2631
; %bb.2620:                             ;   in Loop: Header=BB4_2579 Depth=2
	v_cmp_ne_u32_e32 vcc, 0, v5
	v_mov_b32_e32 v4, 0
	s_and_saveexec_b64 s[60:61], vcc
	s_cbranch_execz .LBB4_2630
; %bb.2621:                             ;   in Loop: Header=BB4_2579 Depth=2
	v_bfe_u32 v4, v5, 23, 8
	v_sub_u32_e32 v6, 0x79, v4
	v_cmp_gt_u32_e32 vcc, s77, v4
	v_add_u32_e32 v5, 0xffffff81, v4
	v_cndmask_b32_e32 v6, 0, v6, vcc
	v_cmp_eq_u32_e32 vcc, 0, v4
	v_mov_b32_e32 v4, 0xffffff82
	v_cndmask_b32_e32 v18, v5, v4, vcc
	v_mov_b32_e32 v4, 0x78
	v_cndmask_b32_e32 v6, v6, v4, vcc
	v_add_u32_e32 v4, 20, v6
	v_or_b32_e32 v7, 0x800000, v38
	v_lshlrev_b64 v[4:5], v4, -1
	v_cndmask_b32_e32 v38, v7, v38, vcc
	v_not_b32_e32 v4, v4
	v_not_b32_e32 v5, v5
	v_and_b32_e32 v8, v38, v4
	v_add_u32_e32 v4, 19, v6
	v_lshrrev_b64 v[16:17], v6, v[38:39]
	v_and_b32_e32 v9, 0, v5
	v_lshlrev_b64 v[14:15], v4, 1
	v_bfe_u32 v5, v16, 20, 1
	v_add_u32_e32 v5, -1, v5
	v_cmp_eq_u64_e32 vcc, v[8:9], v[14:15]
	v_cndmask_b32_e32 v5, 0, v5, vcc
	v_add_u32_e32 v5, v5, v16
	v_lshrrev_b32_e32 v4, 23, v16
	v_and_b32_e32 v5, 0xfffff, v5
	v_add3_u32 v6, v6, v18, v4
	v_add_co_u32_e32 v14, vcc, v5, v16
	v_add_u32_e32 v4, 6, v6
	v_addc_co_u32_e32 v15, vcc, 0, v17, vcc
	v_cmp_ne_u32_e32 vcc, 0, v4
                                        ; implicit-def: $vgpr5
	s_and_saveexec_b64 s[22:23], vcc
	s_xor_b64 s[22:23], exec, s[22:23]
; %bb.2622:                             ;   in Loop: Header=BB4_2579 Depth=2
	v_add_u32_e32 v5, 7, v6
	v_cmp_lt_u64_e32 vcc, s[48:49], v[14:15]
	v_cndmask_b32_e32 v5, v4, v5, vcc
	v_cndmask_b32_e64 v4, 0, 1, vcc
	v_lshrrev_b64 v[14:15], v4, v[14:15]
; %bb.2623:                             ;   in Loop: Header=BB4_2579 Depth=2
	s_andn2_saveexec_b64 s[22:23], s[22:23]
; %bb.2624:                             ;   in Loop: Header=BB4_2579 Depth=2
	v_bfe_u32 v5, v14, 23, 1
; %bb.2625:                             ;   in Loop: Header=BB4_2579 Depth=2
	s_or_b64 exec, exec, s[22:23]
	v_lshrrev_b64 v[6:7], 20, v[14:15]
	v_cmp_gt_i32_e32 vcc, 16, v5
	v_cndmask_b32_e32 v15, 0, v7, vcc
	v_cndmask_b32_e32 v14, 7, v6, vcc
	v_cmp_ne_u32_e32 vcc, 0, v5
	v_cmp_ne_u64_e64 s[22:23], 0, v[14:15]
	s_or_b64 s[22:23], vcc, s[22:23]
                                        ; implicit-def: $vgpr4
	s_and_saveexec_b64 vcc, s[22:23]
	s_xor_b64 s[22:23], exec, vcc
; %bb.2626:                             ;   in Loop: Header=BB4_2579 Depth=2
	v_min_i32_e32 v4, 15, v5
	v_lshl_or_b32 v1, v4, 3, v1
	v_and_or_b32 v4, v14, 7, v1
                                        ; implicit-def: $vgpr1
; %bb.2627:                             ;   in Loop: Header=BB4_2579 Depth=2
	s_andn2_saveexec_b64 s[22:23], s[22:23]
; %bb.2628:                             ;   in Loop: Header=BB4_2579 Depth=2
	v_mov_b32_e32 v4, v1
; %bb.2629:                             ;   in Loop: Header=BB4_2579 Depth=2
	s_or_b64 exec, exec, s[22:23]
.LBB4_2630:                             ;   in Loop: Header=BB4_2579 Depth=2
	s_or_b64 exec, exec, s[60:61]
.LBB4_2631:                             ;   in Loop: Header=BB4_2579 Depth=2
	s_andn2_saveexec_b64 s[22:23], s[58:59]
	s_or_b64 exec, exec, s[22:23]
                                        ; implicit-def: $vgpr5
.LBB4_2632:                             ;   in Loop: Header=BB4_2579 Depth=2
	s_andn2_saveexec_b64 s[22:23], s[56:57]
	s_cbranch_execz .LBB4_2578
; %bb.2633:                             ;   in Loop: Header=BB4_2579 Depth=2
	v_or_b32_sdwa v1, v5, s75 dst_sel:DWORD dst_unused:UNUSED_PAD src0_sel:BYTE_3 src1_sel:DWORD
	v_cmp_eq_u64_e32 vcc, 0, v[38:39]
	v_cndmask_b32_e32 v4, v1, v4, vcc
	s_branch .LBB4_2578
.LBB4_2634:                             ;   in Loop: Header=BB4_49 Depth=1
	s_or_b64 exec, exec, s[24:25]
	v_cmp_ne_u32_e64 s[22:23], 0, v45
	v_accvgpr_read_b32 v6, a46
.LBB4_2635:                             ;   in Loop: Header=BB4_49 Depth=1
	s_and_saveexec_b64 s[24:25], s[12:13]
	s_cbranch_execz .LBB4_2654
; %bb.2636:                             ;   in Loop: Header=BB4_49 Depth=1
	s_and_saveexec_b64 vcc, s[36:37]
	s_xor_b64 s[54:55], exec, vcc
	s_cbranch_execz .LBB4_2651
; %bb.2637:                             ;   in Loop: Header=BB4_49 Depth=1
	s_and_saveexec_b64 s[56:57], s[14:15]
	s_cbranch_execz .LBB4_2650
; %bb.2638:                             ;   in Loop: Header=BB4_49 Depth=1
	s_mov_b64 s[60:61], exec
	v_mbcnt_lo_u32_b32 v0, s60, 0
	v_mbcnt_hi_u32_b32 v0, s61, v0
	v_cmp_eq_u32_e32 vcc, 0, v0
	s_waitcnt vmcnt(0) lgkmcnt(0)
	buffer_wbinvl1_vol
	s_and_saveexec_b64 s[58:59], vcc
	s_cbranch_execz .LBB4_2640
; %bb.2639:                             ;   in Loop: Header=BB4_49 Depth=1
	s_bcnt1_i32_b64 vcc_lo, s[60:61]
	v_mov_b32_e32 v38, vcc_lo
	ds_add_u64 v0, v[38:39]
	s_trap 2
.LBB4_2640:                             ;   in Loop: Header=BB4_49 Depth=1
	s_or_b64 exec, exec, s[58:59]
	s_trap 2
	ds_read_b64 v[0:1], v0
	v_accvgpr_read_b32 v2, a22
	v_accvgpr_read_b32 v3, a23
	v_add_co_u32_e32 v2, vcc, v2, v52
	v_addc_co_u32_e32 v3, vcc, 0, v3, vcc
	v_accvgpr_write_b32 a23, v3
	v_accvgpr_write_b32 a22, v2
	s_waitcnt lgkmcnt(0)
	v_cmp_lt_u64_e32 vcc, v[0:1], v[2:3]
	s_and_saveexec_b64 s[58:59], vcc
	s_cbranch_execz .LBB4_2649
; %bb.2641:                             ;   in Loop: Header=BB4_49 Depth=1
	s_mov_b32 s81, 0
	s_mov_b64 s[60:61], 0
                                        ; implicit-def: $sgpr62_sgpr63
                                        ; implicit-def: $sgpr64_sgpr65
	s_branch .LBB4_2643
.LBB4_2642:                             ;   in Loop: Header=BB4_2643 Depth=2
	s_or_b64 exec, exec, s[68:69]
	s_and_b64 vcc, exec, vcc
	s_or_b64 s[60:61], vcc, s[60:61]
	s_andn2_b64 vcc, s[62:63], exec
	s_and_b64 s[62:63], s[64:65], exec
	s_or_b64 s[62:63], vcc, s[62:63]
	s_andn2_b64 exec, exec, s[60:61]
	s_cbranch_execz .LBB4_2647
.LBB4_2643:                             ;   Parent Loop BB4_49 Depth=1
                                        ; =>  This Inner Loop Header: Depth=2
	s_add_i32 s81, s81, 1
	s_cmpk_lg_i32 s81, 0x2710
	s_cselect_b64 s[66:67], -1, 0
	s_and_b64 vcc, exec, s[66:67]
                                        ; implicit-def: $sgpr68_sgpr69
	s_cbranch_vccnz .LBB4_2645
; %bb.2644:                             ;   in Loop: Header=BB4_2643 Depth=2
	s_trap 2
	ds_read_b64 v[0:1], v0
	s_andn2_b64 s[66:67], s[66:67], exec
	s_mov_b32 s81, 0
	s_mov_b64 s[68:69], -1
	s_waitcnt lgkmcnt(0)
	flat_load_dword v0, v[0:1] glc
	s_waitcnt vmcnt(0) lgkmcnt(0)
	buffer_invl2
	buffer_wbinvl1_vol
	v_cmp_eq_u32_e32 vcc, 0, v0
	s_and_b64 vcc, vcc, exec
	s_or_b64 s[66:67], s[66:67], vcc
.LBB4_2645:                             ;   in Loop: Header=BB4_2643 Depth=2
	s_andn2_b64 s[64:65], s[64:65], exec
	s_and_b64 s[68:69], s[68:69], exec
	s_mov_b64 vcc, -1
	s_or_b64 s[64:65], s[64:65], s[68:69]
	s_and_saveexec_b64 s[68:69], s[66:67]
	s_cbranch_execz .LBB4_2642
; %bb.2646:                             ;   in Loop: Header=BB4_2643 Depth=2
	s_sleep 1
	s_trap 2
	ds_read_b64 v[0:1], v0
	v_accvgpr_read_b32 v2, a22
	v_accvgpr_read_b32 v3, a23
	s_andn2_b64 s[64:65], s[64:65], exec
	s_waitcnt lgkmcnt(0)
	v_cmp_ge_u64_e32 vcc, v[0:1], v[2:3]
	s_orn2_b64 vcc, vcc, exec
	s_branch .LBB4_2642
.LBB4_2647:                             ;   in Loop: Header=BB4_49 Depth=1
	s_or_b64 exec, exec, s[60:61]
	s_and_saveexec_b64 vcc, s[62:63]
	s_xor_b64 vcc, exec, vcc
	s_cbranch_execz .LBB4_2649
; %bb.2648:                             ;   in Loop: Header=BB4_49 Depth=1
	ds_write_b32 v0, v43
	s_trap 2
.LBB4_2649:                             ;   in Loop: Header=BB4_49 Depth=1
	s_or_b64 exec, exec, s[58:59]
	;;#ASMSTART
	s_wakeup
	;;#ASMEND
.LBB4_2650:                             ;   in Loop: Header=BB4_49 Depth=1
	s_or_b64 exec, exec, s[56:57]
.LBB4_2651:                             ;   in Loop: Header=BB4_49 Depth=1
	s_andn2_saveexec_b64 vcc, s[54:55]
	s_cbranch_execz .LBB4_2653
; %bb.2652:                             ;   in Loop: Header=BB4_49 Depth=1
	s_waitcnt vmcnt(0) lgkmcnt(0)
	buffer_wbinvl1_vol
	s_barrier
.LBB4_2653:                             ;   in Loop: Header=BB4_49 Depth=1
	s_or_b64 exec, exec, vcc
.LBB4_2654:                             ;   in Loop: Header=BB4_49 Depth=1
	s_or_b64 exec, exec, s[24:25]
	v_and_b32_e32 v0, 16, v59
	v_cmp_ne_u32_e32 vcc, 0, v0
	s_and_b64 s[24:25], vcc, s[22:23]
	s_and_saveexec_b64 s[22:23], s[24:25]
	s_cbranch_execz .LBB4_2656
; %bb.2655:                             ;   in Loop: Header=BB4_49 Depth=1
	s_waitcnt vmcnt(0) lgkmcnt(0)
	buffer_wbinvl1_vol
.LBB4_2656:                             ;   in Loop: Header=BB4_49 Depth=1
	s_or_b64 exec, exec, s[22:23]
	v_cmp_ne_u32_e32 vcc, 0, v0
	s_xor_b64 s[22:23], s[20:21], -1
	s_and_b64 s[24:25], vcc, s[22:23]
	s_and_saveexec_b64 s[22:23], s[24:25]
	s_cbranch_execz .LBB4_2658
; %bb.2657:                             ;   in Loop: Header=BB4_49 Depth=1
	v_accvgpr_read_b32 v0, a26
	v_accvgpr_read_b32 v1, a27
	flat_store_dword v[0:1], v43
.LBB4_2658:                             ;   in Loop: Header=BB4_49 Depth=1
	s_or_b64 exec, exec, s[22:23]
	v_and_b32_e32 v0, 48, v59
	v_cmp_ne_u32_e32 vcc, 0, v0
	s_and_saveexec_b64 s[22:23], vcc
	s_cbranch_execz .LBB4_2660
; %bb.2659:                             ;   in Loop: Header=BB4_49 Depth=1
	v_accvgpr_read_b32 v0, a12
	v_accvgpr_read_b32 v2, a14
	;; [unrolled: 1-line block ×3, first 2 shown]
	v_add_co_u32_e32 v2, vcc, 1, v2
	v_addc_co_u32_e32 v3, vcc, 0, v3, vcc
	v_accvgpr_read_b32 v1, a13
	v_accvgpr_write_b32 a15, v3
	v_accvgpr_write_b32 a14, v2
	;; [unrolled: 1-line block ×4, first 2 shown]
	v_accvgpr_read_b32 v0, a16
	v_accvgpr_read_b32 v1, a17
	flat_store_dwordx2 v[0:1], v[2:3]
.LBB4_2660:                             ;   in Loop: Header=BB4_49 Depth=1
	s_or_b64 exec, exec, s[22:23]
	v_mov_b32_e32 v0, v6
.LBB4_2661:                             ;   in Loop: Header=BB4_49 Depth=1
	s_or_b64 exec, exec, s[52:53]
	s_and_saveexec_b64 s[24:25], s[50:51]
	s_cbranch_execz .LBB4_48
; %bb.2662:                             ;   in Loop: Header=BB4_49 Depth=1
	v_and_b32_e32 v1, 12, v59
	v_cmp_ne_u32_e32 vcc, 0, v1
	s_mov_b64 s[50:51], -1
	s_and_saveexec_b64 s[22:23], vcc
	s_cbranch_execz .LBB4_2674
; %bb.2663:                             ;   in Loop: Header=BB4_49 Depth=1
	v_and_b32_e32 v2, 8, v59
	v_mov_b32_e32 v12, v6
	v_add_co_u32_e32 v4, vcc, v28, v2
	v_accvgpr_read_b32 v6, a12
	v_addc_co_u32_e32 v5, vcc, 0, v29, vcc
	v_accvgpr_read_b32 v8, a14
	v_accvgpr_read_b32 v9, a15
	v_add_co_u32_e32 v10, vcc, 1, v8
	v_addc_co_u32_e32 v11, vcc, 0, v9, vcc
	v_cmp_lt_u64_e32 vcc, v[4:5], v[10:11]
	v_mov_b32_e32 v1, 1
	v_accvgpr_read_b32 v7, a13
	s_and_saveexec_b64 s[50:51], vcc
	s_cbranch_execz .LBB4_2673
; %bb.2664:                             ;   in Loop: Header=BB4_49 Depth=1
	s_mov_b64 s[52:53], 0
	v_mov_b32_e32 v1, 0
                                        ; implicit-def: $sgpr54_sgpr55
	s_branch .LBB4_2668
.LBB4_2665:                             ;   in Loop: Header=BB4_2668 Depth=2
	s_or_b64 exec, exec, s[62:63]
	v_mov_b32_e32 v3, 0
	s_orn2_b64 s[60:61], s[60:61], exec
.LBB4_2666:                             ;   in Loop: Header=BB4_2668 Depth=2
	s_or_b64 exec, exec, s[58:59]
	s_andn2_b64 vcc, s[54:55], exec
	s_and_b64 s[54:55], s[60:61], exec
	s_or_b64 s[54:55], vcc, s[54:55]
	v_mov_b32_e32 v1, v3
.LBB4_2667:                             ;   in Loop: Header=BB4_2668 Depth=2
	s_or_b64 exec, exec, s[56:57]
	s_waitcnt vmcnt(0) lgkmcnt(0)
	v_add_co_u32_e32 v4, vcc, v28, v2
	v_addc_co_u32_e32 v5, vcc, 0, v29, vcc
	v_cmp_ge_u64_e32 vcc, v[4:5], v[10:11]
	s_xor_b64 s[56:57], s[54:55], -1
	s_or_b64 vcc, s[56:57], vcc
	s_and_b64 vcc, exec, vcc
	s_or_b64 s[52:53], vcc, s[52:53]
	s_andn2_b64 exec, exec, s[52:53]
	s_cbranch_execz .LBB4_2672
.LBB4_2668:                             ;   Parent Loop BB4_49 Depth=1
                                        ; =>  This Inner Loop Header: Depth=2
	v_accvgpr_read_b32 v4, a16
	v_accvgpr_read_b32 v5, a17
	s_sleep 1
	flat_load_dwordx2 v[28:29], v[4:5] glc
	v_and_b32_e32 v3, 64, v59
	v_cmp_eq_u32_e32 vcc, 0, v3
	s_andn2_b64 s[54:55], s[54:55], exec
	s_and_saveexec_b64 s[56:57], vcc
	s_cbranch_execz .LBB4_2667
; %bb.2669:                             ;   in Loop: Header=BB4_2668 Depth=2
	v_add_u32_e32 v3, 1, v1
	v_cmp_lt_i32_e32 vcc, s73, v1
	s_mov_b64 s[60:61], -1
	s_and_saveexec_b64 s[58:59], vcc
	s_cbranch_execz .LBB4_2666
; %bb.2670:                             ;   in Loop: Header=BB4_2668 Depth=2
	s_trap 2
	ds_read_b64 v[4:5], v0
	s_waitcnt vmcnt(0) lgkmcnt(0)
	flat_load_dword v1, v[4:5] glc
	s_waitcnt vmcnt(0) lgkmcnt(0)
	buffer_invl2
	buffer_wbinvl1_vol
	v_cmp_ne_u32_e32 vcc, 0, v1
	s_and_saveexec_b64 s[62:63], vcc
	s_cbranch_execz .LBB4_2665
; %bb.2671:                             ;   in Loop: Header=BB4_2668 Depth=2
	v_or_b32_e32 v59, 64, v59
	s_xor_b64 s[60:61], exec, -1
	ds_write_b32 v0, v1
	s_trap 2
	s_branch .LBB4_2665
.LBB4_2672:                             ;   in Loop: Header=BB4_49 Depth=1
	s_or_b64 exec, exec, s[52:53]
	v_and_b32_e32 v1, 12, v59
.LBB4_2673:                             ;   in Loop: Header=BB4_49 Depth=1
	s_or_b64 exec, exec, s[50:51]
	v_cmp_eq_u32_e32 vcc, 0, v1
	s_orn2_b64 s[50:51], vcc, exec
	v_mov_b32_e32 v6, v12
	;;#ASMSTART
	s_wakeup
	;;#ASMEND
.LBB4_2674:                             ;   in Loop: Header=BB4_49 Depth=1
	s_or_b64 exec, exec, s[22:23]
	v_sub_u32_e32 v0, v44, v0
	s_xor_b64 s[22:23], s[50:51], -1
	v_min_i32_e32 v2, v6, v0
	s_and_saveexec_b64 s[50:51], s[22:23]
	s_cbranch_execz .LBB4_2686
; %bb.2675:                             ;   in Loop: Header=BB4_49 Depth=1
	v_accvgpr_read_b32 v4, a12
	v_and_b32_e32 v0, 0x108, v59
	v_accvgpr_read_b32 v6, a14
	v_cmp_ne_u32_e32 vcc, s74, v0
	v_and_b32_e32 v10, 7, v6
	v_accvgpr_read_b32 v5, a13
	v_accvgpr_read_b32 v7, a15
	s_and_saveexec_b64 s[22:23], vcc
	s_xor_b64 s[22:23], exec, s[22:23]
	s_andn2_saveexec_b64 s[22:23], s[22:23]
	s_cbranch_execz .LBB4_2677
; %bb.2676:                             ;   in Loop: Header=BB4_49 Depth=1
	v_accvgpr_read_b32 v4, a12
	v_accvgpr_read_b32 v5, a13
	v_mad_u64_u32 v[0:1], vcc, v10, 24, v[4:5]
	v_ashrrev_i32_e32 v3, 31, v2
	v_accvgpr_read_b32 v6, a14
	v_accvgpr_read_b32 v7, a15
	flat_store_dwordx2 v[0:1], v[2:3] offset:8
.LBB4_2677:                             ;   in Loop: Header=BB4_49 Depth=1
	s_or_b64 exec, exec, s[22:23]
	v_and_b32_e32 v0, 0x100, v59
	v_cmp_ne_u32_e32 vcc, 0, v0
	s_mov_b64 s[22:23], -1
                                        ; implicit-def: $vgpr12_vgpr13
	s_and_saveexec_b64 s[52:53], vcc
	s_cbranch_execz .LBB4_2681
; %bb.2678:                             ;   in Loop: Header=BB4_49 Depth=1
	v_accvgpr_read_b32 v4, a12
	v_accvgpr_read_b32 v5, a13
	v_mad_u64_u32 v[14:15], s[22:23], v10, 24, v[4:5]
	v_mov_b32_e32 v0, v15
	v_mad_u64_u32 v[0:1], s[22:23], v39, 24, v[0:1]
	v_mov_b32_e32 v15, v0
	flat_load_dword v0, v[14:15]
	v_accvgpr_read_b32 v6, a14
	v_accvgpr_read_b32 v7, a15
                                        ; implicit-def: $vgpr12_vgpr13
	s_waitcnt vmcnt(0) lgkmcnt(0)
	v_cmp_ne_u32_e32 vcc, 1, v0
	v_cmp_eq_u32_e64 s[22:23], 1, v0
	s_and_saveexec_b64 s[54:55], s[22:23]
	s_cbranch_execz .LBB4_2680
; %bb.2679:                             ;   in Loop: Header=BB4_49 Depth=1
	flat_load_dword v12, v[14:15] offset:4 glc
	s_waitcnt vmcnt(0) lgkmcnt(0)
	v_ashrrev_i32_e32 v13, 31, v12
.LBB4_2680:                             ;   in Loop: Header=BB4_49 Depth=1
	s_or_b64 exec, exec, s[54:55]
	s_orn2_b64 s[22:23], vcc, exec
.LBB4_2681:                             ;   in Loop: Header=BB4_49 Depth=1
	s_or_b64 exec, exec, s[52:53]
	s_and_saveexec_b64 vcc, s[22:23]
; %bb.2682:                             ;   in Loop: Header=BB4_49 Depth=1
	v_accvgpr_read_b32 v4, a18
	v_mul_lo_u32 v0, v39, v4
	v_mul_lo_u32 v1, v10, v53
	v_mad_u64_u32 v[12:13], s[22:23], v10, v4, 0
	v_add3_u32 v13, v13, v1, v0
; %bb.2683:                             ;   in Loop: Header=BB4_49 Depth=1
	s_or_b64 exec, exec, vcc
	v_accvgpr_read_b32 v0, a20
	v_accvgpr_read_b32 v1, a21
	v_add_co_u32_e32 v0, vcc, v0, v12
	v_addc_co_u32_e32 v1, vcc, v1, v13, vcc
	s_trap 2
	ds_write_b64 v0, v[0:1]
	v_and_b32_e32 v0, 0x2000, v59
	v_cmp_ne_u32_e32 vcc, 0, v0
	s_and_saveexec_b64 s[22:23], vcc
	s_cbranch_execz .LBB4_2685
; %bb.2684:                             ;   in Loop: Header=BB4_49 Depth=1
	ds_read_b64 v[0:1], v0 offset:584
	s_waitcnt lgkmcnt(0)
	v_add_co_u32_e32 v0, vcc, 1, v0
	v_addc_co_u32_e32 v1, vcc, 0, v1, vcc
	ds_write_b64 v0, v[0:1] offset:584
.LBB4_2685:                             ;   in Loop: Header=BB4_49 Depth=1
	s_or_b64 exec, exec, s[22:23]
	v_accvgpr_read_b32 v4, a12
	v_accvgpr_read_b32 v6, a14
	v_accvgpr_read_b32 v7, a15
	v_add_co_u32_e32 v6, vcc, 1, v6
	v_addc_co_u32_e32 v7, vcc, 0, v7, vcc
	v_accvgpr_read_b32 v5, a13
	v_accvgpr_write_b32 a15, v7
	v_accvgpr_write_b32 a14, v6
	;; [unrolled: 1-line block ×4, first 2 shown]
.LBB4_2686:                             ;   in Loop: Header=BB4_49 Depth=1
	s_or_b64 exec, exec, s[50:51]
	s_and_saveexec_b64 s[22:23], s[12:13]
	s_cbranch_execz .LBB4_2705
; %bb.2687:                             ;   in Loop: Header=BB4_49 Depth=1
	s_and_saveexec_b64 vcc, s[36:37]
	s_xor_b64 s[50:51], exec, vcc
	s_cbranch_execz .LBB4_2702
; %bb.2688:                             ;   in Loop: Header=BB4_49 Depth=1
	s_and_saveexec_b64 s[52:53], s[14:15]
	s_cbranch_execz .LBB4_2701
; %bb.2689:                             ;   in Loop: Header=BB4_49 Depth=1
	s_mov_b64 s[56:57], exec
	v_mbcnt_lo_u32_b32 v0, s56, 0
	v_mbcnt_hi_u32_b32 v0, s57, v0
	v_cmp_eq_u32_e32 vcc, 0, v0
	s_waitcnt vmcnt(0) lgkmcnt(0)
	buffer_wbinvl1_vol
	s_and_saveexec_b64 s[54:55], vcc
	s_cbranch_execz .LBB4_2691
; %bb.2690:                             ;   in Loop: Header=BB4_49 Depth=1
	s_bcnt1_i32_b64 vcc_lo, s[56:57]
	v_mov_b32_e32 v38, vcc_lo
	ds_add_u64 v0, v[38:39]
	s_trap 2
.LBB4_2691:                             ;   in Loop: Header=BB4_49 Depth=1
	s_or_b64 exec, exec, s[54:55]
	s_trap 2
	ds_read_b64 v[0:1], v0
	v_accvgpr_read_b32 v4, a22
	v_accvgpr_read_b32 v5, a23
	v_add_co_u32_e32 v4, vcc, v4, v52
	v_addc_co_u32_e32 v5, vcc, 0, v5, vcc
	v_accvgpr_write_b32 a23, v5
	v_accvgpr_write_b32 a22, v4
	s_waitcnt lgkmcnt(0)
	v_cmp_lt_u64_e32 vcc, v[0:1], v[4:5]
	s_and_saveexec_b64 s[54:55], vcc
	s_cbranch_execz .LBB4_2700
; %bb.2692:                             ;   in Loop: Header=BB4_49 Depth=1
	s_mov_b32 s66, 0
	s_mov_b64 s[56:57], 0
                                        ; implicit-def: $sgpr58_sgpr59
                                        ; implicit-def: $sgpr60_sgpr61
	s_branch .LBB4_2694
.LBB4_2693:                             ;   in Loop: Header=BB4_2694 Depth=2
	s_or_b64 exec, exec, s[64:65]
	s_and_b64 vcc, exec, vcc
	s_or_b64 s[56:57], vcc, s[56:57]
	s_andn2_b64 vcc, s[58:59], exec
	s_and_b64 s[58:59], s[60:61], exec
	s_or_b64 s[58:59], vcc, s[58:59]
	s_andn2_b64 exec, exec, s[56:57]
	s_cbranch_execz .LBB4_2698
.LBB4_2694:                             ;   Parent Loop BB4_49 Depth=1
                                        ; =>  This Inner Loop Header: Depth=2
	s_add_i32 s66, s66, 1
	s_cmpk_lg_i32 s66, 0x2710
	s_cselect_b64 s[62:63], -1, 0
	s_and_b64 vcc, exec, s[62:63]
                                        ; implicit-def: $sgpr64_sgpr65
	s_cbranch_vccnz .LBB4_2696
; %bb.2695:                             ;   in Loop: Header=BB4_2694 Depth=2
	s_trap 2
	ds_read_b64 v[0:1], v0
	s_andn2_b64 s[62:63], s[62:63], exec
	s_mov_b32 s66, 0
	s_mov_b64 s[64:65], -1
	s_waitcnt lgkmcnt(0)
	flat_load_dword v0, v[0:1] glc
	s_waitcnt vmcnt(0) lgkmcnt(0)
	buffer_invl2
	buffer_wbinvl1_vol
	v_cmp_eq_u32_e32 vcc, 0, v0
	s_and_b64 vcc, vcc, exec
	s_or_b64 s[62:63], s[62:63], vcc
.LBB4_2696:                             ;   in Loop: Header=BB4_2694 Depth=2
	s_andn2_b64 s[60:61], s[60:61], exec
	s_and_b64 s[64:65], s[64:65], exec
	s_mov_b64 vcc, -1
	s_or_b64 s[60:61], s[60:61], s[64:65]
	s_and_saveexec_b64 s[64:65], s[62:63]
	s_cbranch_execz .LBB4_2693
; %bb.2697:                             ;   in Loop: Header=BB4_2694 Depth=2
	s_sleep 1
	s_trap 2
	ds_read_b64 v[0:1], v0
	v_accvgpr_read_b32 v4, a22
	v_accvgpr_read_b32 v5, a23
	s_andn2_b64 s[60:61], s[60:61], exec
	s_waitcnt lgkmcnt(0)
	v_cmp_ge_u64_e32 vcc, v[0:1], v[4:5]
	s_orn2_b64 vcc, vcc, exec
	s_branch .LBB4_2693
.LBB4_2698:                             ;   in Loop: Header=BB4_49 Depth=1
	s_or_b64 exec, exec, s[56:57]
	s_and_saveexec_b64 vcc, s[58:59]
	s_xor_b64 vcc, exec, vcc
	s_cbranch_execz .LBB4_2700
; %bb.2699:                             ;   in Loop: Header=BB4_49 Depth=1
	ds_write_b32 v0, v43
	s_trap 2
.LBB4_2700:                             ;   in Loop: Header=BB4_49 Depth=1
	s_or_b64 exec, exec, s[54:55]
	;;#ASMSTART
	s_wakeup
	;;#ASMEND
.LBB4_2701:                             ;   in Loop: Header=BB4_49 Depth=1
	s_or_b64 exec, exec, s[52:53]
.LBB4_2702:                             ;   in Loop: Header=BB4_49 Depth=1
	s_andn2_saveexec_b64 vcc, s[50:51]
	s_cbranch_execz .LBB4_2704
; %bb.2703:                             ;   in Loop: Header=BB4_49 Depth=1
	s_waitcnt vmcnt(0) lgkmcnt(0)
	buffer_wbinvl1_vol
	s_barrier
.LBB4_2704:                             ;   in Loop: Header=BB4_49 Depth=1
	s_or_b64 exec, exec, vcc
.LBB4_2705:                             ;   in Loop: Header=BB4_49 Depth=1
	s_or_b64 exec, exec, s[22:23]
	s_trap 2
	ds_read_b32 v1, v0
	v_cmp_lt_i32_e32 vcc, 0, v2
	v_and_b32_e32 v0, 16, v59
	s_waitcnt lgkmcnt(0)
	v_readfirstlane_b32 s22, v1
	s_cmp_eq_u32 s22, 0
	s_cselect_b64 s[22:23], -1, 0
	s_and_b64 s[22:23], vcc, s[22:23]
	v_cmp_ne_u32_e32 vcc, 0, v0
	s_and_b64 vcc, vcc, s[22:23]
	s_and_saveexec_b64 s[22:23], vcc
	s_cbranch_execz .LBB4_2707
; %bb.2706:                             ;   in Loop: Header=BB4_49 Depth=1
	s_waitcnt vmcnt(0)
	buffer_wbinvl1_vol
.LBB4_2707:                             ;   in Loop: Header=BB4_49 Depth=1
	s_or_b64 exec, exec, s[22:23]
	v_cmp_ne_u32_e32 vcc, 0, v0
	s_xor_b64 s[22:23], s[20:21], -1
	s_and_b64 vcc, vcc, s[22:23]
	s_and_saveexec_b64 s[22:23], vcc
	s_cbranch_execz .LBB4_2709
; %bb.2708:                             ;   in Loop: Header=BB4_49 Depth=1
	v_accvgpr_read_b32 v0, a26
	v_accvgpr_read_b32 v1, a27
	flat_store_dword v[0:1], v43
.LBB4_2709:                             ;   in Loop: Header=BB4_49 Depth=1
	s_or_b64 exec, exec, s[22:23]
	v_and_b32_e32 v0, 48, v59
	v_cmp_ne_u32_e32 vcc, 0, v0
	s_and_saveexec_b64 s[22:23], vcc
	s_cbranch_execz .LBB4_47
; %bb.2710:                             ;   in Loop: Header=BB4_49 Depth=1
	v_accvgpr_read_b32 v0, a12
	v_accvgpr_read_b32 v2, a14
	;; [unrolled: 1-line block ×3, first 2 shown]
	v_add_co_u32_e32 v2, vcc, 1, v2
	v_addc_co_u32_e32 v3, vcc, 0, v3, vcc
	v_accvgpr_read_b32 v1, a13
	v_accvgpr_write_b32 a15, v3
	v_accvgpr_write_b32 a14, v2
	;; [unrolled: 1-line block ×4, first 2 shown]
	v_accvgpr_read_b32 v0, a16
	v_accvgpr_read_b32 v1, a17
	flat_store_dwordx2 v[0:1], v[2:3]
	s_branch .LBB4_47
.LBB4_2711:
	s_or_b64 exec, exec, s[38:39]
	v_accvgpr_read_b32 v23, a15
	v_accvgpr_read_b32 v22, a14
	;; [unrolled: 1-line block ×4, first 2 shown]
.LBB4_2712:
	s_or_b64 exec, exec, s[34:35]
                                        ; implicit-def: $agpr6_agpr7
                                        ; implicit-def: $vgpr18_vgpr19
                                        ; implicit-def: $agpr18
                                        ; implicit-def: $vgpr28_vgpr29
                                        ; implicit-def: $agpr20_agpr21
                                        ; implicit-def: $agpr16_agpr17
                                        ; implicit-def: $agpr3
                                        ; implicit-def: $vgpr0
                                        ; implicit-def: $agpr24_agpr25
.LBB4_2713:
	s_andn2_saveexec_b64 s[22:23], s[30:31]
	s_cbranch_execz .LBB4_5374
; %bb.2714:
	v_pk_mov_b32 v[2:3], 0, 0
	v_accvgpr_write_b32 a23, v3
	v_accvgpr_write_b32 a22, v2
	s_and_saveexec_b64 s[24:25], s[6:7]
	s_cbranch_execz .LBB4_5373
; %bb.2715:
	v_accvgpr_read_b32 v2, a0
	s_waitcnt vmcnt(0)
	v_accvgpr_read_b32 v1, a2
	v_cmp_ne_u32_sdwa s[30:31], v1, v2 src0_sel:WORD_0 src1_sel:DWORD
	v_accvgpr_read_b32 v1, a1
	v_accvgpr_read_b32 v3, a3
	v_and_b32_e32 v1, 63, v1
	v_cmp_eq_u32_e64 s[12:13], 0, v1
	v_ashrrev_i32_e32 v1, 31, v3
	v_lshrrev_b32_e32 v1, 26, v1
	v_add_u32_e32 v1, v3, v1
	v_ashrrev_i32_e32 v51, 6, v1
	v_and_b32_e32 v1, 0xffffffc0, v1
	v_sub_u32_e32 v1, v3, v1
	v_cmp_le_i32_e64 s[14:15], v1, v0
	v_lshlrev_b32_e32 v0, 11, v51
	v_lshl_add_u32 v0, v1, 4, v0
	v_lshrrev_b32_e32 v50, 6, v2
	v_cmp_gt_i32_e64 s[16:17], 1, v1
	s_waitcnt lgkmcnt(0)
	v_accvgpr_write_b32 a27, v1
	v_accvgpr_write_b32 a28, v0
	v_ashrrev_i32_e32 v1, 31, v0
	v_mov_b32_e32 v0, 0xfffff800
	v_lshl_add_u32 v0, v50, 11, v0
	s_movk_i32 s18, 0x800
	v_accvgpr_write_b32 a29, v1
	v_ashrrev_i32_e32 v1, 31, v0
	v_add_co_u32_e64 v0, s[18:19], s18, v0
	v_accvgpr_write_b32 a30, v0
	v_addc_co_u32_e64 v0, s[18:19], 0, v1, s[18:19]
	v_lshlrev_b32_e32 v52, 10, v50
	v_accvgpr_write_b32 a31, v0
	v_add_u32_e32 v0, 0xfffffc00, v52
	s_movk_i32 s18, 0x400
	v_ashrrev_i32_e32 v1, 31, v0
	v_add_co_u32_e64 v0, s[18:19], s18, v0
	s_ashr_i32 s6, s70, 31
	v_accvgpr_write_b32 a33, v0
	v_addc_co_u32_e64 v0, s[18:19], 0, v1, s[18:19]
	s_lshr_b32 s6, s6, 24
	v_accvgpr_write_b32 a34, v0
	v_mov_b32_e32 v0, 0xfffffe00
	s_add_i32 s6, s70, s6
	v_lshl_add_u32 v0, v50, 9, v0
	s_movk_i32 s18, 0x200
	v_pk_mov_b32 v[60:61], 0, 0
	v_accvgpr_write_b32 a12, v20
	s_ashr_i32 s66, s6, 8
	v_cmp_ge_i32_e64 s[6:7], v3, v2
	v_cmp_eq_u32_e32 vcc, 64, v2
	v_cmp_ne_u32_e64 s[10:11], 64, v2
	v_ashrrev_i32_e32 v1, 31, v0
	v_add_co_u32_e64 v54, s[18:19], s18, v0
	v_and_b32_e32 v56, 0xffffffc0, v2
	s_mov_b32 s42, -1
	v_accvgpr_write_b32 a22, v60
	v_accvgpr_read_b32 v2, a24
	v_accvgpr_write_b32 a13, v21
	v_accvgpr_write_b32 a14, v22
	;; [unrolled: 1-line block ×3, first 2 shown]
	v_mov_b32_e32 v37, 0
	s_movk_i32 s67, 0xffc0
	v_addc_co_u32_e64 v46, s[18:19], 0, v1, s[18:19]
	v_ashrrev_i32_e32 v47, 31, v56
	s_mov_b64 s[34:35], 0
	s_movk_i32 s68, 0x270e
	s_xor_b64 s[36:37], vcc, -1
	s_movk_i32 s69, 0x7f
	s_movk_i32 s71, 0x80
	s_mov_b64 s[38:39], 0x7f800000
	s_mov_b64 s[40:41], 0x43e00001
	s_movk_i32 s72, 0x7a
	s_mov_b32 s43, 0xffffff
	s_mov_b64 s[44:45], 0xffffff
	s_mov_b32 s73, 0xc0c0500
	s_mov_b32 s74, 0x8000
	;; [unrolled: 1-line block ×3, first 2 shown]
	v_bfrev_b32_e32 v55, 60
	v_accvgpr_write_b32 a23, v61
	v_accvgpr_read_b32 v3, a25
	s_trap 2
	s_branch .LBB4_2718
.LBB4_2716:                             ;   in Loop: Header=BB4_2718 Depth=1
	s_or_b64 exec, exec, s[18:19]
.LBB4_2717:                             ;   in Loop: Header=BB4_2718 Depth=1
	s_or_b64 exec, exec, s[20:21]
	v_accvgpr_read_b32 v2, a24
	v_add_co_u32_e32 v60, vcc, v60, v2
	v_accvgpr_read_b32 v19, a5
	v_addc_co_u32_e32 v61, vcc, 0, v61, vcc
	v_accvgpr_read_b32 v18, a4
	v_cmp_ge_u64_e32 vcc, v[60:61], v[18:19]
	v_accvgpr_read_b32 v3, a25
	s_or_b64 s[34:35], vcc, s[34:35]
	s_andn2_b64 exec, exec, s[34:35]
	s_cbranch_execz .LBB4_5372
.LBB4_2718:                             ; =>This Loop Header: Depth=1
                                        ;     Child Loop BB4_2729 Depth 2
                                        ;     Child Loop BB4_2751 Depth 2
	;; [unrolled: 1-line block ×10, first 2 shown]
	v_sub_co_u32_e32 v0, vcc, v18, v60
	v_subb_co_u32_e32 v1, vcc, v19, v61, vcc
	v_cmp_lt_u64_e32 vcc, v[2:3], v[0:1]
	v_cndmask_b32_e64 v41, v1, 0, vcc
	v_cndmask_b32_e32 v40, v0, v2, vcc
	v_add_u32_e32 v0, 15, v40
	v_cmp_eq_u64_e32 vcc, 0, v[40:41]
	v_accvgpr_write_b32 a4, v18
	v_and_b32_e32 v0, 0x7ffffff0, v0
	s_or_b64 s[46:47], s[6:7], vcc
	v_accvgpr_write_b32 a5, v19
	v_max_i32_e32 v53, s66, v0
	s_xor_b64 s[18:19], s[46:47], -1
	v_mov_b32_e32 v0, v37
	s_and_saveexec_b64 s[48:49], s[18:19]
	s_cbranch_execz .LBB4_5326
; %bb.2719:                             ;   in Loop: Header=BB4_2718 Depth=1
	s_and_saveexec_b64 s[18:19], s[4:5]
	s_cbranch_execz .LBB4_2721
; %bb.2720:                             ;   in Loop: Header=BB4_2718 Depth=1
	s_trap 2
	ds_read2_b64 v[0:3], v0 offset1:1
	v_accvgpr_read_b32 v4, a6
	v_accvgpr_read_b32 v5, a7
	v_add_co_u32_e32 v6, vcc, v60, v4
	v_addc_co_u32_e32 v7, vcc, v61, v5, vcc
	s_waitcnt lgkmcnt(0)
	ds_read_b64 v[4:5], v0
	v_add_co_u32_e32 v0, vcc, v0, v6
	v_addc_co_u32_e32 v1, vcc, v1, v7, vcc
	ds_write_b64 v0, v[0:1]
	v_add_co_u32_e32 v0, vcc, v2, v6
	v_addc_co_u32_e32 v1, vcc, v3, v7, vcc
	ds_write_b64 v0, v[0:1]
	s_waitcnt lgkmcnt(0)
	v_add_co_u32_e32 v0, vcc, v4, v6
	v_addc_co_u32_e32 v1, vcc, v5, v7, vcc
	v_cmp_ne_u64_e32 vcc, 0, v[4:5]
	v_cndmask_b32_e32 v1, 0, v1, vcc
	v_cndmask_b32_e32 v0, 0, v0, vcc
	ds_write_b64 v0, v[0:1]
.LBB4_2721:                             ;   in Loop: Header=BB4_2718 Depth=1
	s_or_b64 exec, exec, s[18:19]
	v_and_b32_e32 v0, 4, v59
	v_cmp_ne_u32_e32 vcc, 0, v0
	s_mov_b64 s[20:21], -1
	s_and_saveexec_b64 s[18:19], vcc
	s_cbranch_execnz .LBB4_2724
; %bb.2722:                             ;   in Loop: Header=BB4_2718 Depth=1
	s_or_b64 exec, exec, s[18:19]
	s_xor_b64 s[18:19], s[20:21], -1
	s_and_saveexec_b64 s[20:21], s[18:19]
	s_cbranch_execnz .LBB4_2735
.LBB4_2723:                             ;   in Loop: Header=BB4_2718 Depth=1
	s_or_b64 exec, exec, s[20:21]
	s_and_saveexec_b64 s[18:19], s[10:11]
	s_cbranch_execnz .LBB4_2744
	s_branch .LBB4_2762
.LBB4_2724:                             ;   in Loop: Header=BB4_2718 Depth=1
	v_accvgpr_read_b32 v0, a12
	v_accvgpr_read_b32 v2, a14
	;; [unrolled: 1-line block ×3, first 2 shown]
	v_add_co_u32_e32 v2, vcc, 1, v2
	v_addc_co_u32_e32 v3, vcc, 0, v3, vcc
	v_cmp_lt_u64_e32 vcc, v[28:29], v[2:3]
	v_mov_b32_e32 v0, 1
	v_accvgpr_read_b32 v1, a13
	s_and_saveexec_b64 s[20:21], vcc
	s_cbranch_execz .LBB4_2734
; %bb.2725:                             ;   in Loop: Header=BB4_2718 Depth=1
	s_mov_b64 s[50:51], 0
	v_mov_b32_e32 v0, 0
                                        ; implicit-def: $sgpr52_sgpr53
	s_branch .LBB4_2729
.LBB4_2726:                             ;   in Loop: Header=BB4_2729 Depth=2
	s_or_b64 exec, exec, s[60:61]
	v_mov_b32_e32 v1, 0
	s_orn2_b64 s[58:59], s[58:59], exec
.LBB4_2727:                             ;   in Loop: Header=BB4_2729 Depth=2
	s_or_b64 exec, exec, s[56:57]
	s_andn2_b64 vcc, s[52:53], exec
	s_and_b64 s[52:53], s[58:59], exec
	s_or_b64 s[52:53], vcc, s[52:53]
	v_mov_b32_e32 v0, v1
.LBB4_2728:                             ;   in Loop: Header=BB4_2729 Depth=2
	s_or_b64 exec, exec, s[54:55]
	s_waitcnt vmcnt(0) lgkmcnt(0)
	v_cmp_ge_u64_e32 vcc, v[28:29], v[2:3]
	s_xor_b64 s[54:55], s[52:53], -1
	s_or_b64 vcc, s[54:55], vcc
	s_and_b64 vcc, exec, vcc
	s_or_b64 s[50:51], vcc, s[50:51]
	s_andn2_b64 exec, exec, s[50:51]
	s_cbranch_execz .LBB4_2733
.LBB4_2729:                             ;   Parent Loop BB4_2718 Depth=1
                                        ; =>  This Inner Loop Header: Depth=2
	v_accvgpr_read_b32 v4, a16
	v_accvgpr_read_b32 v5, a17
	s_sleep 1
	flat_load_dwordx2 v[28:29], v[4:5] glc
	v_and_b32_e32 v1, 64, v59
	v_cmp_eq_u32_e32 vcc, 0, v1
	s_andn2_b64 s[52:53], s[52:53], exec
	s_and_saveexec_b64 s[54:55], vcc
	s_cbranch_execz .LBB4_2728
; %bb.2730:                             ;   in Loop: Header=BB4_2729 Depth=2
	v_add_u32_e32 v1, 1, v0
	v_cmp_lt_i32_e32 vcc, s68, v0
	s_mov_b64 s[58:59], -1
	s_and_saveexec_b64 s[56:57], vcc
	s_cbranch_execz .LBB4_2727
; %bb.2731:                             ;   in Loop: Header=BB4_2729 Depth=2
	s_trap 2
	ds_read_b64 v[0:1], v0
	s_waitcnt vmcnt(0) lgkmcnt(0)
	flat_load_dword v0, v[0:1] glc
	s_waitcnt vmcnt(0) lgkmcnt(0)
	buffer_invl2
	buffer_wbinvl1_vol
	v_cmp_ne_u32_e32 vcc, 0, v0
	s_and_saveexec_b64 s[60:61], vcc
	s_cbranch_execz .LBB4_2726
; %bb.2732:                             ;   in Loop: Header=BB4_2729 Depth=2
	v_or_b32_e32 v59, 64, v59
	s_xor_b64 s[58:59], exec, -1
	ds_write_b32 v0, v0
	s_trap 2
	s_branch .LBB4_2726
.LBB4_2733:                             ;   in Loop: Header=BB4_2718 Depth=1
	s_or_b64 exec, exec, s[50:51]
	v_and_b32_e32 v0, 4, v59
.LBB4_2734:                             ;   in Loop: Header=BB4_2718 Depth=1
	s_or_b64 exec, exec, s[20:21]
	v_cmp_eq_u32_e32 vcc, 0, v0
	s_orn2_b64 s[20:21], vcc, exec
	;;#ASMSTART
	s_wakeup
	;;#ASMEND
	s_or_b64 exec, exec, s[18:19]
	s_xor_b64 s[18:19], s[20:21], -1
	s_and_saveexec_b64 s[20:21], s[18:19]
	s_cbranch_execz .LBB4_2723
.LBB4_2735:                             ;   in Loop: Header=BB4_2718 Depth=1
	v_and_b32_e32 v0, 0x100, v59
	v_cmp_ne_u32_e32 vcc, 0, v0
	v_accvgpr_read_b32 v0, a12
	v_accvgpr_read_b32 v2, a14
	;; [unrolled: 1-line block ×3, first 2 shown]
	v_and_b32_e32 v0, 7, v2
	s_mov_b64 s[18:19], -1
	v_accvgpr_read_b32 v1, a13
                                        ; implicit-def: $vgpr2_vgpr3
	s_and_saveexec_b64 s[50:51], vcc
	s_cbranch_execz .LBB4_2739
; %bb.2736:                             ;   in Loop: Header=BB4_2718 Depth=1
	v_accvgpr_read_b32 v2, a12
	v_accvgpr_read_b32 v3, a13
	v_mad_u64_u32 v[10:11], s[18:19], v0, 24, v[2:3]
	flat_load_dword v1, v[10:11]
	v_accvgpr_read_b32 v4, a14
	v_accvgpr_read_b32 v5, a15
                                        ; implicit-def: $vgpr2_vgpr3
	s_waitcnt vmcnt(0) lgkmcnt(0)
	v_cmp_ne_u32_e32 vcc, 1, v1
	v_cmp_eq_u32_e64 s[18:19], 1, v1
	s_and_saveexec_b64 s[52:53], s[18:19]
	s_cbranch_execz .LBB4_2738
; %bb.2737:                             ;   in Loop: Header=BB4_2718 Depth=1
	flat_load_dword v2, v[10:11] offset:4 glc
	s_waitcnt vmcnt(0) lgkmcnt(0)
	v_ashrrev_i32_e32 v3, 31, v2
.LBB4_2738:                             ;   in Loop: Header=BB4_2718 Depth=1
	s_or_b64 exec, exec, s[52:53]
	s_orn2_b64 s[18:19], vcc, exec
.LBB4_2739:                             ;   in Loop: Header=BB4_2718 Depth=1
	s_or_b64 exec, exec, s[50:51]
	s_and_saveexec_b64 vcc, s[18:19]
; %bb.2740:                             ;   in Loop: Header=BB4_2718 Depth=1
	v_accvgpr_read_b32 v2, a18
	v_mad_i64_i32 v[2:3], s[18:19], v0, v2, 0
; %bb.2741:                             ;   in Loop: Header=BB4_2718 Depth=1
	s_or_b64 exec, exec, vcc
	v_accvgpr_read_b32 v0, a20
	v_accvgpr_read_b32 v1, a21
	v_add_co_u32_e32 v0, vcc, v0, v2
	v_addc_co_u32_e32 v1, vcc, v1, v3, vcc
	ds_write_b64 v0, v[0:1] offset:728
	v_and_b32_e32 v0, 0x2000, v59
	v_cmp_ne_u32_e32 vcc, 0, v0
	s_and_saveexec_b64 s[18:19], vcc
	s_cbranch_execz .LBB4_2743
; %bb.2742:                             ;   in Loop: Header=BB4_2718 Depth=1
	ds_read_b64 v[0:1], v0 offset:584
	s_waitcnt lgkmcnt(0)
	v_add_co_u32_e32 v0, vcc, 1, v0
	v_addc_co_u32_e32 v1, vcc, 0, v1, vcc
	ds_write_b64 v0, v[0:1] offset:584
.LBB4_2743:                             ;   in Loop: Header=BB4_2718 Depth=1
	s_or_b64 exec, exec, s[18:19]
	v_accvgpr_read_b32 v0, a12
	v_accvgpr_read_b32 v2, a14
	v_accvgpr_read_b32 v3, a15
	v_add_co_u32_e32 v2, vcc, 1, v2
	v_addc_co_u32_e32 v3, vcc, 0, v3, vcc
	v_accvgpr_read_b32 v1, a13
	v_accvgpr_write_b32 a15, v3
	v_accvgpr_write_b32 a14, v2
	;; [unrolled: 1-line block ×4, first 2 shown]
	s_or_b64 exec, exec, s[20:21]
	s_and_saveexec_b64 s[18:19], s[10:11]
	s_cbranch_execz .LBB4_2762
.LBB4_2744:                             ;   in Loop: Header=BB4_2718 Depth=1
	s_and_saveexec_b64 s[20:21], s[30:31]
	s_xor_b64 s[20:21], exec, s[20:21]
	s_cbranch_execz .LBB4_2759
; %bb.2745:                             ;   in Loop: Header=BB4_2718 Depth=1
	s_and_saveexec_b64 s[50:51], s[12:13]
	s_cbranch_execz .LBB4_2758
; %bb.2746:                             ;   in Loop: Header=BB4_2718 Depth=1
	s_mov_b64 s[54:55], exec
	v_mbcnt_lo_u32_b32 v0, s54, 0
	v_mbcnt_hi_u32_b32 v0, s55, v0
	v_cmp_eq_u32_e32 vcc, 0, v0
	s_waitcnt vmcnt(0) lgkmcnt(0)
	buffer_wbinvl1_vol
	s_and_saveexec_b64 s[52:53], vcc
	s_cbranch_execz .LBB4_2748
; %bb.2747:                             ;   in Loop: Header=BB4_2718 Depth=1
	s_bcnt1_i32_b64 vcc_lo, s[54:55]
	v_mov_b32_e32 v36, vcc_lo
	ds_add_u64 v0, v[36:37]
	s_trap 2
.LBB4_2748:                             ;   in Loop: Header=BB4_2718 Depth=1
	s_or_b64 exec, exec, s[52:53]
	s_trap 2
	ds_read_b64 v[0:1], v0
	v_accvgpr_read_b32 v2, a22
	v_accvgpr_read_b32 v3, a23
	v_add_co_u32_e32 v2, vcc, v2, v50
	v_addc_co_u32_e32 v3, vcc, 0, v3, vcc
	v_accvgpr_write_b32 a23, v3
	v_accvgpr_write_b32 a22, v2
	s_waitcnt lgkmcnt(0)
	v_cmp_lt_u64_e32 vcc, v[0:1], v[2:3]
	s_and_saveexec_b64 s[52:53], vcc
	s_cbranch_execz .LBB4_2757
; %bb.2749:                             ;   in Loop: Header=BB4_2718 Depth=1
	s_mov_b32 s64, 0
	s_mov_b64 s[54:55], 0
                                        ; implicit-def: $sgpr56_sgpr57
                                        ; implicit-def: $sgpr58_sgpr59
	s_branch .LBB4_2751
.LBB4_2750:                             ;   in Loop: Header=BB4_2751 Depth=2
	s_or_b64 exec, exec, s[62:63]
	s_and_b64 vcc, exec, vcc
	s_or_b64 s[54:55], vcc, s[54:55]
	s_andn2_b64 vcc, s[56:57], exec
	s_and_b64 s[56:57], s[58:59], exec
	s_or_b64 s[56:57], vcc, s[56:57]
	s_andn2_b64 exec, exec, s[54:55]
	s_cbranch_execz .LBB4_2755
.LBB4_2751:                             ;   Parent Loop BB4_2718 Depth=1
                                        ; =>  This Inner Loop Header: Depth=2
	s_add_i32 s64, s64, 1
	s_cmpk_lg_i32 s64, 0x2710
	s_cselect_b64 s[60:61], -1, 0
	s_and_b64 vcc, exec, s[60:61]
                                        ; implicit-def: $sgpr62_sgpr63
	s_cbranch_vccnz .LBB4_2753
; %bb.2752:                             ;   in Loop: Header=BB4_2751 Depth=2
	s_trap 2
	ds_read_b64 v[0:1], v0
	s_andn2_b64 s[60:61], s[60:61], exec
	s_mov_b32 s64, 0
	s_mov_b64 s[62:63], -1
	s_waitcnt lgkmcnt(0)
	flat_load_dword v0, v[0:1] glc
	s_waitcnt vmcnt(0) lgkmcnt(0)
	buffer_invl2
	buffer_wbinvl1_vol
	v_cmp_eq_u32_e32 vcc, 0, v0
	s_and_b64 vcc, vcc, exec
	s_or_b64 s[60:61], s[60:61], vcc
.LBB4_2753:                             ;   in Loop: Header=BB4_2751 Depth=2
	s_andn2_b64 s[58:59], s[58:59], exec
	s_and_b64 s[62:63], s[62:63], exec
	s_mov_b64 vcc, -1
	s_or_b64 s[58:59], s[58:59], s[62:63]
	s_and_saveexec_b64 s[62:63], s[60:61]
	s_cbranch_execz .LBB4_2750
; %bb.2754:                             ;   in Loop: Header=BB4_2751 Depth=2
	s_sleep 1
	s_trap 2
	ds_read_b64 v[0:1], v0
	v_accvgpr_read_b32 v2, a22
	v_accvgpr_read_b32 v3, a23
	s_andn2_b64 s[58:59], s[58:59], exec
	s_waitcnt lgkmcnt(0)
	v_cmp_ge_u64_e32 vcc, v[0:1], v[2:3]
	s_orn2_b64 vcc, vcc, exec
	s_branch .LBB4_2750
.LBB4_2755:                             ;   in Loop: Header=BB4_2718 Depth=1
	s_or_b64 exec, exec, s[54:55]
	s_and_saveexec_b64 vcc, s[56:57]
	s_xor_b64 vcc, exec, vcc
	s_cbranch_execz .LBB4_2757
; %bb.2756:                             ;   in Loop: Header=BB4_2718 Depth=1
	v_mov_b32_e32 v0, 1
	ds_write_b32 v0, v0
	s_trap 2
.LBB4_2757:                             ;   in Loop: Header=BB4_2718 Depth=1
	s_or_b64 exec, exec, s[52:53]
	;;#ASMSTART
	s_wakeup
	;;#ASMEND
.LBB4_2758:                             ;   in Loop: Header=BB4_2718 Depth=1
	s_or_b64 exec, exec, s[50:51]
.LBB4_2759:                             ;   in Loop: Header=BB4_2718 Depth=1
	s_andn2_saveexec_b64 s[20:21], s[20:21]
	s_cbranch_execz .LBB4_2761
; %bb.2760:                             ;   in Loop: Header=BB4_2718 Depth=1
	s_waitcnt vmcnt(0) lgkmcnt(0)
	buffer_wbinvl1_vol
	s_barrier
.LBB4_2761:                             ;   in Loop: Header=BB4_2718 Depth=1
	s_or_b64 exec, exec, s[20:21]
.LBB4_2762:                             ;   in Loop: Header=BB4_2718 Depth=1
	s_or_b64 exec, exec, s[18:19]
	s_trap 2
	ds_read_b32 v0, v0
	v_and_b32_e32 v1, 0x4000, v59
	v_cmp_ne_u32_e32 vcc, 0, v1
	s_and_b64 s[20:21], s[36:37], vcc
	s_and_saveexec_b64 s[18:19], s[20:21]
	s_cbranch_execz .LBB4_2781
; %bb.2763:                             ;   in Loop: Header=BB4_2718 Depth=1
	s_and_saveexec_b64 s[20:21], s[30:31]
	s_xor_b64 s[20:21], exec, s[20:21]
	s_cbranch_execz .LBB4_2778
; %bb.2764:                             ;   in Loop: Header=BB4_2718 Depth=1
	s_and_saveexec_b64 s[50:51], s[12:13]
	s_cbranch_execz .LBB4_2777
; %bb.2765:                             ;   in Loop: Header=BB4_2718 Depth=1
	s_mov_b64 s[54:55], exec
	v_mbcnt_lo_u32_b32 v1, s54, 0
	v_mbcnt_hi_u32_b32 v1, s55, v1
	v_cmp_eq_u32_e32 vcc, 0, v1
	s_waitcnt vmcnt(0) lgkmcnt(0)
	buffer_wbinvl1_vol
	s_and_saveexec_b64 s[52:53], vcc
	s_cbranch_execz .LBB4_2767
; %bb.2766:                             ;   in Loop: Header=BB4_2718 Depth=1
	s_bcnt1_i32_b64 vcc_lo, s[54:55]
	v_mov_b32_e32 v36, vcc_lo
	ds_add_u64 v0, v[36:37]
	s_trap 2
.LBB4_2767:                             ;   in Loop: Header=BB4_2718 Depth=1
	s_or_b64 exec, exec, s[52:53]
	s_trap 2
	ds_read_b64 v[2:3], v0
	v_accvgpr_read_b32 v4, a22
	v_accvgpr_read_b32 v5, a23
	v_add_co_u32_e32 v4, vcc, v4, v50
	v_addc_co_u32_e32 v5, vcc, 0, v5, vcc
	v_accvgpr_write_b32 a23, v5
	v_accvgpr_write_b32 a22, v4
	s_waitcnt lgkmcnt(0)
	v_cmp_lt_u64_e32 vcc, v[2:3], v[4:5]
	s_and_saveexec_b64 s[52:53], vcc
	s_cbranch_execz .LBB4_2776
; %bb.2768:                             ;   in Loop: Header=BB4_2718 Depth=1
	s_mov_b32 s64, 0
	s_mov_b64 s[54:55], 0
                                        ; implicit-def: $sgpr56_sgpr57
                                        ; implicit-def: $sgpr58_sgpr59
	s_branch .LBB4_2770
.LBB4_2769:                             ;   in Loop: Header=BB4_2770 Depth=2
	s_or_b64 exec, exec, s[62:63]
	s_and_b64 vcc, exec, vcc
	s_or_b64 s[54:55], vcc, s[54:55]
	s_andn2_b64 vcc, s[56:57], exec
	s_and_b64 s[56:57], s[58:59], exec
	s_or_b64 s[56:57], vcc, s[56:57]
	s_andn2_b64 exec, exec, s[54:55]
	s_cbranch_execz .LBB4_2774
.LBB4_2770:                             ;   Parent Loop BB4_2718 Depth=1
                                        ; =>  This Inner Loop Header: Depth=2
	s_add_i32 s64, s64, 1
	s_cmpk_lg_i32 s64, 0x2710
	s_cselect_b64 s[60:61], -1, 0
	s_and_b64 vcc, exec, s[60:61]
                                        ; implicit-def: $sgpr62_sgpr63
	s_cbranch_vccnz .LBB4_2772
; %bb.2771:                             ;   in Loop: Header=BB4_2770 Depth=2
	s_trap 2
	ds_read_b64 v[2:3], v0
	s_andn2_b64 s[60:61], s[60:61], exec
	s_mov_b32 s64, 0
	s_mov_b64 s[62:63], -1
	s_waitcnt lgkmcnt(0)
	flat_load_dword v1, v[2:3] glc
	s_waitcnt vmcnt(0) lgkmcnt(0)
	buffer_invl2
	buffer_wbinvl1_vol
	v_cmp_eq_u32_e32 vcc, 0, v1
	s_and_b64 vcc, vcc, exec
	s_or_b64 s[60:61], s[60:61], vcc
.LBB4_2772:                             ;   in Loop: Header=BB4_2770 Depth=2
	s_andn2_b64 s[58:59], s[58:59], exec
	s_and_b64 s[62:63], s[62:63], exec
	s_mov_b64 vcc, -1
	s_or_b64 s[58:59], s[58:59], s[62:63]
	s_and_saveexec_b64 s[62:63], s[60:61]
	s_cbranch_execz .LBB4_2769
; %bb.2773:                             ;   in Loop: Header=BB4_2770 Depth=2
	s_sleep 1
	s_trap 2
	ds_read_b64 v[2:3], v0
	v_accvgpr_read_b32 v4, a22
	v_accvgpr_read_b32 v5, a23
	s_andn2_b64 s[58:59], s[58:59], exec
	s_waitcnt lgkmcnt(0)
	v_cmp_ge_u64_e32 vcc, v[2:3], v[4:5]
	s_orn2_b64 vcc, vcc, exec
	s_branch .LBB4_2769
.LBB4_2774:                             ;   in Loop: Header=BB4_2718 Depth=1
	s_or_b64 exec, exec, s[54:55]
	s_and_saveexec_b64 vcc, s[56:57]
	s_xor_b64 vcc, exec, vcc
	s_cbranch_execz .LBB4_2776
; %bb.2775:                             ;   in Loop: Header=BB4_2718 Depth=1
	v_mov_b32_e32 v1, 1
	ds_write_b32 v0, v1
	s_trap 2
.LBB4_2776:                             ;   in Loop: Header=BB4_2718 Depth=1
	s_or_b64 exec, exec, s[52:53]
	;;#ASMSTART
	s_wakeup
	;;#ASMEND
.LBB4_2777:                             ;   in Loop: Header=BB4_2718 Depth=1
	s_or_b64 exec, exec, s[50:51]
.LBB4_2778:                             ;   in Loop: Header=BB4_2718 Depth=1
	s_andn2_saveexec_b64 s[20:21], s[20:21]
	s_cbranch_execz .LBB4_2780
; %bb.2779:                             ;   in Loop: Header=BB4_2718 Depth=1
	s_waitcnt vmcnt(0) lgkmcnt(0)
	buffer_wbinvl1_vol
	s_barrier
.LBB4_2780:                             ;   in Loop: Header=BB4_2718 Depth=1
	s_or_b64 exec, exec, s[20:21]
.LBB4_2781:                             ;   in Loop: Header=BB4_2718 Depth=1
	s_or_b64 exec, exec, s[18:19]
	s_trap 2
	s_waitcnt lgkmcnt(0)
	ds_read_b64 v[2:3], v0
	v_min_u32_e32 v53, v53, v40
	s_waitcnt lgkmcnt(0)
	v_readfirstlane_b32 s18, v2
	v_readfirstlane_b32 s19, v3
	s_cmp_eq_u64 s[18:19], 0
	s_cselect_b64 s[18:19], -1, 0
	s_or_b64 s[20:21], s[18:19], s[18:19]
	s_mov_b64 s[18:19], 0
	s_and_b64 vcc, exec, s[20:21]
	s_cbranch_vccnz .LBB4_5302
; %bb.2782:                             ;   in Loop: Header=BB4_2718 Depth=1
	s_mov_b64 s[20:21], -1
	s_and_saveexec_b64 s[18:19], s[14:15]
	s_cbranch_execz .LBB4_2784
; %bb.2783:                             ;   in Loop: Header=BB4_2718 Depth=1
	ds_read_b32 v1, v0 offset:720
	s_waitcnt lgkmcnt(0)
	v_and_b32_e32 v1, 15, v1
	v_cmp_eq_u32_e32 vcc, 0, v1
	s_orn2_b64 s[20:21], vcc, exec
.LBB4_2784:                             ;   in Loop: Header=BB4_2718 Depth=1
	s_or_b64 exec, exec, s[18:19]
	s_and_saveexec_b64 s[18:19], s[16:17]
	s_cbranch_execz .LBB4_2786
; %bb.2785:                             ;   in Loop: Header=BB4_2718 Depth=1
	ds_read_b32 v1, v0 offset:784
	s_waitcnt lgkmcnt(0)
	v_and_b32_e32 v1, 15, v1
	v_cmp_eq_u32_e32 vcc, 0, v1
	s_and_b64 vcc, s[20:21], vcc
	s_andn2_b64 s[20:21], s[20:21], exec
	s_and_b64 vcc, vcc, exec
	s_or_b64 s[20:21], s[20:21], vcc
.LBB4_2786:                             ;   in Loop: Header=BB4_2718 Depth=1
	s_or_b64 exec, exec, s[18:19]
	v_cmp_eq_u32_e32 vcc, 0, v0
	s_xor_b64 s[20:21], s[20:21], -1
	v_cndmask_b32_e32 v41, 0, v53, vcc
	v_cndmask_b32_e64 v0, 0, 1, s[20:21]
	v_mov_b32_e32 v4, 0
	s_mov_b64 s[18:19], -1
	;;#ASMSTART
	;;#ASMEND
	v_cmp_ne_u32_e32 vcc, 0, v0
	v_mov_b32_e32 v5, v41
	v_accvgpr_read_b32 v6, a3
	v_mov_b32_e32 v2, v51
	s_cbranch_vccz .LBB4_2788
; %bb.2787:                             ;   in Loop: Header=BB4_2718 Depth=1
	s_and_saveexec_b64 s[20:21], s[18:19]
	s_cbranch_execnz .LBB4_4833
	s_branch .LBB4_5301
.LBB4_2788:                             ;   in Loop: Header=BB4_2718 Depth=1
	v_lshrrev_b32_e32 v0, 11, v41
	v_accvgpr_write_b32 a39, v53
	v_sub_u32_e32 v53, v0, v51
	v_accvgpr_write_b32 a32, v52
	v_accvgpr_write_b32 a26, v50
	v_cmp_lt_i32_e32 vcc, 0, v53
	s_and_saveexec_b64 s[20:21], vcc
	s_cbranch_execz .LBB4_4144
; %bb.2789:                             ;   in Loop: Header=BB4_2718 Depth=1
	s_trap 2
	ds_read_b128 v[0:3], v0
	v_accvgpr_read_b32 v4, a28
	v_accvgpr_write_b32 a42, v40
	v_accvgpr_read_b32 v5, a29
	v_accvgpr_write_b32 a43, v41
	s_waitcnt lgkmcnt(0)
	ds_read_b64 v[6:7], v0
	v_add_co_u32_e32 v40, vcc, v0, v4
	v_addc_co_u32_e32 v41, vcc, v1, v5, vcc
	v_add_co_u32_e32 v42, vcc, v2, v4
	s_waitcnt lgkmcnt(0)
	v_readfirstlane_b32 s18, v6
	v_addc_co_u32_e32 v43, vcc, v3, v5, vcc
	s_and_b32 s19, s18, 7
	v_add_co_u32_e32 v44, vcc, v6, v4
	s_flbit_i32_b32 s19, s19
	v_addc_co_u32_e32 v45, vcc, v7, v5, vcc
	s_min_u32 s19, s19, 32
	s_and_b32 vcc_lo, s18, 0x7f
	s_bfe_u32 vcc_hi, s18, 0x40003
	s_sub_i32 s50, s19, 28
	s_sub_i32 s19, 29, s19
	s_cmp_lt_u32 vcc_lo, 8
	s_cselect_b32 s19, s19, vcc_hi
	s_cselect_b32 vcc_hi, s50, 0
	s_lshl_b32 s18, s18, 24
	s_lshl_b32 s19, s19, 23
	v_lshlrev_b64 v[0:1], vcc_hi, v[6:7]
	s_and_b32 s18, s18, 0x80000000
	s_add_i32 s19, s19, 0x3c000000
	v_lshlrev_b32_e32 v0, 20, v0
	s_or_b32 s18, s18, s19
	v_and_b32_e32 v0, 0x700000, v0
	s_cmpk_lg_i32 vcc_lo, 0x7f
	v_or_b32_e32 v0, s18, v0
	s_cselect_b64 vcc, -1, 0
	v_mov_b32_e32 v1, 0x7f800001
	v_accvgpr_write_b32 a40, v60
	v_cndmask_b32_e32 v0, v1, v0, vcc
	v_accvgpr_write_b32 a41, v61
	v_accvgpr_write_b32 a37, v47
	;; [unrolled: 1-line block ×8, first 2 shown]
	s_mov_b64 s[50:51], 0
	s_branch .LBB4_2791
.LBB4_2790:                             ;   in Loop: Header=BB4_2791 Depth=2
	s_or_b64 exec, exec, s[18:19]
	buffer_load_dword v12, off, s[0:3], s33 offset:128 ; 4-byte Folded Reload
	v_lshlrev_b32_e32 v3, 8, v24
	v_perm_b32 v3, v3, v61, s73
	v_lshl_or_b32 v3, v38, 16, v3
	v_lshl_or_b32 v47, v6, 24, v3
	v_and_b32_e32 v3, 0xff, v27
	v_lshlrev_b32_e32 v1, 8, v1
	v_lshlrev_b32_e32 v6, 24, v60
	v_lshlrev_b32_e32 v3, 16, v3
	v_lshlrev_b32_e32 v0, 24, v0
	s_waitcnt vmcnt(0)
	v_perm_b32 v1, v1, v12, s73
	v_or3_b32 v46, v6, v3, v1
	v_and_b32_e32 v1, 0xff, v8
	v_lshlrev_b32_e32 v3, 24, v4
	v_lshlrev_b32_e32 v4, 8, v7
	v_lshlrev_b32_e32 v1, 16, v1
	v_perm_b32 v4, v4, v5, s73
	v_or3_b32 v48, v3, v1, v4
	v_lshlrev_b32_e32 v1, 8, v15
	v_perm_b32 v1, v1, v9, s73
	v_lshl_or_b32 v1, v18, 16, v1
	v_lshl_or_b32 v49, v16, 24, v1
	v_lshlrev_b32_e32 v1, 8, v14
	v_perm_b32 v1, v1, v21, s73
	v_lshl_or_b32 v1, v30, 16, v1
	v_lshl_or_b32 v5, v11, 24, v1
	v_and_b32_e32 v1, 0xff, v22
	v_lshlrev_b32_e32 v4, 8, v20
	v_lshlrev_b32_e32 v3, 24, v23
	;; [unrolled: 1-line block ×3, first 2 shown]
	v_perm_b32 v4, v4, v17, s73
	v_or3_b32 v4, v3, v1, v4
	v_and_b32_e32 v1, 0xff, v33
	v_lshlrev_b32_e32 v3, 8, v32
	v_lshlrev_b32_e32 v1, 16, v1
	v_perm_b32 v3, v3, v31, s73
	v_or3_b32 v6, v0, v1, v3
	v_lshlrev_b32_e32 v0, 8, v10
	v_perm_b32 v0, v0, v19, s73
	v_lshl_or_b32 v0, v26, 16, v0
	v_accvgpr_read_b32 v1, a30
	v_lshl_or_b32 v7, v2, 24, v0
	v_add_co_u32_e32 v40, vcc, v40, v1
	v_accvgpr_read_b32 v2, a31
	v_addc_co_u32_e32 v41, vcc, v41, v2, vcc
	v_add_co_u32_e32 v42, vcc, v42, v1
	v_accvgpr_read_b32 v0, a26
	v_addc_co_u32_e32 v43, vcc, v43, v2, vcc
	v_sub_u32_e32 v53, v53, v0
	v_cmp_gt_i32_e32 vcc, 1, v53
	global_store_dwordx4 v[44:45], v[46:49], off glc slc
	global_store_dwordx4 v[44:45], v[4:7], off offset:1024 glc slc
	s_or_b64 s[50:51], vcc, s[50:51]
	v_add_co_u32_e32 v44, vcc, v44, v1
	v_addc_co_u32_e32 v45, vcc, v45, v2, vcc
	s_andn2_b64 exec, exec, s[50:51]
	s_cbranch_execz .LBB4_4143
.LBB4_2791:                             ;   Parent Loop BB4_2718 Depth=1
                                        ; =>  This Inner Loop Header: Depth=2
	v_accvgpr_read_b32 v0, a44
	v_cmp_lt_i16_sdwa s[18:19], v0, s71 src0_sel:BYTE_0 src1_sel:DWORD
	s_and_b64 vcc, exec, s[18:19]
	s_cbranch_vccnz .LBB4_2795
; %bb.2792:                             ;   in Loop: Header=BB4_2791 Depth=2
	v_cmp_eq_u16_sdwa vcc, v0, s71 src0_sel:BYTE_0 src1_sel:DWORD
	s_mov_b64 s[18:19], -1
	s_and_b64 vcc, exec, vcc
                                        ; implicit-def: $sgpr52
	s_cbranch_vccz .LBB4_2794
; %bb.2793:                             ;   in Loop: Header=BB4_2791 Depth=2
	s_mov_b64 s[18:19], 0
	s_brev_b32 s52, 1
.LBB4_2794:                             ;   in Loop: Header=BB4_2791 Depth=2
	s_branch .LBB4_2797
.LBB4_2795:                             ;   in Loop: Header=BB4_2791 Depth=2
	s_mov_b64 s[18:19], 0
                                        ; implicit-def: $sgpr52
	s_cbranch_execz .LBB4_2797
; %bb.2796:                             ;   in Loop: Header=BB4_2791 Depth=2
	v_cmp_ne_u16_sdwa s[18:19], v0, v37 src0_sel:BYTE_0 src1_sel:DWORD
	s_mov_b32 s52, 0
.LBB4_2797:                             ;   in Loop: Header=BB4_2791 Depth=2
	s_andn2_b64 vcc, exec, s[18:19]
	v_mov_b32_e32 v7, s52
	s_cbranch_vccnz .LBB4_2799
; %bb.2798:                             ;   in Loop: Header=BB4_2791 Depth=2
	v_accvgpr_read_b32 v7, a45
.LBB4_2799:                             ;   in Loop: Header=BB4_2791 Depth=2
	global_load_dwordx4 v[10:13], v[40:41], off glc slc
	v_mov_b32_e32 v0, 0
	s_waitcnt vmcnt(0)
	v_cmp_ne_u16_sdwa vcc, v10, v37 src0_sel:BYTE_0 src1_sel:DWORD
	s_and_saveexec_b64 s[18:19], vcc
	s_cbranch_execz .LBB4_2805
; %bb.2800:                             ;   in Loop: Header=BB4_2791 Depth=2
	v_cmp_ne_u16_sdwa vcc, v10, s71 src0_sel:BYTE_0 src1_sel:DWORD
	v_bfrev_b32_e32 v0, 1
	s_and_saveexec_b64 s[52:53], vcc
	s_cbranch_execz .LBB4_2804
; %bb.2801:                             ;   in Loop: Header=BB4_2791 Depth=2
	v_and_b32_e32 v1, 0x7f, v10
	v_cmp_ne_u32_e32 vcc, s69, v1
	v_mov_b32_e32 v0, 0x7f800001
	s_and_saveexec_b64 s[54:55], vcc
	s_cbranch_execz .LBB4_2803
; %bb.2802:                             ;   in Loop: Header=BB4_2791 Depth=2
	v_and_b32_e32 v0, 7, v10
	v_ffbh_u32_e32 v0, v0
	v_min_u32_e32 v0, 32, v0
	v_lshrrev_b32_e32 v2, 3, v1
	v_subrev_u32_e32 v3, 28, v0
	v_sub_u32_e32 v0, 29, v0
	v_cmp_gt_u32_e32 vcc, 8, v1
	v_cndmask_b32_e32 v2, v2, v0, vcc
	v_cndmask_b32_e32 v0, 0, v3, vcc
	v_lshlrev_b64 v[0:1], v0, v[10:11]
	v_lshlrev_b32_e32 v0, 20, v0
	v_lshlrev_b32_e32 v1, 24, v10
	v_and_b32_e32 v0, 0x700000, v0
	v_and_b32_e32 v1, 0x80000000, v1
	v_lshl_add_u32 v2, v2, 23, v55
	v_or3_b32 v0, v1, v2, v0
.LBB4_2803:                             ;   in Loop: Header=BB4_2791 Depth=2
	s_or_b64 exec, exec, s[54:55]
.LBB4_2804:                             ;   in Loop: Header=BB4_2791 Depth=2
	s_or_b64 exec, exec, s[52:53]
.LBB4_2805:                             ;   in Loop: Header=BB4_2791 Depth=2
	s_or_b64 exec, exec, s[18:19]
	v_mul_f32_e32 v2, v7, v0
	v_and_b32_sdwa v0, v2, s71 dst_sel:DWORD dst_unused:UNUSED_PAD src0_sel:BYTE_3 src1_sel:DWORD
	v_and_b32_e32 v4, 0x7f800000, v2
	v_mov_b32_e32 v5, v37
	v_and_b32_e32 v36, 0x7fffff, v2
	v_or_b32_e32 v1, 0x7e, v0
	v_cmp_ne_u64_e32 vcc, s[38:39], v[4:5]
	s_and_saveexec_b64 s[18:19], vcc
	s_xor_b64 s[52:53], exec, s[18:19]
	s_cbranch_execz .LBB4_2815
; %bb.2806:                             ;   in Loop: Header=BB4_2791 Depth=2
	v_and_b32_e32 v4, 0x7fffffff, v2
	v_mov_b32_e32 v5, v37
	v_cmp_gt_u64_e32 vcc, s[40:41], v[4:5]
	s_and_saveexec_b64 s[54:55], vcc
	s_cbranch_execz .LBB4_2814
; %bb.2807:                             ;   in Loop: Header=BB4_2791 Depth=2
	v_cmp_ne_u32_e32 vcc, 0, v2
	v_mov_b32_e32 v1, 0
	s_and_saveexec_b64 s[56:57], vcc
	s_cbranch_execz .LBB4_2813
; %bb.2808:                             ;   in Loop: Header=BB4_2791 Depth=2
	v_bfe_u32 v1, v2, 23, 8
	v_sub_u32_e32 v3, 0x79, v1
	v_cmp_gt_u32_e32 vcc, s72, v1
	v_add_u32_e32 v2, 0xffffff81, v1
	v_cndmask_b32_e32 v3, 0, v3, vcc
	v_cmp_eq_u32_e32 vcc, 0, v1
	v_mov_b32_e32 v1, 0xffffff82
	v_cndmask_b32_e32 v1, v2, v1, vcc
	v_mov_b32_e32 v2, 0x78
	v_or_b32_e32 v4, 0x800000, v36
	v_cndmask_b32_e32 v5, v3, v2, vcc
	v_cndmask_b32_e32 v36, v4, v36, vcc
	v_add_u32_e32 v2, 20, v5
	v_lshlrev_b64 v[2:3], v2, -1
	v_add_u32_e32 v4, 19, v5
	v_lshrrev_b64 v[14:15], v5, v[36:37]
	v_not_b32_e32 v3, v3
	v_not_b32_e32 v2, v2
	v_lshlrev_b64 v[8:9], v4, 1
	v_lshrrev_b32_e32 v4, 23, v14
	v_and_b32_e32 v3, 0, v3
	v_and_b32_e32 v2, v36, v2
	v_add3_u32 v5, v5, v1, v4
	v_bfe_u32 v1, v14, 20, 1
	v_add_u32_e32 v1, -1, v1
	v_cmp_eq_u64_e32 vcc, v[2:3], v[8:9]
	v_cndmask_b32_e32 v1, 0, v1, vcc
	v_add_u32_e32 v1, v1, v14
	v_and_b32_e32 v1, 0xfffff, v1
	v_add_co_u32_e32 v2, vcc, v1, v14
	v_add_u32_e32 v4, 6, v5
	v_addc_co_u32_e32 v3, vcc, 0, v15, vcc
	v_cmp_ne_u32_e32 vcc, 0, v4
                                        ; implicit-def: $vgpr1
	s_and_saveexec_b64 s[18:19], vcc
	s_xor_b64 s[18:19], exec, s[18:19]
; %bb.2809:                             ;   in Loop: Header=BB4_2791 Depth=2
	v_add_u32_e32 v1, 7, v5
	v_cmp_lt_u64_e32 vcc, s[44:45], v[2:3]
	v_cndmask_b32_e32 v1, v4, v1, vcc
	v_cndmask_b32_e64 v4, 0, 1, vcc
	v_lshrrev_b64 v[2:3], v4, v[2:3]
; %bb.2810:                             ;   in Loop: Header=BB4_2791 Depth=2
	s_andn2_saveexec_b64 s[18:19], s[18:19]
; %bb.2811:                             ;   in Loop: Header=BB4_2791 Depth=2
	v_bfe_u32 v1, v2, 23, 1
; %bb.2812:                             ;   in Loop: Header=BB4_2791 Depth=2
	s_or_b64 exec, exec, s[18:19]
	v_lshrrev_b64 v[2:3], 20, v[2:3]
	v_cmp_gt_i32_e32 vcc, 16, v1
	v_cndmask_b32_e32 v3, 0, v3, vcc
	v_cndmask_b32_e32 v2, 7, v2, vcc
	v_cmp_eq_u32_e32 vcc, 0, v1
	v_min_i32_e32 v1, 15, v1
	v_cmp_eq_u64_e64 s[18:19], 0, v[2:3]
	v_lshlrev_b32_e32 v1, 3, v1
	v_and_or_b32 v1, v2, 7, v1
	s_and_b64 s[18:19], vcc, s[18:19]
	v_cndmask_b32_e64 v1, v1, 0, s[18:19]
	v_or_b32_e32 v1, v1, v0
.LBB4_2813:                             ;   in Loop: Header=BB4_2791 Depth=2
	s_or_b64 exec, exec, s[56:57]
.LBB4_2814:                             ;   in Loop: Header=BB4_2791 Depth=2
	s_or_b64 exec, exec, s[54:55]
                                        ; implicit-def: $vgpr2
.LBB4_2815:                             ;   in Loop: Header=BB4_2791 Depth=2
	s_andn2_saveexec_b64 s[18:19], s[52:53]
; %bb.2816:                             ;   in Loop: Header=BB4_2791 Depth=2
	v_or_b32_sdwa v0, v2, s69 dst_sel:DWORD dst_unused:UNUSED_PAD src0_sel:BYTE_3 src1_sel:DWORD
	v_cmp_eq_u64_e32 vcc, 0, v[36:37]
	v_cndmask_b32_e32 v1, v0, v1, vcc
; %bb.2817:                             ;   in Loop: Header=BB4_2791 Depth=2
	s_or_b64 exec, exec, s[18:19]
	v_lshrrev_b16_e32 v2, 8, v10
	v_cmp_ne_u16_e32 vcc, 0, v2
	v_mov_b32_e32 v0, 0
	s_and_saveexec_b64 s[18:19], vcc
	s_cbranch_execz .LBB4_2823
; %bb.2818:                             ;   in Loop: Header=BB4_2791 Depth=2
	v_cmp_ne_u16_e32 vcc, s71, v2
	v_bfrev_b32_e32 v0, 1
	s_and_saveexec_b64 s[52:53], vcc
	s_cbranch_execz .LBB4_2822
; %bb.2819:                             ;   in Loop: Header=BB4_2791 Depth=2
	v_and_b32_e32 v3, 0x7f, v2
	v_cmp_ne_u32_e32 vcc, s69, v3
	v_mov_b32_e32 v0, 0x7f800001
	s_and_saveexec_b64 s[54:55], vcc
	s_cbranch_execz .LBB4_2821
; %bb.2820:                             ;   in Loop: Header=BB4_2791 Depth=2
	v_and_b32_e32 v0, 7, v2
	v_ffbh_u32_e32 v4, v0
	v_min_u32_e32 v8, 32, v4
	v_subrev_u32_e32 v4, 28, v8
	v_lshlrev_b64 v[4:5], v4, v[2:3]
	v_lshrrev_b32_e32 v6, 3, v3
	v_sub_u32_e32 v2, 29, v8
	v_and_b32_e32 v4, 7, v4
	v_cmp_gt_u32_e32 vcc, 8, v3
	v_cndmask_b32_e32 v2, v6, v2, vcc
	v_cndmask_b32_e32 v0, v0, v4, vcc
	v_lshlrev_b32_e32 v3, 16, v10
	v_lshlrev_b32_e32 v0, 20, v0
	v_and_b32_e32 v3, 0x80000000, v3
	v_lshl_add_u32 v2, v2, 23, v55
	v_or3_b32 v0, v3, v2, v0
.LBB4_2821:                             ;   in Loop: Header=BB4_2791 Depth=2
	s_or_b64 exec, exec, s[54:55]
.LBB4_2822:                             ;   in Loop: Header=BB4_2791 Depth=2
	s_or_b64 exec, exec, s[52:53]
.LBB4_2823:                             ;   in Loop: Header=BB4_2791 Depth=2
	s_or_b64 exec, exec, s[18:19]
	v_mul_f32_e32 v2, v7, v0
	v_and_b32_sdwa v0, v2, s71 dst_sel:DWORD dst_unused:UNUSED_PAD src0_sel:BYTE_3 src1_sel:DWORD
	v_and_b32_e32 v4, 0x7f800000, v2
	v_mov_b32_e32 v5, v37
	v_and_b32_e32 v36, 0x7fffff, v2
	v_or_b32_e32 v9, 0x7e, v0
	v_cmp_ne_u64_e32 vcc, s[38:39], v[4:5]
	s_and_saveexec_b64 s[18:19], vcc
	s_xor_b64 s[52:53], exec, s[18:19]
	s_cbranch_execz .LBB4_2833
; %bb.2824:                             ;   in Loop: Header=BB4_2791 Depth=2
	v_and_b32_e32 v4, 0x7fffffff, v2
	v_mov_b32_e32 v5, v37
	v_cmp_gt_u64_e32 vcc, s[40:41], v[4:5]
	s_and_saveexec_b64 s[54:55], vcc
	s_cbranch_execz .LBB4_2832
; %bb.2825:                             ;   in Loop: Header=BB4_2791 Depth=2
	v_cmp_ne_u32_e32 vcc, 0, v2
	v_mov_b32_e32 v9, 0
	s_and_saveexec_b64 s[56:57], vcc
	s_cbranch_execz .LBB4_2831
; %bb.2826:                             ;   in Loop: Header=BB4_2791 Depth=2
	v_bfe_u32 v2, v2, 23, 8
	v_sub_u32_e32 v4, 0x79, v2
	v_cmp_gt_u32_e32 vcc, s72, v2
	v_add_u32_e32 v3, 0xffffff81, v2
	v_cndmask_b32_e32 v4, 0, v4, vcc
	v_cmp_eq_u32_e32 vcc, 0, v2
	v_mov_b32_e32 v2, 0xffffff82
	v_cndmask_b32_e32 v6, v3, v2, vcc
	v_mov_b32_e32 v2, 0x78
	v_or_b32_e32 v5, 0x800000, v36
	v_cndmask_b32_e32 v4, v4, v2, vcc
	v_cndmask_b32_e32 v36, v5, v36, vcc
	v_add_u32_e32 v2, 20, v4
	v_lshlrev_b64 v[2:3], v2, -1
	v_add_u32_e32 v5, 19, v4
	v_lshrrev_b64 v[14:15], v4, v[36:37]
	v_not_b32_e32 v3, v3
	v_not_b32_e32 v2, v2
	v_lshlrev_b64 v[8:9], v5, 1
	v_lshrrev_b32_e32 v5, 23, v14
	v_and_b32_e32 v3, 0, v3
	v_and_b32_e32 v2, v36, v2
	v_add3_u32 v6, v4, v6, v5
	v_bfe_u32 v4, v14, 20, 1
	v_add_u32_e32 v4, -1, v4
	v_cmp_eq_u64_e32 vcc, v[2:3], v[8:9]
	v_cndmask_b32_e32 v2, 0, v4, vcc
	v_add_u32_e32 v2, v2, v14
	v_and_b32_e32 v2, 0xfffff, v2
	v_add_co_u32_e32 v2, vcc, v2, v14
	v_add_u32_e32 v5, 6, v6
	v_addc_co_u32_e32 v3, vcc, 0, v15, vcc
	v_cmp_ne_u32_e32 vcc, 0, v5
                                        ; implicit-def: $vgpr4
	s_and_saveexec_b64 s[18:19], vcc
	s_xor_b64 s[18:19], exec, s[18:19]
; %bb.2827:                             ;   in Loop: Header=BB4_2791 Depth=2
	v_add_u32_e32 v4, 7, v6
	v_cmp_lt_u64_e32 vcc, s[44:45], v[2:3]
	v_cndmask_b32_e32 v4, v5, v4, vcc
	v_cndmask_b32_e64 v5, 0, 1, vcc
	v_lshrrev_b64 v[2:3], v5, v[2:3]
; %bb.2828:                             ;   in Loop: Header=BB4_2791 Depth=2
	s_andn2_saveexec_b64 s[18:19], s[18:19]
; %bb.2829:                             ;   in Loop: Header=BB4_2791 Depth=2
	v_bfe_u32 v4, v2, 23, 1
; %bb.2830:                             ;   in Loop: Header=BB4_2791 Depth=2
	s_or_b64 exec, exec, s[18:19]
	v_lshrrev_b64 v[2:3], 20, v[2:3]
	v_cmp_gt_i32_e32 vcc, 16, v4
	v_cndmask_b32_e32 v3, 0, v3, vcc
	v_cndmask_b32_e32 v2, 7, v2, vcc
	v_cmp_eq_u64_e64 s[18:19], 0, v[2:3]
	v_min_i32_e32 v3, 15, v4
	v_cmp_eq_u32_e32 vcc, 0, v4
	v_lshlrev_b32_e32 v3, 3, v3
	v_and_or_b32 v2, v2, 7, v3
	s_and_b64 s[18:19], vcc, s[18:19]
	v_cndmask_b32_e64 v2, v2, 0, s[18:19]
	v_or_b32_e32 v9, v2, v0
.LBB4_2831:                             ;   in Loop: Header=BB4_2791 Depth=2
	s_or_b64 exec, exec, s[56:57]
.LBB4_2832:                             ;   in Loop: Header=BB4_2791 Depth=2
	s_or_b64 exec, exec, s[54:55]
                                        ; implicit-def: $vgpr2
.LBB4_2833:                             ;   in Loop: Header=BB4_2791 Depth=2
	s_andn2_saveexec_b64 s[18:19], s[52:53]
; %bb.2834:                             ;   in Loop: Header=BB4_2791 Depth=2
	v_or_b32_sdwa v0, v2, s69 dst_sel:DWORD dst_unused:UNUSED_PAD src0_sel:BYTE_3 src1_sel:DWORD
	v_cmp_eq_u64_e32 vcc, 0, v[36:37]
	v_cndmask_b32_e32 v9, v0, v9, vcc
; %bb.2835:                             ;   in Loop: Header=BB4_2791 Depth=2
	s_or_b64 exec, exec, s[18:19]
	v_lshrrev_b32_e32 v2, 16, v10
	v_cmp_ne_u16_sdwa vcc, v2, v37 src0_sel:BYTE_0 src1_sel:DWORD
	v_mov_b32_e32 v0, 0
	s_and_saveexec_b64 s[18:19], vcc
	s_cbranch_execz .LBB4_2841
; %bb.2836:                             ;   in Loop: Header=BB4_2791 Depth=2
	v_cmp_ne_u16_sdwa vcc, v2, s71 src0_sel:BYTE_0 src1_sel:DWORD
	v_bfrev_b32_e32 v0, 1
	s_and_saveexec_b64 s[52:53], vcc
	s_cbranch_execz .LBB4_2840
; %bb.2837:                             ;   in Loop: Header=BB4_2791 Depth=2
	v_bfe_u32 v3, v10, 16, 7
	v_cmp_ne_u32_e32 vcc, s69, v3
	v_mov_b32_e32 v0, 0x7f800001
	s_and_saveexec_b64 s[54:55], vcc
	s_cbranch_execz .LBB4_2839
; %bb.2838:                             ;   in Loop: Header=BB4_2791 Depth=2
	v_and_b32_e32 v0, 7, v2
	v_ffbh_u32_e32 v4, v0
	v_min_u32_e32 v8, 32, v4
	v_subrev_u32_e32 v4, 28, v8
	v_lshlrev_b64 v[4:5], v4, v[2:3]
	v_lshrrev_b32_e32 v6, 3, v3
	v_sub_u32_e32 v5, 29, v8
	v_and_b32_e32 v4, 7, v4
	v_cmp_gt_u32_e32 vcc, 8, v3
	v_cndmask_b32_e32 v3, v6, v5, vcc
	v_cndmask_b32_e32 v0, v0, v4, vcc
	v_lshlrev_b32_e32 v2, 24, v2
	v_lshlrev_b32_e32 v0, 20, v0
	v_and_b32_e32 v2, 0x80000000, v2
	v_lshl_add_u32 v3, v3, 23, v55
	v_or3_b32 v0, v2, v3, v0
.LBB4_2839:                             ;   in Loop: Header=BB4_2791 Depth=2
	s_or_b64 exec, exec, s[54:55]
.LBB4_2840:                             ;   in Loop: Header=BB4_2791 Depth=2
	s_or_b64 exec, exec, s[52:53]
.LBB4_2841:                             ;   in Loop: Header=BB4_2791 Depth=2
	s_or_b64 exec, exec, s[18:19]
	v_mul_f32_e32 v3, v7, v0
	v_and_b32_sdwa v0, v3, s71 dst_sel:DWORD dst_unused:UNUSED_PAD src0_sel:BYTE_3 src1_sel:DWORD
	v_and_b32_e32 v4, 0x7f800000, v3
	v_mov_b32_e32 v5, v37
	v_and_b32_e32 v36, 0x7fffff, v3
	v_or_b32_e32 v2, 0x7e, v0
	v_cmp_ne_u64_e32 vcc, s[38:39], v[4:5]
	s_and_saveexec_b64 s[18:19], vcc
	s_xor_b64 s[52:53], exec, s[18:19]
	s_cbranch_execz .LBB4_2851
; %bb.2842:                             ;   in Loop: Header=BB4_2791 Depth=2
	v_and_b32_e32 v4, 0x7fffffff, v3
	v_mov_b32_e32 v5, v37
	v_cmp_gt_u64_e32 vcc, s[40:41], v[4:5]
	s_and_saveexec_b64 s[54:55], vcc
	s_cbranch_execz .LBB4_2850
; %bb.2843:                             ;   in Loop: Header=BB4_2791 Depth=2
	v_cmp_ne_u32_e32 vcc, 0, v3
	v_mov_b32_e32 v2, 0
	s_and_saveexec_b64 s[56:57], vcc
	s_cbranch_execz .LBB4_2849
; %bb.2844:                             ;   in Loop: Header=BB4_2791 Depth=2
	v_bfe_u32 v2, v3, 23, 8
	v_sub_u32_e32 v4, 0x79, v2
	v_cmp_gt_u32_e32 vcc, s72, v2
	v_add_u32_e32 v3, 0xffffff81, v2
	v_cndmask_b32_e32 v4, 0, v4, vcc
	v_cmp_eq_u32_e32 vcc, 0, v2
	v_mov_b32_e32 v2, 0xffffff82
	v_cndmask_b32_e32 v6, v3, v2, vcc
	v_mov_b32_e32 v2, 0x78
	v_or_b32_e32 v5, 0x800000, v36
	v_cndmask_b32_e32 v4, v4, v2, vcc
	v_cndmask_b32_e32 v36, v5, v36, vcc
	v_add_u32_e32 v2, 20, v4
	v_lshlrev_b64 v[2:3], v2, -1
	v_add_u32_e32 v5, 19, v4
	v_lshrrev_b64 v[16:17], v4, v[36:37]
	v_not_b32_e32 v3, v3
	v_not_b32_e32 v2, v2
	v_lshlrev_b64 v[14:15], v5, 1
	v_lshrrev_b32_e32 v5, 23, v16
	v_and_b32_e32 v3, 0, v3
	v_and_b32_e32 v2, v36, v2
	v_add3_u32 v6, v4, v6, v5
	v_bfe_u32 v4, v16, 20, 1
	v_add_u32_e32 v4, -1, v4
	v_cmp_eq_u64_e32 vcc, v[2:3], v[14:15]
	v_cndmask_b32_e32 v2, 0, v4, vcc
	v_add_u32_e32 v2, v2, v16
	v_and_b32_e32 v2, 0xfffff, v2
	v_add_co_u32_e32 v2, vcc, v2, v16
	v_add_u32_e32 v5, 6, v6
	v_addc_co_u32_e32 v3, vcc, 0, v17, vcc
	v_cmp_ne_u32_e32 vcc, 0, v5
                                        ; implicit-def: $vgpr4
	s_and_saveexec_b64 s[18:19], vcc
	s_xor_b64 s[18:19], exec, s[18:19]
; %bb.2845:                             ;   in Loop: Header=BB4_2791 Depth=2
	v_add_u32_e32 v4, 7, v6
	v_cmp_lt_u64_e32 vcc, s[44:45], v[2:3]
	v_cndmask_b32_e32 v4, v5, v4, vcc
	v_cndmask_b32_e64 v5, 0, 1, vcc
	v_lshrrev_b64 v[2:3], v5, v[2:3]
; %bb.2846:                             ;   in Loop: Header=BB4_2791 Depth=2
	s_andn2_saveexec_b64 s[18:19], s[18:19]
; %bb.2847:                             ;   in Loop: Header=BB4_2791 Depth=2
	v_bfe_u32 v4, v2, 23, 1
; %bb.2848:                             ;   in Loop: Header=BB4_2791 Depth=2
	s_or_b64 exec, exec, s[18:19]
	v_lshrrev_b64 v[2:3], 20, v[2:3]
	v_cmp_gt_i32_e32 vcc, 16, v4
	v_cndmask_b32_e32 v3, 0, v3, vcc
	v_cndmask_b32_e32 v2, 7, v2, vcc
	v_cmp_eq_u64_e64 s[18:19], 0, v[2:3]
	v_min_i32_e32 v3, 15, v4
	v_cmp_eq_u32_e32 vcc, 0, v4
	v_lshlrev_b32_e32 v3, 3, v3
	v_and_or_b32 v2, v2, 7, v3
	s_and_b64 s[18:19], vcc, s[18:19]
	v_cndmask_b32_e64 v2, v2, 0, s[18:19]
	v_or_b32_e32 v2, v2, v0
.LBB4_2849:                             ;   in Loop: Header=BB4_2791 Depth=2
	s_or_b64 exec, exec, s[56:57]
.LBB4_2850:                             ;   in Loop: Header=BB4_2791 Depth=2
	s_or_b64 exec, exec, s[54:55]
                                        ; implicit-def: $vgpr3
.LBB4_2851:                             ;   in Loop: Header=BB4_2791 Depth=2
	s_andn2_saveexec_b64 s[18:19], s[52:53]
; %bb.2852:                             ;   in Loop: Header=BB4_2791 Depth=2
	v_or_b32_sdwa v0, v3, s69 dst_sel:DWORD dst_unused:UNUSED_PAD src0_sel:BYTE_3 src1_sel:DWORD
	v_cmp_eq_u64_e32 vcc, 0, v[36:37]
	v_cndmask_b32_e32 v2, v0, v2, vcc
; %bb.2853:                             ;   in Loop: Header=BB4_2791 Depth=2
	s_or_b64 exec, exec, s[18:19]
	v_cmp_lt_u32_e32 vcc, s43, v10
	v_mov_b32_e32 v0, 0
	s_and_saveexec_b64 s[18:19], vcc
	s_cbranch_execz .LBB4_2859
; %bb.2854:                             ;   in Loop: Header=BB4_2791 Depth=2
	v_lshrrev_b32_e32 v14, 24, v10
	v_cmp_ne_u32_e32 vcc, s71, v14
	v_bfrev_b32_e32 v0, 1
	s_and_saveexec_b64 s[52:53], vcc
	s_cbranch_execz .LBB4_2858
; %bb.2855:                             ;   in Loop: Header=BB4_2791 Depth=2
	v_bfe_u32 v3, v10, 24, 7
	v_cmp_ne_u32_e32 vcc, s69, v3
	v_mov_b32_e32 v0, 0x7f800001
	s_and_saveexec_b64 s[54:55], vcc
	s_cbranch_execz .LBB4_2857
; %bb.2856:                             ;   in Loop: Header=BB4_2791 Depth=2
	v_and_b32_e32 v0, 7, v14
	v_ffbh_u32_e32 v4, v0
	v_min_u32_e32 v8, 32, v4
	v_subrev_u32_e32 v4, 28, v8
	v_lshlrev_b64 v[4:5], v4, v[14:15]
	v_lshrrev_b32_e32 v6, 3, v3
	v_sub_u32_e32 v5, 29, v8
	v_and_b32_e32 v4, 7, v4
	v_cmp_gt_u32_e32 vcc, 8, v3
	v_cndmask_b32_e32 v3, v6, v5, vcc
	v_cndmask_b32_e32 v0, v0, v4, vcc
	v_lshlrev_b32_e32 v4, 24, v14
	v_lshlrev_b32_e32 v0, 20, v0
	v_and_b32_e32 v4, 0x80000000, v4
	v_lshl_add_u32 v3, v3, 23, v55
	v_or3_b32 v0, v4, v3, v0
.LBB4_2857:                             ;   in Loop: Header=BB4_2791 Depth=2
	s_or_b64 exec, exec, s[54:55]
.LBB4_2858:                             ;   in Loop: Header=BB4_2791 Depth=2
	s_or_b64 exec, exec, s[52:53]
.LBB4_2859:                             ;   in Loop: Header=BB4_2791 Depth=2
	s_or_b64 exec, exec, s[18:19]
	v_mul_f32_e32 v3, v7, v0
	v_and_b32_sdwa v0, v3, s71 dst_sel:DWORD dst_unused:UNUSED_PAD src0_sel:BYTE_3 src1_sel:DWORD
	v_and_b32_e32 v4, 0x7f800000, v3
	v_mov_b32_e32 v5, v37
	v_and_b32_e32 v36, 0x7fffff, v3
	v_or_b32_e32 v38, 0x7e, v0
	v_cmp_ne_u64_e32 vcc, s[38:39], v[4:5]
	s_and_saveexec_b64 s[18:19], vcc
	s_xor_b64 s[52:53], exec, s[18:19]
	s_cbranch_execz .LBB4_2869
; %bb.2860:                             ;   in Loop: Header=BB4_2791 Depth=2
	v_and_b32_e32 v4, 0x7fffffff, v3
	v_mov_b32_e32 v5, v37
	v_cmp_gt_u64_e32 vcc, s[40:41], v[4:5]
	s_and_saveexec_b64 s[54:55], vcc
	s_cbranch_execz .LBB4_2868
; %bb.2861:                             ;   in Loop: Header=BB4_2791 Depth=2
	v_cmp_ne_u32_e32 vcc, 0, v3
	v_mov_b32_e32 v38, 0
	s_and_saveexec_b64 s[56:57], vcc
	s_cbranch_execz .LBB4_2867
; %bb.2862:                             ;   in Loop: Header=BB4_2791 Depth=2
	v_bfe_u32 v3, v3, 23, 8
	v_sub_u32_e32 v5, 0x79, v3
	v_cmp_gt_u32_e32 vcc, s72, v3
	v_add_u32_e32 v4, 0xffffff81, v3
	v_cndmask_b32_e32 v5, 0, v5, vcc
	v_cmp_eq_u32_e32 vcc, 0, v3
	v_mov_b32_e32 v3, 0xffffff82
	v_cndmask_b32_e32 v3, v4, v3, vcc
	v_mov_b32_e32 v4, 0x78
	v_cndmask_b32_e32 v8, v5, v4, vcc
	v_add_u32_e32 v4, 20, v8
	v_or_b32_e32 v6, 0x800000, v36
	v_lshlrev_b64 v[4:5], v4, -1
	v_cndmask_b32_e32 v36, v6, v36, vcc
	v_not_b32_e32 v4, v4
	v_and_b32_e32 v14, v36, v4
	v_add_u32_e32 v4, 19, v8
	v_lshrrev_b64 v[18:19], v8, v[36:37]
	v_not_b32_e32 v5, v5
	v_lshlrev_b64 v[16:17], v4, 1
	v_lshrrev_b32_e32 v4, 23, v18
	v_and_b32_e32 v15, 0, v5
	v_add3_u32 v5, v8, v3, v4
	v_bfe_u32 v3, v18, 20, 1
	v_add_u32_e32 v3, -1, v3
	v_cmp_eq_u64_e32 vcc, v[14:15], v[16:17]
	v_cndmask_b32_e32 v3, 0, v3, vcc
	v_add_u32_e32 v3, v3, v18
	v_and_b32_e32 v3, 0xfffff, v3
	v_add_co_u32_e32 v14, vcc, v3, v18
	v_add_u32_e32 v4, 6, v5
	v_addc_co_u32_e32 v15, vcc, 0, v19, vcc
	v_cmp_ne_u32_e32 vcc, 0, v4
                                        ; implicit-def: $vgpr3
	s_and_saveexec_b64 s[18:19], vcc
	s_xor_b64 s[18:19], exec, s[18:19]
; %bb.2863:                             ;   in Loop: Header=BB4_2791 Depth=2
	v_add_u32_e32 v3, 7, v5
	v_cmp_lt_u64_e32 vcc, s[44:45], v[14:15]
	v_cndmask_b32_e32 v3, v4, v3, vcc
	v_cndmask_b32_e64 v4, 0, 1, vcc
	v_lshrrev_b64 v[14:15], v4, v[14:15]
; %bb.2864:                             ;   in Loop: Header=BB4_2791 Depth=2
	s_andn2_saveexec_b64 s[18:19], s[18:19]
; %bb.2865:                             ;   in Loop: Header=BB4_2791 Depth=2
	v_bfe_u32 v3, v14, 23, 1
; %bb.2866:                             ;   in Loop: Header=BB4_2791 Depth=2
	s_or_b64 exec, exec, s[18:19]
	v_lshrrev_b64 v[4:5], 20, v[14:15]
	v_cmp_gt_i32_e32 vcc, 16, v3
	v_cndmask_b32_e32 v5, 0, v5, vcc
	v_cndmask_b32_e32 v4, 7, v4, vcc
	v_cmp_eq_u32_e32 vcc, 0, v3
	v_min_i32_e32 v3, 15, v3
	v_cmp_eq_u64_e64 s[18:19], 0, v[4:5]
	v_lshlrev_b32_e32 v3, 3, v3
	v_and_or_b32 v3, v4, 7, v3
	s_and_b64 s[18:19], vcc, s[18:19]
	v_cndmask_b32_e64 v3, v3, 0, s[18:19]
	v_or_b32_e32 v38, v3, v0
.LBB4_2867:                             ;   in Loop: Header=BB4_2791 Depth=2
	s_or_b64 exec, exec, s[56:57]
.LBB4_2868:                             ;   in Loop: Header=BB4_2791 Depth=2
	s_or_b64 exec, exec, s[54:55]
                                        ; implicit-def: $vgpr3
.LBB4_2869:                             ;   in Loop: Header=BB4_2791 Depth=2
	s_andn2_saveexec_b64 s[18:19], s[52:53]
; %bb.2870:                             ;   in Loop: Header=BB4_2791 Depth=2
	v_or_b32_sdwa v0, v3, s69 dst_sel:DWORD dst_unused:UNUSED_PAD src0_sel:BYTE_3 src1_sel:DWORD
	v_cmp_eq_u64_e32 vcc, 0, v[36:37]
	v_cndmask_b32_e32 v38, v0, v38, vcc
; %bb.2871:                             ;   in Loop: Header=BB4_2791 Depth=2
	s_or_b64 exec, exec, s[18:19]
	v_mov_b32_e32 v36, v11
	v_cmp_ne_u16_sdwa vcc, v11, v37 src0_sel:BYTE_0 src1_sel:DWORD
	v_mov_b32_e32 v0, 0
	s_and_saveexec_b64 s[18:19], vcc
	s_cbranch_execz .LBB4_2877
; %bb.2872:                             ;   in Loop: Header=BB4_2791 Depth=2
	v_cmp_ne_u16_sdwa vcc, v11, s71 src0_sel:BYTE_0 src1_sel:DWORD
	v_bfrev_b32_e32 v0, 1
	s_and_saveexec_b64 s[52:53], vcc
	s_cbranch_execz .LBB4_2876
; %bb.2873:                             ;   in Loop: Header=BB4_2791 Depth=2
	v_and_b32_e32 v3, 0x7f, v11
	v_cmp_ne_u32_e32 vcc, s69, v3
	v_mov_b32_e32 v0, 0x7f800001
	s_and_saveexec_b64 s[54:55], vcc
	s_cbranch_execz .LBB4_2875
; %bb.2874:                             ;   in Loop: Header=BB4_2791 Depth=2
	v_and_b32_e32 v0, 7, v11
	v_ffbh_u32_e32 v0, v0
	v_min_u32_e32 v0, 32, v0
	v_subrev_u32_e32 v5, 28, v0
	v_cmp_gt_u32_e32 vcc, 8, v3
	v_lshrrev_b32_e32 v4, 3, v3
	v_sub_u32_e32 v0, 29, v0
	v_cndmask_b32_e32 v3, 0, v5, vcc
	v_cndmask_b32_e32 v0, v4, v0, vcc
	v_lshlrev_b64 v[4:5], v3, v[36:37]
	v_lshlrev_b32_e32 v3, 20, v4
	v_lshlrev_b32_e32 v4, 24, v36
	v_and_b32_e32 v3, 0x700000, v3
	v_and_b32_e32 v4, 0x80000000, v4
	v_lshl_add_u32 v0, v0, 23, v55
	v_or3_b32 v0, v4, v0, v3
.LBB4_2875:                             ;   in Loop: Header=BB4_2791 Depth=2
	s_or_b64 exec, exec, s[54:55]
.LBB4_2876:                             ;   in Loop: Header=BB4_2791 Depth=2
	s_or_b64 exec, exec, s[52:53]
.LBB4_2877:                             ;   in Loop: Header=BB4_2791 Depth=2
	s_or_b64 exec, exec, s[18:19]
	v_mul_f32_e32 v3, v7, v0
	v_and_b32_sdwa v0, v3, s71 dst_sel:DWORD dst_unused:UNUSED_PAD src0_sel:BYTE_3 src1_sel:DWORD
	v_and_b32_e32 v4, 0x7f800000, v3
	v_mov_b32_e32 v5, v37
	v_and_b32_e32 v14, 0x7fffff, v3
	v_mov_b32_e32 v15, v37
	v_or_b32_e32 v62, 0x7e, v0
	v_cmp_ne_u64_e32 vcc, s[38:39], v[4:5]
	s_and_saveexec_b64 s[18:19], vcc
	s_xor_b64 s[52:53], exec, s[18:19]
	s_cbranch_execz .LBB4_2887
; %bb.2878:                             ;   in Loop: Header=BB4_2791 Depth=2
	v_and_b32_e32 v4, 0x7fffffff, v3
	v_mov_b32_e32 v5, v37
	v_cmp_gt_u64_e32 vcc, s[40:41], v[4:5]
	s_and_saveexec_b64 s[54:55], vcc
	s_cbranch_execz .LBB4_2886
; %bb.2879:                             ;   in Loop: Header=BB4_2791 Depth=2
	v_cmp_ne_u32_e32 vcc, 0, v3
	v_mov_b32_e32 v62, 0
	s_and_saveexec_b64 s[56:57], vcc
	s_cbranch_execz .LBB4_2885
; %bb.2880:                             ;   in Loop: Header=BB4_2791 Depth=2
	v_bfe_u32 v3, v3, 23, 8
	v_sub_u32_e32 v5, 0x79, v3
	v_cmp_gt_u32_e32 vcc, s72, v3
	v_add_u32_e32 v4, 0xffffff81, v3
	v_cndmask_b32_e32 v5, 0, v5, vcc
	v_cmp_eq_u32_e32 vcc, 0, v3
	v_mov_b32_e32 v3, 0xffffff82
	v_cndmask_b32_e32 v3, v4, v3, vcc
	v_mov_b32_e32 v4, 0x78
	v_cndmask_b32_e32 v8, v5, v4, vcc
	v_add_u32_e32 v4, 20, v8
	v_or_b32_e32 v6, 0x800000, v14
	v_lshlrev_b64 v[4:5], v4, -1
	v_cndmask_b32_e32 v14, v6, v14, vcc
	v_not_b32_e32 v4, v4
	v_and_b32_e32 v16, v14, v4
	v_add_u32_e32 v4, 19, v8
	v_lshrrev_b64 v[14:15], v8, v[14:15]
	v_not_b32_e32 v5, v5
	v_lshlrev_b64 v[18:19], v4, 1
	v_lshrrev_b32_e32 v4, 23, v14
	v_and_b32_e32 v17, 0, v5
	v_add3_u32 v5, v8, v3, v4
	v_bfe_u32 v3, v14, 20, 1
	v_add_u32_e32 v3, -1, v3
	v_cmp_eq_u64_e32 vcc, v[16:17], v[18:19]
	v_cndmask_b32_e32 v3, 0, v3, vcc
	v_add_u32_e32 v3, v3, v14
	v_and_b32_e32 v3, 0xfffff, v3
	v_add_co_u32_e32 v14, vcc, v3, v14
	v_add_u32_e32 v4, 6, v5
	v_addc_co_u32_e32 v15, vcc, 0, v15, vcc
	v_cmp_ne_u32_e32 vcc, 0, v4
                                        ; implicit-def: $vgpr3
	s_and_saveexec_b64 s[18:19], vcc
	s_xor_b64 s[18:19], exec, s[18:19]
; %bb.2881:                             ;   in Loop: Header=BB4_2791 Depth=2
	v_add_u32_e32 v3, 7, v5
	v_cmp_lt_u64_e32 vcc, s[44:45], v[14:15]
	v_cndmask_b32_e32 v3, v4, v3, vcc
	v_cndmask_b32_e64 v4, 0, 1, vcc
	v_lshrrev_b64 v[14:15], v4, v[14:15]
; %bb.2882:                             ;   in Loop: Header=BB4_2791 Depth=2
	s_andn2_saveexec_b64 s[18:19], s[18:19]
; %bb.2883:                             ;   in Loop: Header=BB4_2791 Depth=2
	v_bfe_u32 v3, v14, 23, 1
; %bb.2884:                             ;   in Loop: Header=BB4_2791 Depth=2
	s_or_b64 exec, exec, s[18:19]
	v_lshrrev_b64 v[4:5], 20, v[14:15]
	v_cmp_gt_i32_e32 vcc, 16, v3
	v_cndmask_b32_e32 v5, 0, v5, vcc
	v_cndmask_b32_e32 v4, 7, v4, vcc
	v_cmp_eq_u32_e32 vcc, 0, v3
	v_min_i32_e32 v3, 15, v3
	v_cmp_eq_u64_e64 s[18:19], 0, v[4:5]
	v_lshlrev_b32_e32 v3, 3, v3
	v_and_or_b32 v3, v4, 7, v3
	s_and_b64 s[18:19], vcc, s[18:19]
	v_cndmask_b32_e64 v3, v3, 0, s[18:19]
	v_or_b32_e32 v62, v3, v0
.LBB4_2885:                             ;   in Loop: Header=BB4_2791 Depth=2
	s_or_b64 exec, exec, s[56:57]
.LBB4_2886:                             ;   in Loop: Header=BB4_2791 Depth=2
	s_or_b64 exec, exec, s[54:55]
                                        ; implicit-def: $vgpr3
                                        ; implicit-def: $vgpr14_vgpr15
.LBB4_2887:                             ;   in Loop: Header=BB4_2791 Depth=2
	s_andn2_saveexec_b64 s[18:19], s[52:53]
; %bb.2888:                             ;   in Loop: Header=BB4_2791 Depth=2
	v_or_b32_sdwa v0, v3, s69 dst_sel:DWORD dst_unused:UNUSED_PAD src0_sel:BYTE_3 src1_sel:DWORD
	v_cmp_eq_u64_e32 vcc, 0, v[14:15]
	v_cndmask_b32_e32 v62, v0, v62, vcc
; %bb.2889:                             ;   in Loop: Header=BB4_2791 Depth=2
	s_or_b64 exec, exec, s[18:19]
	v_lshrrev_b16_e32 v14, 8, v36
	v_cmp_ne_u16_e32 vcc, 0, v14
	v_mov_b32_e32 v0, 0
	s_and_saveexec_b64 s[18:19], vcc
	s_cbranch_execz .LBB4_2895
; %bb.2890:                             ;   in Loop: Header=BB4_2791 Depth=2
	v_cmp_ne_u16_e32 vcc, s71, v14
	v_bfrev_b32_e32 v0, 1
	s_and_saveexec_b64 s[52:53], vcc
	s_cbranch_execz .LBB4_2894
; %bb.2891:                             ;   in Loop: Header=BB4_2791 Depth=2
	v_and_b32_e32 v3, 0x7f, v14
	v_cmp_ne_u32_e32 vcc, s69, v3
	v_mov_b32_e32 v0, 0x7f800001
	s_and_saveexec_b64 s[54:55], vcc
	s_cbranch_execz .LBB4_2893
; %bb.2892:                             ;   in Loop: Header=BB4_2791 Depth=2
	v_and_b32_e32 v0, 7, v14
	v_ffbh_u32_e32 v4, v0
	v_min_u32_e32 v8, 32, v4
	v_subrev_u32_e32 v4, 28, v8
	v_lshlrev_b64 v[4:5], v4, v[14:15]
	v_lshrrev_b32_e32 v6, 3, v3
	v_sub_u32_e32 v5, 29, v8
	v_and_b32_e32 v4, 7, v4
	v_cmp_gt_u32_e32 vcc, 8, v3
	v_cndmask_b32_e32 v3, v6, v5, vcc
	v_cndmask_b32_e32 v0, v0, v4, vcc
	v_lshlrev_b32_e32 v4, 16, v36
	v_lshlrev_b32_e32 v0, 20, v0
	v_and_b32_e32 v4, 0x80000000, v4
	v_lshl_add_u32 v3, v3, 23, v55
	v_or3_b32 v0, v4, v3, v0
.LBB4_2893:                             ;   in Loop: Header=BB4_2791 Depth=2
	s_or_b64 exec, exec, s[54:55]
.LBB4_2894:                             ;   in Loop: Header=BB4_2791 Depth=2
	s_or_b64 exec, exec, s[52:53]
.LBB4_2895:                             ;   in Loop: Header=BB4_2791 Depth=2
	s_or_b64 exec, exec, s[18:19]
	v_mul_f32_e32 v3, v7, v0
	v_and_b32_sdwa v0, v3, s71 dst_sel:DWORD dst_unused:UNUSED_PAD src0_sel:BYTE_3 src1_sel:DWORD
	v_and_b32_e32 v4, 0x7f800000, v3
	v_mov_b32_e32 v5, v37
	v_and_b32_e32 v36, 0x7fffff, v3
	v_or_b32_e32 v6, 0x7e, v0
	v_cmp_ne_u64_e32 vcc, s[38:39], v[4:5]
	s_and_saveexec_b64 s[18:19], vcc
	s_xor_b64 s[52:53], exec, s[18:19]
	s_cbranch_execz .LBB4_2905
; %bb.2896:                             ;   in Loop: Header=BB4_2791 Depth=2
	v_and_b32_e32 v4, 0x7fffffff, v3
	v_mov_b32_e32 v5, v37
	v_cmp_gt_u64_e32 vcc, s[40:41], v[4:5]
	s_and_saveexec_b64 s[54:55], vcc
	s_cbranch_execz .LBB4_2904
; %bb.2897:                             ;   in Loop: Header=BB4_2791 Depth=2
	v_cmp_ne_u32_e32 vcc, 0, v3
	v_mov_b32_e32 v6, 0
	s_and_saveexec_b64 s[56:57], vcc
	s_cbranch_execz .LBB4_2903
; %bb.2898:                             ;   in Loop: Header=BB4_2791 Depth=2
	v_bfe_u32 v3, v3, 23, 8
	v_sub_u32_e32 v5, 0x79, v3
	v_cmp_gt_u32_e32 vcc, s72, v3
	v_add_u32_e32 v4, 0xffffff81, v3
	v_cndmask_b32_e32 v5, 0, v5, vcc
	v_cmp_eq_u32_e32 vcc, 0, v3
	v_mov_b32_e32 v3, 0xffffff82
	v_cndmask_b32_e32 v3, v4, v3, vcc
	v_mov_b32_e32 v4, 0x78
	v_cndmask_b32_e32 v8, v5, v4, vcc
	v_add_u32_e32 v4, 20, v8
	v_or_b32_e32 v6, 0x800000, v36
	v_lshlrev_b64 v[4:5], v4, -1
	v_cndmask_b32_e32 v36, v6, v36, vcc
	v_not_b32_e32 v4, v4
	v_and_b32_e32 v14, v36, v4
	v_add_u32_e32 v4, 19, v8
	v_lshrrev_b64 v[18:19], v8, v[36:37]
	v_not_b32_e32 v5, v5
	v_lshlrev_b64 v[16:17], v4, 1
	v_lshrrev_b32_e32 v4, 23, v18
	v_and_b32_e32 v15, 0, v5
	v_add3_u32 v5, v8, v3, v4
	v_bfe_u32 v3, v18, 20, 1
	v_add_u32_e32 v3, -1, v3
	v_cmp_eq_u64_e32 vcc, v[14:15], v[16:17]
	v_cndmask_b32_e32 v3, 0, v3, vcc
	v_add_u32_e32 v3, v3, v18
	v_and_b32_e32 v3, 0xfffff, v3
	v_add_co_u32_e32 v14, vcc, v3, v18
	v_add_u32_e32 v4, 6, v5
	v_addc_co_u32_e32 v15, vcc, 0, v19, vcc
	v_cmp_ne_u32_e32 vcc, 0, v4
                                        ; implicit-def: $vgpr3
	s_and_saveexec_b64 s[18:19], vcc
	s_xor_b64 s[18:19], exec, s[18:19]
; %bb.2899:                             ;   in Loop: Header=BB4_2791 Depth=2
	v_add_u32_e32 v3, 7, v5
	v_cmp_lt_u64_e32 vcc, s[44:45], v[14:15]
	v_cndmask_b32_e32 v3, v4, v3, vcc
	v_cndmask_b32_e64 v4, 0, 1, vcc
	v_lshrrev_b64 v[14:15], v4, v[14:15]
; %bb.2900:                             ;   in Loop: Header=BB4_2791 Depth=2
	s_andn2_saveexec_b64 s[18:19], s[18:19]
; %bb.2901:                             ;   in Loop: Header=BB4_2791 Depth=2
	v_bfe_u32 v3, v14, 23, 1
; %bb.2902:                             ;   in Loop: Header=BB4_2791 Depth=2
	s_or_b64 exec, exec, s[18:19]
	v_lshrrev_b64 v[4:5], 20, v[14:15]
	v_cmp_gt_i32_e32 vcc, 16, v3
	v_cndmask_b32_e32 v5, 0, v5, vcc
	v_cndmask_b32_e32 v4, 7, v4, vcc
	v_cmp_eq_u32_e32 vcc, 0, v3
	v_min_i32_e32 v3, 15, v3
	v_lshlrev_b32_e32 v3, 3, v3
	v_cmp_eq_u64_e64 s[18:19], 0, v[4:5]
	v_and_b32_e32 v3, 0xf8, v3
	v_and_or_b32 v3, v4, 7, v3
	s_and_b64 s[18:19], vcc, s[18:19]
	v_cndmask_b32_e64 v3, v3, 0, s[18:19]
	v_or_b32_e32 v6, v3, v0
.LBB4_2903:                             ;   in Loop: Header=BB4_2791 Depth=2
	s_or_b64 exec, exec, s[56:57]
.LBB4_2904:                             ;   in Loop: Header=BB4_2791 Depth=2
	s_or_b64 exec, exec, s[54:55]
                                        ; implicit-def: $vgpr3
.LBB4_2905:                             ;   in Loop: Header=BB4_2791 Depth=2
	s_andn2_saveexec_b64 s[18:19], s[52:53]
; %bb.2906:                             ;   in Loop: Header=BB4_2791 Depth=2
	v_or_b32_sdwa v0, v3, s69 dst_sel:DWORD dst_unused:UNUSED_PAD src0_sel:BYTE_3 src1_sel:DWORD
	v_cmp_eq_u64_e32 vcc, 0, v[36:37]
	v_cndmask_b32_e32 v6, v0, v6, vcc
; %bb.2907:                             ;   in Loop: Header=BB4_2791 Depth=2
	s_or_b64 exec, exec, s[18:19]
	v_lshrrev_b32_e32 v14, 16, v11
	v_cmp_ne_u16_sdwa vcc, v14, v37 src0_sel:BYTE_0 src1_sel:DWORD
	v_mov_b32_e32 v0, 0
	s_and_saveexec_b64 s[18:19], vcc
	s_cbranch_execz .LBB4_2913
; %bb.2908:                             ;   in Loop: Header=BB4_2791 Depth=2
	v_cmp_ne_u16_sdwa vcc, v14, s71 src0_sel:BYTE_0 src1_sel:DWORD
	v_bfrev_b32_e32 v0, 1
	s_and_saveexec_b64 s[52:53], vcc
	s_cbranch_execz .LBB4_2912
; %bb.2909:                             ;   in Loop: Header=BB4_2791 Depth=2
	v_bfe_u32 v3, v11, 16, 7
	v_cmp_ne_u32_e32 vcc, s69, v3
	v_mov_b32_e32 v0, 0x7f800001
	s_and_saveexec_b64 s[54:55], vcc
	s_cbranch_execz .LBB4_2911
; %bb.2910:                             ;   in Loop: Header=BB4_2791 Depth=2
	v_and_b32_e32 v0, 7, v14
	v_ffbh_u32_e32 v4, v0
	v_min_u32_e32 v15, 32, v4
	v_subrev_u32_e32 v4, 28, v15
	v_lshlrev_b64 v[4:5], v4, v[14:15]
	v_lshrrev_b32_e32 v8, 3, v3
	v_sub_u32_e32 v5, 29, v15
	v_and_b32_e32 v4, 7, v4
	v_cmp_gt_u32_e32 vcc, 8, v3
	v_cndmask_b32_e32 v3, v8, v5, vcc
	v_cndmask_b32_e32 v0, v0, v4, vcc
	v_lshlrev_b32_e32 v4, 24, v14
	v_lshlrev_b32_e32 v0, 20, v0
	v_and_b32_e32 v4, 0x80000000, v4
	v_lshl_add_u32 v3, v3, 23, v55
	v_or3_b32 v0, v4, v3, v0
.LBB4_2911:                             ;   in Loop: Header=BB4_2791 Depth=2
	s_or_b64 exec, exec, s[54:55]
.LBB4_2912:                             ;   in Loop: Header=BB4_2791 Depth=2
	s_or_b64 exec, exec, s[52:53]
.LBB4_2913:                             ;   in Loop: Header=BB4_2791 Depth=2
	s_or_b64 exec, exec, s[18:19]
	v_mul_f32_e32 v3, v7, v0
	v_and_b32_sdwa v0, v3, s71 dst_sel:DWORD dst_unused:UNUSED_PAD src0_sel:BYTE_3 src1_sel:DWORD
	v_and_b32_e32 v4, 0x7f800000, v3
	v_mov_b32_e32 v5, v37
	v_and_b32_e32 v36, 0x7fffff, v3
	v_or_b32_e32 v8, 0x7e, v0
	v_cmp_ne_u64_e32 vcc, s[38:39], v[4:5]
	s_and_saveexec_b64 s[18:19], vcc
	s_xor_b64 s[52:53], exec, s[18:19]
	s_cbranch_execz .LBB4_2923
; %bb.2914:                             ;   in Loop: Header=BB4_2791 Depth=2
	v_and_b32_e32 v4, 0x7fffffff, v3
	v_mov_b32_e32 v5, v37
	v_cmp_gt_u64_e32 vcc, s[40:41], v[4:5]
	s_and_saveexec_b64 s[54:55], vcc
	s_cbranch_execz .LBB4_2922
; %bb.2915:                             ;   in Loop: Header=BB4_2791 Depth=2
	v_cmp_ne_u32_e32 vcc, 0, v3
	v_mov_b32_e32 v8, 0
	s_and_saveexec_b64 s[56:57], vcc
	s_cbranch_execz .LBB4_2921
; %bb.2916:                             ;   in Loop: Header=BB4_2791 Depth=2
	v_bfe_u32 v3, v3, 23, 8
	v_sub_u32_e32 v5, 0x79, v3
	v_cmp_gt_u32_e32 vcc, s72, v3
	v_add_u32_e32 v4, 0xffffff81, v3
	v_cndmask_b32_e32 v5, 0, v5, vcc
	v_cmp_eq_u32_e32 vcc, 0, v3
	v_mov_b32_e32 v3, 0xffffff82
	v_cndmask_b32_e32 v3, v4, v3, vcc
	v_mov_b32_e32 v4, 0x78
	v_cndmask_b32_e32 v20, v5, v4, vcc
	v_add_u32_e32 v4, 20, v20
	v_or_b32_e32 v8, 0x800000, v36
	v_lshlrev_b64 v[4:5], v4, -1
	v_cndmask_b32_e32 v36, v8, v36, vcc
	v_not_b32_e32 v4, v4
	v_and_b32_e32 v14, v36, v4
	v_add_u32_e32 v4, 19, v20
	v_lshrrev_b64 v[18:19], v20, v[36:37]
	v_not_b32_e32 v5, v5
	v_lshlrev_b64 v[16:17], v4, 1
	v_lshrrev_b32_e32 v4, 23, v18
	v_and_b32_e32 v15, 0, v5
	v_add3_u32 v5, v20, v3, v4
	v_bfe_u32 v3, v18, 20, 1
	v_add_u32_e32 v3, -1, v3
	v_cmp_eq_u64_e32 vcc, v[14:15], v[16:17]
	v_cndmask_b32_e32 v3, 0, v3, vcc
	v_add_u32_e32 v3, v3, v18
	v_and_b32_e32 v3, 0xfffff, v3
	v_add_co_u32_e32 v14, vcc, v3, v18
	v_add_u32_e32 v4, 6, v5
	v_addc_co_u32_e32 v15, vcc, 0, v19, vcc
	v_cmp_ne_u32_e32 vcc, 0, v4
                                        ; implicit-def: $vgpr3
	s_and_saveexec_b64 s[18:19], vcc
	s_xor_b64 s[18:19], exec, s[18:19]
; %bb.2917:                             ;   in Loop: Header=BB4_2791 Depth=2
	v_add_u32_e32 v3, 7, v5
	v_cmp_lt_u64_e32 vcc, s[44:45], v[14:15]
	v_cndmask_b32_e32 v3, v4, v3, vcc
	v_cndmask_b32_e64 v4, 0, 1, vcc
	v_lshrrev_b64 v[14:15], v4, v[14:15]
; %bb.2918:                             ;   in Loop: Header=BB4_2791 Depth=2
	s_andn2_saveexec_b64 s[18:19], s[18:19]
; %bb.2919:                             ;   in Loop: Header=BB4_2791 Depth=2
	v_bfe_u32 v3, v14, 23, 1
; %bb.2920:                             ;   in Loop: Header=BB4_2791 Depth=2
	s_or_b64 exec, exec, s[18:19]
	v_lshrrev_b64 v[4:5], 20, v[14:15]
	v_cmp_gt_i32_e32 vcc, 16, v3
	v_cndmask_b32_e32 v5, 0, v5, vcc
	v_cndmask_b32_e32 v4, 7, v4, vcc
	v_cmp_eq_u32_e32 vcc, 0, v3
	v_min_i32_e32 v3, 15, v3
	v_lshlrev_b32_e32 v3, 3, v3
	v_cmp_eq_u64_e64 s[18:19], 0, v[4:5]
	v_and_b32_e32 v3, 0xf8, v3
	v_and_or_b32 v3, v4, 7, v3
	s_and_b64 s[18:19], vcc, s[18:19]
	v_cndmask_b32_e64 v3, v3, 0, s[18:19]
	v_or_b32_e32 v8, v3, v0
.LBB4_2921:                             ;   in Loop: Header=BB4_2791 Depth=2
	s_or_b64 exec, exec, s[56:57]
.LBB4_2922:                             ;   in Loop: Header=BB4_2791 Depth=2
	s_or_b64 exec, exec, s[54:55]
                                        ; implicit-def: $vgpr3
.LBB4_2923:                             ;   in Loop: Header=BB4_2791 Depth=2
	s_andn2_saveexec_b64 s[18:19], s[52:53]
; %bb.2924:                             ;   in Loop: Header=BB4_2791 Depth=2
	v_or_b32_sdwa v0, v3, s69 dst_sel:DWORD dst_unused:UNUSED_PAD src0_sel:BYTE_3 src1_sel:DWORD
	v_cmp_eq_u64_e32 vcc, 0, v[36:37]
	v_cndmask_b32_e32 v8, v0, v8, vcc
; %bb.2925:                             ;   in Loop: Header=BB4_2791 Depth=2
	s_or_b64 exec, exec, s[18:19]
	v_cmp_lt_u64_e32 vcc, s[42:43], v[10:11]
	v_mov_b32_e32 v0, 0
	s_and_saveexec_b64 s[18:19], vcc
	s_cbranch_execz .LBB4_2931
; %bb.2926:                             ;   in Loop: Header=BB4_2791 Depth=2
	v_lshrrev_b32_e32 v10, 24, v11
	v_cmp_ne_u32_e32 vcc, s71, v10
	v_bfrev_b32_e32 v0, 1
	s_and_saveexec_b64 s[52:53], vcc
	s_cbranch_execz .LBB4_2930
; %bb.2927:                             ;   in Loop: Header=BB4_2791 Depth=2
	v_bfe_u32 v3, v11, 24, 7
	v_cmp_ne_u32_e32 vcc, s69, v3
	v_mov_b32_e32 v0, 0x7f800001
	s_and_saveexec_b64 s[54:55], vcc
	s_cbranch_execz .LBB4_2929
; %bb.2928:                             ;   in Loop: Header=BB4_2791 Depth=2
	v_and_b32_e32 v0, 7, v10
	v_ffbh_u32_e32 v4, v0
	v_min_u32_e32 v14, 32, v4
	v_lshrrev_b32_e32 v11, 3, v3
	v_subrev_u32_e32 v4, 28, v14
	v_lshlrev_b64 v[4:5], v4, v[10:11]
	v_sub_u32_e32 v5, 29, v14
	v_and_b32_e32 v4, 7, v4
	v_cmp_gt_u32_e32 vcc, 8, v3
	v_cndmask_b32_e32 v3, v11, v5, vcc
	v_cndmask_b32_e32 v0, v0, v4, vcc
	v_lshlrev_b32_e32 v4, 24, v10
	v_lshlrev_b32_e32 v0, 20, v0
	v_and_b32_e32 v4, 0x80000000, v4
	v_lshl_add_u32 v3, v3, 23, v55
	v_or3_b32 v0, v4, v3, v0
.LBB4_2929:                             ;   in Loop: Header=BB4_2791 Depth=2
	s_or_b64 exec, exec, s[54:55]
.LBB4_2930:                             ;   in Loop: Header=BB4_2791 Depth=2
	s_or_b64 exec, exec, s[52:53]
.LBB4_2931:                             ;   in Loop: Header=BB4_2791 Depth=2
	s_or_b64 exec, exec, s[18:19]
	v_mul_f32_e32 v3, v7, v0
	v_and_b32_sdwa v0, v3, s71 dst_sel:DWORD dst_unused:UNUSED_PAD src0_sel:BYTE_3 src1_sel:DWORD
	v_and_b32_e32 v4, 0x7f800000, v3
	v_mov_b32_e32 v5, v37
	v_and_b32_e32 v36, 0x7fffff, v3
	v_or_b32_e32 v22, 0x7e, v0
	v_cmp_ne_u64_e32 vcc, s[38:39], v[4:5]
	s_and_saveexec_b64 s[18:19], vcc
	s_xor_b64 s[52:53], exec, s[18:19]
	s_cbranch_execz .LBB4_2941
; %bb.2932:                             ;   in Loop: Header=BB4_2791 Depth=2
	v_and_b32_e32 v4, 0x7fffffff, v3
	v_mov_b32_e32 v5, v37
	v_cmp_gt_u64_e32 vcc, s[40:41], v[4:5]
	s_and_saveexec_b64 s[54:55], vcc
	s_cbranch_execz .LBB4_2940
; %bb.2933:                             ;   in Loop: Header=BB4_2791 Depth=2
	v_cmp_ne_u32_e32 vcc, 0, v3
	v_mov_b32_e32 v22, 0
	s_and_saveexec_b64 s[56:57], vcc
	s_cbranch_execz .LBB4_2939
; %bb.2934:                             ;   in Loop: Header=BB4_2791 Depth=2
	v_bfe_u32 v3, v3, 23, 8
	v_sub_u32_e32 v5, 0x79, v3
	v_cmp_gt_u32_e32 vcc, s72, v3
	v_add_u32_e32 v4, 0xffffff81, v3
	v_cndmask_b32_e32 v5, 0, v5, vcc
	v_cmp_eq_u32_e32 vcc, 0, v3
	v_mov_b32_e32 v3, 0xffffff82
	v_cndmask_b32_e32 v3, v4, v3, vcc
	v_mov_b32_e32 v4, 0x78
	v_cndmask_b32_e32 v18, v5, v4, vcc
	v_add_u32_e32 v4, 20, v18
	v_or_b32_e32 v10, 0x800000, v36
	v_lshlrev_b64 v[4:5], v4, -1
	v_cndmask_b32_e32 v36, v10, v36, vcc
	v_not_b32_e32 v4, v4
	v_and_b32_e32 v10, v36, v4
	v_add_u32_e32 v4, 19, v18
	v_lshrrev_b64 v[16:17], v18, v[36:37]
	v_not_b32_e32 v5, v5
	v_lshlrev_b64 v[14:15], v4, 1
	v_lshrrev_b32_e32 v4, 23, v16
	v_and_b32_e32 v11, 0, v5
	v_add3_u32 v5, v18, v3, v4
	v_bfe_u32 v3, v16, 20, 1
	v_add_u32_e32 v3, -1, v3
	v_cmp_eq_u64_e32 vcc, v[10:11], v[14:15]
	v_cndmask_b32_e32 v3, 0, v3, vcc
	v_add_u32_e32 v3, v3, v16
	v_and_b32_e32 v3, 0xfffff, v3
	v_add_co_u32_e32 v10, vcc, v3, v16
	v_add_u32_e32 v4, 6, v5
	v_addc_co_u32_e32 v11, vcc, 0, v17, vcc
	v_cmp_ne_u32_e32 vcc, 0, v4
                                        ; implicit-def: $vgpr3
	s_and_saveexec_b64 s[18:19], vcc
	s_xor_b64 s[18:19], exec, s[18:19]
; %bb.2935:                             ;   in Loop: Header=BB4_2791 Depth=2
	v_add_u32_e32 v3, 7, v5
	v_cmp_lt_u64_e32 vcc, s[44:45], v[10:11]
	v_cndmask_b32_e32 v3, v4, v3, vcc
	v_cndmask_b32_e64 v4, 0, 1, vcc
	v_lshrrev_b64 v[10:11], v4, v[10:11]
; %bb.2936:                             ;   in Loop: Header=BB4_2791 Depth=2
	s_andn2_saveexec_b64 s[18:19], s[18:19]
; %bb.2937:                             ;   in Loop: Header=BB4_2791 Depth=2
	v_bfe_u32 v3, v10, 23, 1
; %bb.2938:                             ;   in Loop: Header=BB4_2791 Depth=2
	s_or_b64 exec, exec, s[18:19]
	v_lshrrev_b64 v[4:5], 20, v[10:11]
	v_cmp_gt_i32_e32 vcc, 16, v3
	v_cndmask_b32_e32 v5, 0, v5, vcc
	v_cndmask_b32_e32 v4, 7, v4, vcc
	v_cmp_eq_u32_e32 vcc, 0, v3
	v_min_i32_e32 v3, 15, v3
	v_lshlrev_b32_e32 v3, 3, v3
	v_cmp_eq_u64_e64 s[18:19], 0, v[4:5]
	v_and_b32_e32 v3, 0xf8, v3
	v_and_or_b32 v3, v4, 7, v3
	s_and_b64 s[18:19], vcc, s[18:19]
	v_cndmask_b32_e64 v3, v3, 0, s[18:19]
	v_or_b32_e32 v22, v3, v0
.LBB4_2939:                             ;   in Loop: Header=BB4_2791 Depth=2
	s_or_b64 exec, exec, s[56:57]
.LBB4_2940:                             ;   in Loop: Header=BB4_2791 Depth=2
	s_or_b64 exec, exec, s[54:55]
                                        ; implicit-def: $vgpr3
.LBB4_2941:                             ;   in Loop: Header=BB4_2791 Depth=2
	s_andn2_saveexec_b64 s[18:19], s[52:53]
; %bb.2942:                             ;   in Loop: Header=BB4_2791 Depth=2
	v_or_b32_sdwa v0, v3, s69 dst_sel:DWORD dst_unused:UNUSED_PAD src0_sel:BYTE_3 src1_sel:DWORD
	v_cmp_eq_u64_e32 vcc, 0, v[36:37]
	v_cndmask_b32_e32 v22, v0, v22, vcc
; %bb.2943:                             ;   in Loop: Header=BB4_2791 Depth=2
	s_or_b64 exec, exec, s[18:19]
	v_cmp_ne_u16_sdwa vcc, v12, v37 src0_sel:BYTE_0 src1_sel:DWORD
	v_mov_b32_e32 v0, 0
	s_and_saveexec_b64 s[18:19], vcc
	s_cbranch_execz .LBB4_2949
; %bb.2944:                             ;   in Loop: Header=BB4_2791 Depth=2
	v_cmp_ne_u16_sdwa vcc, v12, s71 src0_sel:BYTE_0 src1_sel:DWORD
	v_bfrev_b32_e32 v0, 1
	s_and_saveexec_b64 s[52:53], vcc
	s_cbranch_execz .LBB4_2948
; %bb.2945:                             ;   in Loop: Header=BB4_2791 Depth=2
	v_and_b32_e32 v3, 0x7f, v12
	v_cmp_ne_u32_e32 vcc, s69, v3
	v_mov_b32_e32 v0, 0x7f800001
	s_and_saveexec_b64 s[54:55], vcc
	s_cbranch_execz .LBB4_2947
; %bb.2946:                             ;   in Loop: Header=BB4_2791 Depth=2
	v_and_b32_e32 v0, 7, v12
	v_ffbh_u32_e32 v0, v0
	v_min_u32_e32 v0, 32, v0
	v_subrev_u32_e32 v5, 28, v0
	v_cmp_gt_u32_e32 vcc, 8, v3
	v_lshrrev_b32_e32 v4, 3, v3
	v_sub_u32_e32 v0, 29, v0
	v_cndmask_b32_e32 v3, 0, v5, vcc
	v_cndmask_b32_e32 v0, v4, v0, vcc
	v_lshlrev_b64 v[4:5], v3, v[12:13]
	v_lshlrev_b32_e32 v3, 20, v4
	v_lshlrev_b32_e32 v4, 24, v12
	v_and_b32_e32 v3, 0x700000, v3
	v_and_b32_e32 v4, 0x80000000, v4
	v_lshl_add_u32 v0, v0, 23, v55
	v_or3_b32 v0, v4, v0, v3
.LBB4_2947:                             ;   in Loop: Header=BB4_2791 Depth=2
	s_or_b64 exec, exec, s[54:55]
.LBB4_2948:                             ;   in Loop: Header=BB4_2791 Depth=2
	s_or_b64 exec, exec, s[52:53]
.LBB4_2949:                             ;   in Loop: Header=BB4_2791 Depth=2
	s_or_b64 exec, exec, s[18:19]
	v_mul_f32_e32 v3, v7, v0
	v_and_b32_sdwa v0, v3, s71 dst_sel:DWORD dst_unused:UNUSED_PAD src0_sel:BYTE_3 src1_sel:DWORD
	v_and_b32_e32 v10, 0x7f800000, v3
	v_mov_b32_e32 v11, v37
	v_and_b32_e32 v36, 0x7fffff, v3
	v_or_b32_e32 v5, 0x7e, v0
	v_cmp_ne_u64_e32 vcc, s[38:39], v[10:11]
	s_and_saveexec_b64 s[18:19], vcc
	s_xor_b64 s[52:53], exec, s[18:19]
	s_cbranch_execz .LBB4_2959
; %bb.2950:                             ;   in Loop: Header=BB4_2791 Depth=2
	v_and_b32_e32 v10, 0x7fffffff, v3
	v_mov_b32_e32 v11, v37
	v_cmp_gt_u64_e32 vcc, s[40:41], v[10:11]
	s_and_saveexec_b64 s[54:55], vcc
	s_cbranch_execz .LBB4_2958
; %bb.2951:                             ;   in Loop: Header=BB4_2791 Depth=2
	v_cmp_ne_u32_e32 vcc, 0, v3
	v_mov_b32_e32 v5, 0
	s_and_saveexec_b64 s[56:57], vcc
	s_cbranch_execz .LBB4_2957
; %bb.2952:                             ;   in Loop: Header=BB4_2791 Depth=2
	v_bfe_u32 v3, v3, 23, 8
	v_sub_u32_e32 v5, 0x79, v3
	v_cmp_gt_u32_e32 vcc, s72, v3
	v_add_u32_e32 v4, 0xffffff81, v3
	v_cndmask_b32_e32 v5, 0, v5, vcc
	v_cmp_eq_u32_e32 vcc, 0, v3
	v_mov_b32_e32 v3, 0xffffff82
	v_cndmask_b32_e32 v3, v4, v3, vcc
	v_mov_b32_e32 v4, 0x78
	v_cndmask_b32_e32 v18, v5, v4, vcc
	v_add_u32_e32 v4, 20, v18
	v_or_b32_e32 v10, 0x800000, v36
	v_lshlrev_b64 v[4:5], v4, -1
	v_cndmask_b32_e32 v36, v10, v36, vcc
	v_not_b32_e32 v4, v4
	v_and_b32_e32 v10, v36, v4
	v_add_u32_e32 v4, 19, v18
	v_lshrrev_b64 v[16:17], v18, v[36:37]
	v_not_b32_e32 v5, v5
	v_lshlrev_b64 v[14:15], v4, 1
	v_lshrrev_b32_e32 v4, 23, v16
	v_and_b32_e32 v11, 0, v5
	v_add3_u32 v5, v18, v3, v4
	v_bfe_u32 v3, v16, 20, 1
	v_add_u32_e32 v3, -1, v3
	v_cmp_eq_u64_e32 vcc, v[10:11], v[14:15]
	v_cndmask_b32_e32 v3, 0, v3, vcc
	v_add_u32_e32 v3, v3, v16
	v_and_b32_e32 v3, 0xfffff, v3
	v_add_co_u32_e32 v10, vcc, v3, v16
	v_add_u32_e32 v4, 6, v5
	v_addc_co_u32_e32 v11, vcc, 0, v17, vcc
	v_cmp_ne_u32_e32 vcc, 0, v4
                                        ; implicit-def: $vgpr3
	s_and_saveexec_b64 s[18:19], vcc
	s_xor_b64 s[18:19], exec, s[18:19]
; %bb.2953:                             ;   in Loop: Header=BB4_2791 Depth=2
	v_add_u32_e32 v3, 7, v5
	v_cmp_lt_u64_e32 vcc, s[44:45], v[10:11]
	v_cndmask_b32_e32 v3, v4, v3, vcc
	v_cndmask_b32_e64 v4, 0, 1, vcc
	v_lshrrev_b64 v[10:11], v4, v[10:11]
; %bb.2954:                             ;   in Loop: Header=BB4_2791 Depth=2
	s_andn2_saveexec_b64 s[18:19], s[18:19]
; %bb.2955:                             ;   in Loop: Header=BB4_2791 Depth=2
	v_bfe_u32 v3, v10, 23, 1
; %bb.2956:                             ;   in Loop: Header=BB4_2791 Depth=2
	s_or_b64 exec, exec, s[18:19]
	v_lshrrev_b64 v[4:5], 20, v[10:11]
	v_cmp_gt_i32_e32 vcc, 16, v3
	v_cndmask_b32_e32 v5, 0, v5, vcc
	v_cndmask_b32_e32 v4, 7, v4, vcc
	v_cmp_eq_u32_e32 vcc, 0, v3
	v_min_i32_e32 v3, 15, v3
	v_cmp_eq_u64_e64 s[18:19], 0, v[4:5]
	v_lshlrev_b32_e32 v3, 3, v3
	v_and_or_b32 v3, v4, 7, v3
	s_and_b64 s[18:19], vcc, s[18:19]
	v_cndmask_b32_e64 v3, v3, 0, s[18:19]
	v_or_b32_e32 v5, v3, v0
.LBB4_2957:                             ;   in Loop: Header=BB4_2791 Depth=2
	s_or_b64 exec, exec, s[56:57]
.LBB4_2958:                             ;   in Loop: Header=BB4_2791 Depth=2
	s_or_b64 exec, exec, s[54:55]
                                        ; implicit-def: $vgpr3
.LBB4_2959:                             ;   in Loop: Header=BB4_2791 Depth=2
	s_andn2_saveexec_b64 s[18:19], s[52:53]
; %bb.2960:                             ;   in Loop: Header=BB4_2791 Depth=2
	v_or_b32_sdwa v0, v3, s69 dst_sel:DWORD dst_unused:UNUSED_PAD src0_sel:BYTE_3 src1_sel:DWORD
	v_cmp_eq_u64_e32 vcc, 0, v[36:37]
	v_cndmask_b32_e32 v5, v0, v5, vcc
; %bb.2961:                             ;   in Loop: Header=BB4_2791 Depth=2
	s_or_b64 exec, exec, s[18:19]
	v_lshrrev_b16_e32 v10, 8, v12
	v_cmp_ne_u16_e32 vcc, 0, v10
	v_mov_b32_e32 v0, 0
	s_and_saveexec_b64 s[18:19], vcc
	s_cbranch_execz .LBB4_2967
; %bb.2962:                             ;   in Loop: Header=BB4_2791 Depth=2
	v_cmp_ne_u16_e32 vcc, s71, v10
	v_bfrev_b32_e32 v0, 1
	s_and_saveexec_b64 s[52:53], vcc
	s_cbranch_execz .LBB4_2966
; %bb.2963:                             ;   in Loop: Header=BB4_2791 Depth=2
	v_and_b32_e32 v3, 0x7f, v10
	v_cmp_ne_u32_e32 vcc, s69, v3
	v_mov_b32_e32 v0, 0x7f800001
	s_and_saveexec_b64 s[54:55], vcc
	s_cbranch_execz .LBB4_2965
; %bb.2964:                             ;   in Loop: Header=BB4_2791 Depth=2
	v_and_b32_e32 v0, 7, v10
	v_ffbh_u32_e32 v11, v0
	v_min_u32_e32 v14, 32, v11
	v_subrev_u32_e32 v11, 28, v14
	v_lshlrev_b64 v[10:11], v11, v[10:11]
	v_lshrrev_b32_e32 v4, 3, v3
	v_sub_u32_e32 v11, 29, v14
	v_and_b32_e32 v10, 7, v10
	v_cmp_gt_u32_e32 vcc, 8, v3
	v_cndmask_b32_e32 v3, v4, v11, vcc
	v_cndmask_b32_e32 v0, v0, v10, vcc
	v_lshlrev_b32_e32 v4, 16, v12
	v_lshlrev_b32_e32 v0, 20, v0
	v_and_b32_e32 v4, 0x80000000, v4
	v_lshl_add_u32 v3, v3, 23, v55
	v_or3_b32 v0, v4, v3, v0
.LBB4_2965:                             ;   in Loop: Header=BB4_2791 Depth=2
	s_or_b64 exec, exec, s[54:55]
.LBB4_2966:                             ;   in Loop: Header=BB4_2791 Depth=2
	s_or_b64 exec, exec, s[52:53]
.LBB4_2967:                             ;   in Loop: Header=BB4_2791 Depth=2
	s_or_b64 exec, exec, s[18:19]
	v_mul_f32_e32 v3, v7, v0
	v_and_b32_sdwa v0, v3, s71 dst_sel:DWORD dst_unused:UNUSED_PAD src0_sel:BYTE_3 src1_sel:DWORD
	v_and_b32_e32 v10, 0x7f800000, v3
	v_mov_b32_e32 v11, v37
	v_and_b32_e32 v36, 0x7fffff, v3
	v_or_b32_e32 v54, 0x7e, v0
	v_cmp_ne_u64_e32 vcc, s[38:39], v[10:11]
	s_and_saveexec_b64 s[18:19], vcc
	s_xor_b64 s[52:53], exec, s[18:19]
	s_cbranch_execz .LBB4_2977
; %bb.2968:                             ;   in Loop: Header=BB4_2791 Depth=2
	v_and_b32_e32 v10, 0x7fffffff, v3
	v_mov_b32_e32 v11, v37
	v_cmp_gt_u64_e32 vcc, s[40:41], v[10:11]
	s_and_saveexec_b64 s[54:55], vcc
	s_cbranch_execz .LBB4_2976
; %bb.2969:                             ;   in Loop: Header=BB4_2791 Depth=2
	v_cmp_ne_u32_e32 vcc, 0, v3
	v_mov_b32_e32 v54, 0
	s_and_saveexec_b64 s[56:57], vcc
	s_cbranch_execz .LBB4_2975
; %bb.2970:                             ;   in Loop: Header=BB4_2791 Depth=2
	v_bfe_u32 v3, v3, 23, 8
	v_sub_u32_e32 v10, 0x79, v3
	v_cmp_gt_u32_e32 vcc, s72, v3
	v_add_u32_e32 v4, 0xffffff81, v3
	v_cndmask_b32_e32 v10, 0, v10, vcc
	v_cmp_eq_u32_e32 vcc, 0, v3
	v_mov_b32_e32 v3, 0xffffff82
	v_cndmask_b32_e32 v3, v4, v3, vcc
	v_mov_b32_e32 v4, 0x78
	v_or_b32_e32 v11, 0x800000, v36
	v_cndmask_b32_e32 v4, v10, v4, vcc
	v_cndmask_b32_e32 v36, v11, v36, vcc
	v_add_u32_e32 v10, 20, v4
	v_lshlrev_b64 v[10:11], v10, -1
	v_add_u32_e32 v14, 19, v4
	v_lshrrev_b64 v[18:19], v4, v[36:37]
	v_not_b32_e32 v11, v11
	v_not_b32_e32 v10, v10
	v_lshlrev_b64 v[16:17], v14, 1
	v_lshrrev_b32_e32 v14, 23, v18
	v_and_b32_e32 v11, 0, v11
	v_and_b32_e32 v10, v36, v10
	v_add3_u32 v14, v4, v3, v14
	v_bfe_u32 v3, v18, 20, 1
	v_add_u32_e32 v3, -1, v3
	v_cmp_eq_u64_e32 vcc, v[10:11], v[16:17]
	v_cndmask_b32_e32 v3, 0, v3, vcc
	v_add_u32_e32 v3, v3, v18
	v_and_b32_e32 v3, 0xfffff, v3
	v_add_co_u32_e32 v10, vcc, v3, v18
	v_add_u32_e32 v4, 6, v14
	v_addc_co_u32_e32 v11, vcc, 0, v19, vcc
	v_cmp_ne_u32_e32 vcc, 0, v4
                                        ; implicit-def: $vgpr3
	s_and_saveexec_b64 s[18:19], vcc
	s_xor_b64 s[18:19], exec, s[18:19]
; %bb.2971:                             ;   in Loop: Header=BB4_2791 Depth=2
	v_add_u32_e32 v3, 7, v14
	v_cmp_lt_u64_e32 vcc, s[44:45], v[10:11]
	v_cndmask_b32_e32 v3, v4, v3, vcc
	v_cndmask_b32_e64 v4, 0, 1, vcc
	v_lshrrev_b64 v[10:11], v4, v[10:11]
; %bb.2972:                             ;   in Loop: Header=BB4_2791 Depth=2
	s_andn2_saveexec_b64 s[18:19], s[18:19]
; %bb.2973:                             ;   in Loop: Header=BB4_2791 Depth=2
	v_bfe_u32 v3, v10, 23, 1
; %bb.2974:                             ;   in Loop: Header=BB4_2791 Depth=2
	s_or_b64 exec, exec, s[18:19]
	v_lshrrev_b64 v[10:11], 20, v[10:11]
	v_cmp_gt_i32_e32 vcc, 16, v3
	v_cndmask_b32_e32 v11, 0, v11, vcc
	v_cndmask_b32_e32 v10, 7, v10, vcc
	v_cmp_eq_u32_e32 vcc, 0, v3
	v_min_i32_e32 v3, 15, v3
	v_cmp_eq_u64_e64 s[18:19], 0, v[10:11]
	v_lshlrev_b32_e32 v3, 3, v3
	v_and_or_b32 v3, v10, 7, v3
	s_and_b64 s[18:19], vcc, s[18:19]
	v_cndmask_b32_e64 v3, v3, 0, s[18:19]
	v_or_b32_e32 v54, v3, v0
.LBB4_2975:                             ;   in Loop: Header=BB4_2791 Depth=2
	s_or_b64 exec, exec, s[56:57]
.LBB4_2976:                             ;   in Loop: Header=BB4_2791 Depth=2
	s_or_b64 exec, exec, s[54:55]
                                        ; implicit-def: $vgpr3
.LBB4_2977:                             ;   in Loop: Header=BB4_2791 Depth=2
	s_andn2_saveexec_b64 s[18:19], s[52:53]
; %bb.2978:                             ;   in Loop: Header=BB4_2791 Depth=2
	v_or_b32_sdwa v0, v3, s69 dst_sel:DWORD dst_unused:UNUSED_PAD src0_sel:BYTE_3 src1_sel:DWORD
	v_cmp_eq_u64_e32 vcc, 0, v[36:37]
	v_cndmask_b32_e32 v54, v0, v54, vcc
; %bb.2979:                             ;   in Loop: Header=BB4_2791 Depth=2
	s_or_b64 exec, exec, s[18:19]
	v_lshrrev_b32_e32 v10, 16, v12
	v_cmp_ne_u16_sdwa vcc, v10, v37 src0_sel:BYTE_0 src1_sel:DWORD
	v_mov_b32_e32 v0, 0
	s_and_saveexec_b64 s[18:19], vcc
	s_cbranch_execz .LBB4_2985
; %bb.2980:                             ;   in Loop: Header=BB4_2791 Depth=2
	v_cmp_ne_u16_sdwa vcc, v10, s71 src0_sel:BYTE_0 src1_sel:DWORD
	v_bfrev_b32_e32 v0, 1
	s_and_saveexec_b64 s[52:53], vcc
	s_cbranch_execz .LBB4_2984
; %bb.2981:                             ;   in Loop: Header=BB4_2791 Depth=2
	v_bfe_u32 v3, v12, 16, 7
	v_cmp_ne_u32_e32 vcc, s69, v3
	v_mov_b32_e32 v0, 0x7f800001
	s_and_saveexec_b64 s[54:55], vcc
	s_cbranch_execz .LBB4_2983
; %bb.2982:                             ;   in Loop: Header=BB4_2791 Depth=2
	v_and_b32_e32 v0, 7, v10
	v_ffbh_u32_e32 v11, v0
	v_min_u32_e32 v11, 32, v11
	v_subrev_u32_e32 v14, 28, v11
	v_lshlrev_b64 v[14:15], v14, v[10:11]
	v_lshrrev_b32_e32 v4, 3, v3
	v_sub_u32_e32 v11, 29, v11
	v_and_b32_e32 v14, 7, v14
	v_cmp_gt_u32_e32 vcc, 8, v3
	v_cndmask_b32_e32 v3, v4, v11, vcc
	v_cndmask_b32_e32 v0, v0, v14, vcc
	v_lshlrev_b32_e32 v4, 24, v10
	v_lshlrev_b32_e32 v0, 20, v0
	v_and_b32_e32 v4, 0x80000000, v4
	v_lshl_add_u32 v3, v3, 23, v55
	v_or3_b32 v0, v4, v3, v0
.LBB4_2983:                             ;   in Loop: Header=BB4_2791 Depth=2
	s_or_b64 exec, exec, s[54:55]
.LBB4_2984:                             ;   in Loop: Header=BB4_2791 Depth=2
	s_or_b64 exec, exec, s[52:53]
.LBB4_2985:                             ;   in Loop: Header=BB4_2791 Depth=2
	s_or_b64 exec, exec, s[18:19]
	v_mul_f32_e32 v3, v7, v0
	v_and_b32_sdwa v0, v3, s71 dst_sel:DWORD dst_unused:UNUSED_PAD src0_sel:BYTE_3 src1_sel:DWORD
	v_and_b32_e32 v10, 0x7f800000, v3
	v_mov_b32_e32 v11, v37
	v_and_b32_e32 v36, 0x7fffff, v3
	v_or_b32_e32 v58, 0x7e, v0
	v_cmp_ne_u64_e32 vcc, s[38:39], v[10:11]
	s_and_saveexec_b64 s[18:19], vcc
	s_xor_b64 s[52:53], exec, s[18:19]
	s_cbranch_execz .LBB4_2995
; %bb.2986:                             ;   in Loop: Header=BB4_2791 Depth=2
	v_and_b32_e32 v10, 0x7fffffff, v3
	v_mov_b32_e32 v11, v37
	v_cmp_gt_u64_e32 vcc, s[40:41], v[10:11]
	s_and_saveexec_b64 s[54:55], vcc
	s_cbranch_execz .LBB4_2994
; %bb.2987:                             ;   in Loop: Header=BB4_2791 Depth=2
	v_cmp_ne_u32_e32 vcc, 0, v3
	v_mov_b32_e32 v58, 0
	s_and_saveexec_b64 s[56:57], vcc
	s_cbranch_execz .LBB4_2993
; %bb.2988:                             ;   in Loop: Header=BB4_2791 Depth=2
	v_bfe_u32 v3, v3, 23, 8
	v_sub_u32_e32 v10, 0x79, v3
	v_cmp_gt_u32_e32 vcc, s72, v3
	v_add_u32_e32 v4, 0xffffff81, v3
	v_cndmask_b32_e32 v10, 0, v10, vcc
	v_cmp_eq_u32_e32 vcc, 0, v3
	v_mov_b32_e32 v3, 0xffffff82
	v_cndmask_b32_e32 v3, v4, v3, vcc
	v_mov_b32_e32 v4, 0x78
	v_or_b32_e32 v11, 0x800000, v36
	v_cndmask_b32_e32 v4, v10, v4, vcc
	v_cndmask_b32_e32 v36, v11, v36, vcc
	v_add_u32_e32 v10, 20, v4
	v_lshlrev_b64 v[10:11], v10, -1
	v_add_u32_e32 v14, 19, v4
	v_lshrrev_b64 v[18:19], v4, v[36:37]
	v_not_b32_e32 v11, v11
	v_not_b32_e32 v10, v10
	v_lshlrev_b64 v[16:17], v14, 1
	v_lshrrev_b32_e32 v14, 23, v18
	v_and_b32_e32 v11, 0, v11
	v_and_b32_e32 v10, v36, v10
	v_add3_u32 v14, v4, v3, v14
	v_bfe_u32 v3, v18, 20, 1
	v_add_u32_e32 v3, -1, v3
	v_cmp_eq_u64_e32 vcc, v[10:11], v[16:17]
	v_cndmask_b32_e32 v3, 0, v3, vcc
	v_add_u32_e32 v3, v3, v18
	v_and_b32_e32 v3, 0xfffff, v3
	v_add_co_u32_e32 v10, vcc, v3, v18
	v_add_u32_e32 v4, 6, v14
	v_addc_co_u32_e32 v11, vcc, 0, v19, vcc
	v_cmp_ne_u32_e32 vcc, 0, v4
                                        ; implicit-def: $vgpr3
	s_and_saveexec_b64 s[18:19], vcc
	s_xor_b64 s[18:19], exec, s[18:19]
; %bb.2989:                             ;   in Loop: Header=BB4_2791 Depth=2
	v_add_u32_e32 v3, 7, v14
	v_cmp_lt_u64_e32 vcc, s[44:45], v[10:11]
	v_cndmask_b32_e32 v3, v4, v3, vcc
	v_cndmask_b32_e64 v4, 0, 1, vcc
	v_lshrrev_b64 v[10:11], v4, v[10:11]
; %bb.2990:                             ;   in Loop: Header=BB4_2791 Depth=2
	s_andn2_saveexec_b64 s[18:19], s[18:19]
; %bb.2991:                             ;   in Loop: Header=BB4_2791 Depth=2
	v_bfe_u32 v3, v10, 23, 1
; %bb.2992:                             ;   in Loop: Header=BB4_2791 Depth=2
	s_or_b64 exec, exec, s[18:19]
	v_lshrrev_b64 v[10:11], 20, v[10:11]
	v_cmp_gt_i32_e32 vcc, 16, v3
	v_cndmask_b32_e32 v11, 0, v11, vcc
	v_cndmask_b32_e32 v10, 7, v10, vcc
	v_cmp_eq_u32_e32 vcc, 0, v3
	v_min_i32_e32 v3, 15, v3
	v_cmp_eq_u64_e64 s[18:19], 0, v[10:11]
	v_lshlrev_b32_e32 v3, 3, v3
	v_and_or_b32 v3, v10, 7, v3
	s_and_b64 s[18:19], vcc, s[18:19]
	v_cndmask_b32_e64 v3, v3, 0, s[18:19]
	v_or_b32_e32 v58, v3, v0
.LBB4_2993:                             ;   in Loop: Header=BB4_2791 Depth=2
	s_or_b64 exec, exec, s[56:57]
.LBB4_2994:                             ;   in Loop: Header=BB4_2791 Depth=2
	s_or_b64 exec, exec, s[54:55]
                                        ; implicit-def: $vgpr3
.LBB4_2995:                             ;   in Loop: Header=BB4_2791 Depth=2
	s_andn2_saveexec_b64 s[18:19], s[52:53]
; %bb.2996:                             ;   in Loop: Header=BB4_2791 Depth=2
	v_or_b32_sdwa v0, v3, s69 dst_sel:DWORD dst_unused:UNUSED_PAD src0_sel:BYTE_3 src1_sel:DWORD
	v_cmp_eq_u64_e32 vcc, 0, v[36:37]
	v_cndmask_b32_e32 v58, v0, v58, vcc
; %bb.2997:                             ;   in Loop: Header=BB4_2791 Depth=2
	s_or_b64 exec, exec, s[18:19]
	v_cmp_lt_u32_e32 vcc, s43, v12
	v_mov_b32_e32 v0, 0
	s_and_saveexec_b64 s[18:19], vcc
	s_cbranch_execz .LBB4_3003
; %bb.2998:                             ;   in Loop: Header=BB4_2791 Depth=2
	v_lshrrev_b32_e32 v10, 24, v12
	v_cmp_ne_u32_e32 vcc, s71, v10
	v_bfrev_b32_e32 v0, 1
	s_and_saveexec_b64 s[52:53], vcc
	s_cbranch_execz .LBB4_3002
; %bb.2999:                             ;   in Loop: Header=BB4_2791 Depth=2
	v_bfe_u32 v3, v12, 24, 7
	v_cmp_ne_u32_e32 vcc, s69, v3
	v_mov_b32_e32 v0, 0x7f800001
	s_and_saveexec_b64 s[54:55], vcc
	s_cbranch_execz .LBB4_3001
; %bb.3000:                             ;   in Loop: Header=BB4_2791 Depth=2
	v_and_b32_e32 v0, 7, v10
	v_ffbh_u32_e32 v11, v0
	v_min_u32_e32 v11, 32, v11
	v_subrev_u32_e32 v14, 28, v11
	v_lshlrev_b64 v[14:15], v14, v[10:11]
	v_lshrrev_b32_e32 v4, 3, v3
	v_sub_u32_e32 v11, 29, v11
	v_and_b32_e32 v14, 7, v14
	v_cmp_gt_u32_e32 vcc, 8, v3
	v_cndmask_b32_e32 v3, v4, v11, vcc
	v_cndmask_b32_e32 v0, v0, v14, vcc
	v_lshlrev_b32_e32 v4, 24, v10
	v_lshlrev_b32_e32 v0, 20, v0
	v_and_b32_e32 v4, 0x80000000, v4
	v_lshl_add_u32 v3, v3, 23, v55
	v_or3_b32 v0, v4, v3, v0
.LBB4_3001:                             ;   in Loop: Header=BB4_2791 Depth=2
	s_or_b64 exec, exec, s[54:55]
.LBB4_3002:                             ;   in Loop: Header=BB4_2791 Depth=2
	s_or_b64 exec, exec, s[52:53]
.LBB4_3003:                             ;   in Loop: Header=BB4_2791 Depth=2
	s_or_b64 exec, exec, s[18:19]
	v_mul_f32_e32 v3, v7, v0
	v_and_b32_sdwa v0, v3, s71 dst_sel:DWORD dst_unused:UNUSED_PAD src0_sel:BYTE_3 src1_sel:DWORD
	v_and_b32_e32 v10, 0x7f800000, v3
	v_mov_b32_e32 v11, v37
	v_and_b32_e32 v36, 0x7fffff, v3
	v_or_b32_e32 v4, 0x7e, v0
	v_cmp_ne_u64_e32 vcc, s[38:39], v[10:11]
	s_and_saveexec_b64 s[18:19], vcc
	s_xor_b64 s[52:53], exec, s[18:19]
	s_cbranch_execz .LBB4_3013
; %bb.3004:                             ;   in Loop: Header=BB4_2791 Depth=2
	v_and_b32_e32 v10, 0x7fffffff, v3
	v_mov_b32_e32 v11, v37
	v_cmp_gt_u64_e32 vcc, s[40:41], v[10:11]
	s_and_saveexec_b64 s[54:55], vcc
	s_cbranch_execz .LBB4_3012
; %bb.3005:                             ;   in Loop: Header=BB4_2791 Depth=2
	v_cmp_ne_u32_e32 vcc, 0, v3
	v_mov_b32_e32 v4, 0
	s_and_saveexec_b64 s[56:57], vcc
	s_cbranch_execz .LBB4_3011
; %bb.3006:                             ;   in Loop: Header=BB4_2791 Depth=2
	v_bfe_u32 v3, v3, 23, 8
	v_sub_u32_e32 v10, 0x79, v3
	v_cmp_gt_u32_e32 vcc, s72, v3
	v_add_u32_e32 v4, 0xffffff81, v3
	v_cndmask_b32_e32 v10, 0, v10, vcc
	v_cmp_eq_u32_e32 vcc, 0, v3
	v_mov_b32_e32 v3, 0xffffff82
	v_cndmask_b32_e32 v3, v4, v3, vcc
	v_mov_b32_e32 v4, 0x78
	v_or_b32_e32 v11, 0x800000, v36
	v_cndmask_b32_e32 v4, v10, v4, vcc
	v_cndmask_b32_e32 v36, v11, v36, vcc
	v_add_u32_e32 v10, 20, v4
	v_lshlrev_b64 v[10:11], v10, -1
	v_add_u32_e32 v14, 19, v4
	v_lshrrev_b64 v[18:19], v4, v[36:37]
	v_not_b32_e32 v11, v11
	v_not_b32_e32 v10, v10
	v_lshlrev_b64 v[16:17], v14, 1
	v_lshrrev_b32_e32 v14, 23, v18
	v_and_b32_e32 v11, 0, v11
	v_and_b32_e32 v10, v36, v10
	v_add3_u32 v14, v4, v3, v14
	v_bfe_u32 v3, v18, 20, 1
	v_add_u32_e32 v3, -1, v3
	v_cmp_eq_u64_e32 vcc, v[10:11], v[16:17]
	v_cndmask_b32_e32 v3, 0, v3, vcc
	v_add_u32_e32 v3, v3, v18
	v_and_b32_e32 v3, 0xfffff, v3
	v_add_co_u32_e32 v10, vcc, v3, v18
	v_add_u32_e32 v4, 6, v14
	v_addc_co_u32_e32 v11, vcc, 0, v19, vcc
	v_cmp_ne_u32_e32 vcc, 0, v4
                                        ; implicit-def: $vgpr3
	s_and_saveexec_b64 s[18:19], vcc
	s_xor_b64 s[18:19], exec, s[18:19]
; %bb.3007:                             ;   in Loop: Header=BB4_2791 Depth=2
	v_add_u32_e32 v3, 7, v14
	v_cmp_lt_u64_e32 vcc, s[44:45], v[10:11]
	v_cndmask_b32_e32 v3, v4, v3, vcc
	v_cndmask_b32_e64 v4, 0, 1, vcc
	v_lshrrev_b64 v[10:11], v4, v[10:11]
; %bb.3008:                             ;   in Loop: Header=BB4_2791 Depth=2
	s_andn2_saveexec_b64 s[18:19], s[18:19]
; %bb.3009:                             ;   in Loop: Header=BB4_2791 Depth=2
	v_bfe_u32 v3, v10, 23, 1
; %bb.3010:                             ;   in Loop: Header=BB4_2791 Depth=2
	s_or_b64 exec, exec, s[18:19]
	v_lshrrev_b64 v[10:11], 20, v[10:11]
	v_cmp_gt_i32_e32 vcc, 16, v3
	v_cndmask_b32_e32 v11, 0, v11, vcc
	v_cndmask_b32_e32 v10, 7, v10, vcc
	v_cmp_eq_u32_e32 vcc, 0, v3
	v_min_i32_e32 v3, 15, v3
	v_cmp_eq_u64_e64 s[18:19], 0, v[10:11]
	v_lshlrev_b32_e32 v3, 3, v3
	v_and_or_b32 v3, v10, 7, v3
	s_and_b64 s[18:19], vcc, s[18:19]
	v_cndmask_b32_e64 v3, v3, 0, s[18:19]
	v_or_b32_e32 v4, v3, v0
.LBB4_3011:                             ;   in Loop: Header=BB4_2791 Depth=2
	s_or_b64 exec, exec, s[56:57]
.LBB4_3012:                             ;   in Loop: Header=BB4_2791 Depth=2
	s_or_b64 exec, exec, s[54:55]
                                        ; implicit-def: $vgpr3
.LBB4_3013:                             ;   in Loop: Header=BB4_2791 Depth=2
	s_andn2_saveexec_b64 s[18:19], s[52:53]
; %bb.3014:                             ;   in Loop: Header=BB4_2791 Depth=2
	v_or_b32_sdwa v0, v3, s69 dst_sel:DWORD dst_unused:UNUSED_PAD src0_sel:BYTE_3 src1_sel:DWORD
	v_cmp_eq_u64_e32 vcc, 0, v[36:37]
	v_cndmask_b32_e32 v4, v0, v4, vcc
; %bb.3015:                             ;   in Loop: Header=BB4_2791 Depth=2
	s_or_b64 exec, exec, s[18:19]
	v_mov_b32_e32 v36, v13
	v_cmp_ne_u16_sdwa vcc, v13, v37 src0_sel:BYTE_0 src1_sel:DWORD
	v_mov_b32_e32 v0, 0
	s_and_saveexec_b64 s[18:19], vcc
	s_cbranch_execz .LBB4_3021
; %bb.3016:                             ;   in Loop: Header=BB4_2791 Depth=2
	v_cmp_ne_u16_sdwa vcc, v13, s71 src0_sel:BYTE_0 src1_sel:DWORD
	v_bfrev_b32_e32 v0, 1
	s_and_saveexec_b64 s[52:53], vcc
	s_cbranch_execz .LBB4_3020
; %bb.3017:                             ;   in Loop: Header=BB4_2791 Depth=2
	v_and_b32_e32 v3, 0x7f, v13
	v_cmp_ne_u32_e32 vcc, s69, v3
	v_mov_b32_e32 v0, 0x7f800001
	s_and_saveexec_b64 s[54:55], vcc
	s_cbranch_execz .LBB4_3019
; %bb.3018:                             ;   in Loop: Header=BB4_2791 Depth=2
	v_and_b32_e32 v0, 7, v13
	v_ffbh_u32_e32 v0, v0
	v_min_u32_e32 v0, 32, v0
	v_subrev_u32_e32 v11, 28, v0
	v_cmp_gt_u32_e32 vcc, 8, v3
	v_lshrrev_b32_e32 v10, 3, v3
	v_sub_u32_e32 v0, 29, v0
	v_cndmask_b32_e32 v3, 0, v11, vcc
	v_cndmask_b32_e32 v0, v10, v0, vcc
	v_lshlrev_b64 v[10:11], v3, v[36:37]
	v_lshlrev_b32_e32 v3, 20, v10
	v_lshlrev_b32_e32 v10, 24, v36
	v_and_b32_e32 v3, 0x700000, v3
	v_and_b32_e32 v10, 0x80000000, v10
	v_lshl_add_u32 v0, v0, 23, v55
	v_or3_b32 v0, v10, v0, v3
.LBB4_3019:                             ;   in Loop: Header=BB4_2791 Depth=2
	s_or_b64 exec, exec, s[54:55]
.LBB4_3020:                             ;   in Loop: Header=BB4_2791 Depth=2
	s_or_b64 exec, exec, s[52:53]
.LBB4_3021:                             ;   in Loop: Header=BB4_2791 Depth=2
	s_or_b64 exec, exec, s[18:19]
	v_mul_f32_e32 v3, v7, v0
	v_and_b32_sdwa v0, v3, s71 dst_sel:DWORD dst_unused:UNUSED_PAD src0_sel:BYTE_3 src1_sel:DWORD
	v_and_b32_e32 v14, 0x7f800000, v3
	v_mov_b32_e32 v15, v37
	v_and_b32_e32 v10, 0x7fffff, v3
	v_mov_b32_e32 v11, v37
	v_or_b32_e32 v31, 0x7e, v0
	v_cmp_ne_u64_e32 vcc, s[38:39], v[14:15]
	s_and_saveexec_b64 s[18:19], vcc
	s_xor_b64 s[52:53], exec, s[18:19]
	s_cbranch_execz .LBB4_3031
; %bb.3022:                             ;   in Loop: Header=BB4_2791 Depth=2
	v_and_b32_e32 v14, 0x7fffffff, v3
	v_mov_b32_e32 v15, v37
	v_cmp_gt_u64_e32 vcc, s[40:41], v[14:15]
	s_and_saveexec_b64 s[54:55], vcc
	s_cbranch_execz .LBB4_3030
; %bb.3023:                             ;   in Loop: Header=BB4_2791 Depth=2
	v_cmp_ne_u32_e32 vcc, 0, v3
	v_mov_b32_e32 v31, 0
	s_and_saveexec_b64 s[56:57], vcc
	s_cbranch_execz .LBB4_3029
; %bb.3024:                             ;   in Loop: Header=BB4_2791 Depth=2
	v_bfe_u32 v3, v3, 23, 8
	v_sub_u32_e32 v15, 0x79, v3
	v_cmp_gt_u32_e32 vcc, s72, v3
	v_add_u32_e32 v14, 0xffffff81, v3
	v_cndmask_b32_e32 v15, 0, v15, vcc
	v_cmp_eq_u32_e32 vcc, 0, v3
	v_mov_b32_e32 v3, 0xffffff82
	v_cndmask_b32_e32 v3, v14, v3, vcc
	v_mov_b32_e32 v14, 0x78
	v_cndmask_b32_e32 v20, v15, v14, vcc
	v_add_u32_e32 v14, 20, v20
	v_or_b32_e32 v16, 0x800000, v10
	v_lshlrev_b64 v[14:15], v14, -1
	v_cndmask_b32_e32 v10, v16, v10, vcc
	v_not_b32_e32 v14, v14
	v_and_b32_e32 v16, v10, v14
	v_add_u32_e32 v14, 19, v20
	v_lshrrev_b64 v[10:11], v20, v[10:11]
	v_not_b32_e32 v15, v15
	v_lshlrev_b64 v[18:19], v14, 1
	v_lshrrev_b32_e32 v14, 23, v10
	v_and_b32_e32 v17, 0, v15
	v_add3_u32 v15, v20, v3, v14
	v_bfe_u32 v3, v10, 20, 1
	v_add_u32_e32 v3, -1, v3
	v_cmp_eq_u64_e32 vcc, v[16:17], v[18:19]
	v_cndmask_b32_e32 v3, 0, v3, vcc
	v_add_u32_e32 v3, v3, v10
	v_and_b32_e32 v3, 0xfffff, v3
	v_add_co_u32_e32 v10, vcc, v3, v10
	v_add_u32_e32 v14, 6, v15
	v_addc_co_u32_e32 v11, vcc, 0, v11, vcc
	v_cmp_ne_u32_e32 vcc, 0, v14
                                        ; implicit-def: $vgpr3
	s_and_saveexec_b64 s[18:19], vcc
	s_xor_b64 s[18:19], exec, s[18:19]
; %bb.3025:                             ;   in Loop: Header=BB4_2791 Depth=2
	v_add_u32_e32 v3, 7, v15
	v_cmp_lt_u64_e32 vcc, s[44:45], v[10:11]
	v_cndmask_b32_e32 v3, v14, v3, vcc
	v_cndmask_b32_e64 v14, 0, 1, vcc
	v_lshrrev_b64 v[10:11], v14, v[10:11]
; %bb.3026:                             ;   in Loop: Header=BB4_2791 Depth=2
	s_andn2_saveexec_b64 s[18:19], s[18:19]
; %bb.3027:                             ;   in Loop: Header=BB4_2791 Depth=2
	v_bfe_u32 v3, v10, 23, 1
; %bb.3028:                             ;   in Loop: Header=BB4_2791 Depth=2
	s_or_b64 exec, exec, s[18:19]
	v_lshrrev_b64 v[10:11], 20, v[10:11]
	v_cmp_gt_i32_e32 vcc, 16, v3
	v_cndmask_b32_e32 v11, 0, v11, vcc
	v_cndmask_b32_e32 v10, 7, v10, vcc
	v_cmp_eq_u32_e32 vcc, 0, v3
	v_min_i32_e32 v3, 15, v3
	v_cmp_eq_u64_e64 s[18:19], 0, v[10:11]
	v_lshlrev_b32_e32 v3, 3, v3
	v_and_or_b32 v3, v10, 7, v3
	s_and_b64 s[18:19], vcc, s[18:19]
	v_cndmask_b32_e64 v3, v3, 0, s[18:19]
	v_or_b32_e32 v31, v3, v0
.LBB4_3029:                             ;   in Loop: Header=BB4_2791 Depth=2
	s_or_b64 exec, exec, s[56:57]
.LBB4_3030:                             ;   in Loop: Header=BB4_2791 Depth=2
	s_or_b64 exec, exec, s[54:55]
                                        ; implicit-def: $vgpr3
                                        ; implicit-def: $vgpr10_vgpr11
.LBB4_3031:                             ;   in Loop: Header=BB4_2791 Depth=2
	s_andn2_saveexec_b64 s[18:19], s[52:53]
; %bb.3032:                             ;   in Loop: Header=BB4_2791 Depth=2
	v_or_b32_sdwa v0, v3, s69 dst_sel:DWORD dst_unused:UNUSED_PAD src0_sel:BYTE_3 src1_sel:DWORD
	v_cmp_eq_u64_e32 vcc, 0, v[10:11]
	v_cndmask_b32_e32 v31, v0, v31, vcc
; %bb.3033:                             ;   in Loop: Header=BB4_2791 Depth=2
	s_or_b64 exec, exec, s[18:19]
	v_lshrrev_b16_e32 v10, 8, v36
	v_cmp_ne_u16_e32 vcc, 0, v10
	v_mov_b32_e32 v0, 0
	s_and_saveexec_b64 s[18:19], vcc
	s_cbranch_execz .LBB4_3039
; %bb.3034:                             ;   in Loop: Header=BB4_2791 Depth=2
	v_cmp_ne_u16_e32 vcc, s71, v10
	v_bfrev_b32_e32 v0, 1
	s_and_saveexec_b64 s[52:53], vcc
	s_cbranch_execz .LBB4_3038
; %bb.3035:                             ;   in Loop: Header=BB4_2791 Depth=2
	v_and_b32_e32 v3, 0x7f, v10
	v_cmp_ne_u32_e32 vcc, s69, v3
	v_mov_b32_e32 v0, 0x7f800001
	s_and_saveexec_b64 s[54:55], vcc
	s_cbranch_execz .LBB4_3037
; %bb.3036:                             ;   in Loop: Header=BB4_2791 Depth=2
	v_and_b32_e32 v0, 7, v10
	v_ffbh_u32_e32 v11, v0
	v_min_u32_e32 v15, 32, v11
	v_subrev_u32_e32 v11, 28, v15
	v_lshlrev_b64 v[10:11], v11, v[10:11]
	v_lshrrev_b32_e32 v14, 3, v3
	v_sub_u32_e32 v11, 29, v15
	v_and_b32_e32 v10, 7, v10
	v_cmp_gt_u32_e32 vcc, 8, v3
	v_cndmask_b32_e32 v3, v14, v11, vcc
	v_cndmask_b32_e32 v0, v0, v10, vcc
	v_lshlrev_b32_e32 v10, 16, v36
	v_lshlrev_b32_e32 v0, 20, v0
	v_and_b32_e32 v10, 0x80000000, v10
	v_lshl_add_u32 v3, v3, 23, v55
	v_or3_b32 v0, v10, v3, v0
.LBB4_3037:                             ;   in Loop: Header=BB4_2791 Depth=2
	s_or_b64 exec, exec, s[54:55]
.LBB4_3038:                             ;   in Loop: Header=BB4_2791 Depth=2
	s_or_b64 exec, exec, s[52:53]
.LBB4_3039:                             ;   in Loop: Header=BB4_2791 Depth=2
	s_or_b64 exec, exec, s[18:19]
	v_mul_f32_e32 v3, v7, v0
	v_and_b32_sdwa v0, v3, s71 dst_sel:DWORD dst_unused:UNUSED_PAD src0_sel:BYTE_3 src1_sel:DWORD
	v_and_b32_e32 v10, 0x7f800000, v3
	v_mov_b32_e32 v11, v37
	v_and_b32_e32 v36, 0x7fffff, v3
	v_or_b32_e32 v33, 0x7e, v0
	v_cmp_ne_u64_e32 vcc, s[38:39], v[10:11]
	s_and_saveexec_b64 s[18:19], vcc
	s_xor_b64 s[52:53], exec, s[18:19]
	s_cbranch_execz .LBB4_3049
; %bb.3040:                             ;   in Loop: Header=BB4_2791 Depth=2
	v_and_b32_e32 v10, 0x7fffffff, v3
	v_mov_b32_e32 v11, v37
	v_cmp_gt_u64_e32 vcc, s[40:41], v[10:11]
	s_and_saveexec_b64 s[54:55], vcc
	s_cbranch_execz .LBB4_3048
; %bb.3041:                             ;   in Loop: Header=BB4_2791 Depth=2
	v_cmp_ne_u32_e32 vcc, 0, v3
	v_mov_b32_e32 v33, 0
	s_and_saveexec_b64 s[56:57], vcc
	s_cbranch_execz .LBB4_3047
; %bb.3042:                             ;   in Loop: Header=BB4_2791 Depth=2
	v_bfe_u32 v3, v3, 23, 8
	v_sub_u32_e32 v11, 0x79, v3
	v_cmp_gt_u32_e32 vcc, s72, v3
	v_add_u32_e32 v10, 0xffffff81, v3
	v_cndmask_b32_e32 v11, 0, v11, vcc
	v_cmp_eq_u32_e32 vcc, 0, v3
	v_mov_b32_e32 v3, 0xffffff82
	v_cndmask_b32_e32 v3, v10, v3, vcc
	v_mov_b32_e32 v10, 0x78
	v_or_b32_e32 v14, 0x800000, v36
	v_cndmask_b32_e32 v15, v11, v10, vcc
	v_cndmask_b32_e32 v36, v14, v36, vcc
	v_add_u32_e32 v10, 20, v15
	v_lshlrev_b64 v[10:11], v10, -1
	v_add_u32_e32 v14, 19, v15
	v_lshrrev_b64 v[18:19], v15, v[36:37]
	v_not_b32_e32 v11, v11
	v_not_b32_e32 v10, v10
	v_lshlrev_b64 v[16:17], v14, 1
	v_lshrrev_b32_e32 v14, 23, v18
	v_and_b32_e32 v11, 0, v11
	v_and_b32_e32 v10, v36, v10
	v_add3_u32 v15, v15, v3, v14
	v_bfe_u32 v3, v18, 20, 1
	v_add_u32_e32 v3, -1, v3
	v_cmp_eq_u64_e32 vcc, v[10:11], v[16:17]
	v_cndmask_b32_e32 v3, 0, v3, vcc
	v_add_u32_e32 v3, v3, v18
	v_and_b32_e32 v3, 0xfffff, v3
	v_add_co_u32_e32 v10, vcc, v3, v18
	v_add_u32_e32 v14, 6, v15
	v_addc_co_u32_e32 v11, vcc, 0, v19, vcc
	v_cmp_ne_u32_e32 vcc, 0, v14
                                        ; implicit-def: $vgpr3
	s_and_saveexec_b64 s[18:19], vcc
	s_xor_b64 s[18:19], exec, s[18:19]
; %bb.3043:                             ;   in Loop: Header=BB4_2791 Depth=2
	v_add_u32_e32 v3, 7, v15
	v_cmp_lt_u64_e32 vcc, s[44:45], v[10:11]
	v_cndmask_b32_e32 v3, v14, v3, vcc
	v_cndmask_b32_e64 v14, 0, 1, vcc
	v_lshrrev_b64 v[10:11], v14, v[10:11]
; %bb.3044:                             ;   in Loop: Header=BB4_2791 Depth=2
	s_andn2_saveexec_b64 s[18:19], s[18:19]
; %bb.3045:                             ;   in Loop: Header=BB4_2791 Depth=2
	v_bfe_u32 v3, v10, 23, 1
; %bb.3046:                             ;   in Loop: Header=BB4_2791 Depth=2
	s_or_b64 exec, exec, s[18:19]
	v_lshrrev_b64 v[10:11], 20, v[10:11]
	v_cmp_gt_i32_e32 vcc, 16, v3
	v_cndmask_b32_e32 v11, 0, v11, vcc
	v_cndmask_b32_e32 v10, 7, v10, vcc
	v_cmp_eq_u32_e32 vcc, 0, v3
	v_min_i32_e32 v3, 15, v3
	v_lshlrev_b32_e32 v3, 3, v3
	v_cmp_eq_u64_e64 s[18:19], 0, v[10:11]
	v_and_b32_e32 v3, 0xf8, v3
	v_and_or_b32 v3, v10, 7, v3
	s_and_b64 s[18:19], vcc, s[18:19]
	v_cndmask_b32_e64 v3, v3, 0, s[18:19]
	v_or_b32_e32 v33, v3, v0
.LBB4_3047:                             ;   in Loop: Header=BB4_2791 Depth=2
	s_or_b64 exec, exec, s[56:57]
.LBB4_3048:                             ;   in Loop: Header=BB4_2791 Depth=2
	s_or_b64 exec, exec, s[54:55]
                                        ; implicit-def: $vgpr3
.LBB4_3049:                             ;   in Loop: Header=BB4_2791 Depth=2
	s_andn2_saveexec_b64 s[18:19], s[52:53]
; %bb.3050:                             ;   in Loop: Header=BB4_2791 Depth=2
	v_or_b32_sdwa v0, v3, s69 dst_sel:DWORD dst_unused:UNUSED_PAD src0_sel:BYTE_3 src1_sel:DWORD
	v_cmp_eq_u64_e32 vcc, 0, v[36:37]
	v_cndmask_b32_e32 v33, v0, v33, vcc
; %bb.3051:                             ;   in Loop: Header=BB4_2791 Depth=2
	s_or_b64 exec, exec, s[18:19]
	v_lshrrev_b32_e32 v10, 16, v13
	v_cmp_ne_u16_sdwa vcc, v10, v37 src0_sel:BYTE_0 src1_sel:DWORD
	v_mov_b32_e32 v0, 0
	s_and_saveexec_b64 s[18:19], vcc
	s_cbranch_execz .LBB4_3057
; %bb.3052:                             ;   in Loop: Header=BB4_2791 Depth=2
	v_cmp_ne_u16_sdwa vcc, v10, s71 src0_sel:BYTE_0 src1_sel:DWORD
	v_bfrev_b32_e32 v0, 1
	s_and_saveexec_b64 s[52:53], vcc
	s_cbranch_execz .LBB4_3056
; %bb.3053:                             ;   in Loop: Header=BB4_2791 Depth=2
	v_bfe_u32 v3, v13, 16, 7
	v_cmp_ne_u32_e32 vcc, s69, v3
	v_mov_b32_e32 v0, 0x7f800001
	s_and_saveexec_b64 s[54:55], vcc
	s_cbranch_execz .LBB4_3055
; %bb.3054:                             ;   in Loop: Header=BB4_2791 Depth=2
	v_and_b32_e32 v0, 7, v10
	v_ffbh_u32_e32 v14, v0
	v_min_u32_e32 v16, 32, v14
	v_lshrrev_b32_e32 v11, 3, v3
	v_subrev_u32_e32 v14, 28, v16
	v_lshlrev_b64 v[14:15], v14, v[10:11]
	v_sub_u32_e32 v15, 29, v16
	v_and_b32_e32 v14, 7, v14
	v_cmp_gt_u32_e32 vcc, 8, v3
	v_cndmask_b32_e32 v3, v11, v15, vcc
	v_cndmask_b32_e32 v0, v0, v14, vcc
	v_lshlrev_b32_e32 v10, 24, v10
	v_lshlrev_b32_e32 v0, 20, v0
	v_and_b32_e32 v10, 0x80000000, v10
	v_lshl_add_u32 v3, v3, 23, v55
	v_or3_b32 v0, v10, v3, v0
.LBB4_3055:                             ;   in Loop: Header=BB4_2791 Depth=2
	s_or_b64 exec, exec, s[54:55]
.LBB4_3056:                             ;   in Loop: Header=BB4_2791 Depth=2
	s_or_b64 exec, exec, s[52:53]
.LBB4_3057:                             ;   in Loop: Header=BB4_2791 Depth=2
	s_or_b64 exec, exec, s[18:19]
	v_mul_f32_e32 v3, v7, v0
	v_and_b32_sdwa v0, v3, s71 dst_sel:DWORD dst_unused:UNUSED_PAD src0_sel:BYTE_3 src1_sel:DWORD
	v_and_b32_e32 v10, 0x7f800000, v3
	v_mov_b32_e32 v11, v37
	v_and_b32_e32 v36, 0x7fffff, v3
	v_or_b32_e32 v20, 0x7e, v0
	v_cmp_ne_u64_e32 vcc, s[38:39], v[10:11]
	s_and_saveexec_b64 s[18:19], vcc
	s_xor_b64 s[52:53], exec, s[18:19]
	s_cbranch_execz .LBB4_3067
; %bb.3058:                             ;   in Loop: Header=BB4_2791 Depth=2
	v_and_b32_e32 v10, 0x7fffffff, v3
	v_mov_b32_e32 v11, v37
	v_cmp_gt_u64_e32 vcc, s[40:41], v[10:11]
	s_and_saveexec_b64 s[54:55], vcc
	s_cbranch_execz .LBB4_3066
; %bb.3059:                             ;   in Loop: Header=BB4_2791 Depth=2
	v_cmp_ne_u32_e32 vcc, 0, v3
	v_mov_b32_e32 v20, 0
	s_and_saveexec_b64 s[56:57], vcc
	s_cbranch_execz .LBB4_3065
; %bb.3060:                             ;   in Loop: Header=BB4_2791 Depth=2
	v_bfe_u32 v3, v3, 23, 8
	v_sub_u32_e32 v11, 0x79, v3
	v_cmp_gt_u32_e32 vcc, s72, v3
	v_add_u32_e32 v10, 0xffffff81, v3
	v_cndmask_b32_e32 v11, 0, v11, vcc
	v_cmp_eq_u32_e32 vcc, 0, v3
	v_mov_b32_e32 v3, 0xffffff82
	v_cndmask_b32_e32 v3, v10, v3, vcc
	v_mov_b32_e32 v10, 0x78
	v_or_b32_e32 v14, 0x800000, v36
	v_cndmask_b32_e32 v15, v11, v10, vcc
	v_cndmask_b32_e32 v36, v14, v36, vcc
	v_add_u32_e32 v10, 20, v15
	v_lshlrev_b64 v[10:11], v10, -1
	v_add_u32_e32 v14, 19, v15
	v_lshrrev_b64 v[18:19], v15, v[36:37]
	v_not_b32_e32 v11, v11
	v_not_b32_e32 v10, v10
	v_lshlrev_b64 v[16:17], v14, 1
	v_lshrrev_b32_e32 v14, 23, v18
	v_and_b32_e32 v11, 0, v11
	v_and_b32_e32 v10, v36, v10
	v_add3_u32 v15, v15, v3, v14
	v_bfe_u32 v3, v18, 20, 1
	v_add_u32_e32 v3, -1, v3
	v_cmp_eq_u64_e32 vcc, v[10:11], v[16:17]
	v_cndmask_b32_e32 v3, 0, v3, vcc
	v_add_u32_e32 v3, v3, v18
	v_and_b32_e32 v3, 0xfffff, v3
	v_add_co_u32_e32 v10, vcc, v3, v18
	v_add_u32_e32 v14, 6, v15
	v_addc_co_u32_e32 v11, vcc, 0, v19, vcc
	v_cmp_ne_u32_e32 vcc, 0, v14
                                        ; implicit-def: $vgpr3
	s_and_saveexec_b64 s[18:19], vcc
	s_xor_b64 s[18:19], exec, s[18:19]
; %bb.3061:                             ;   in Loop: Header=BB4_2791 Depth=2
	v_add_u32_e32 v3, 7, v15
	v_cmp_lt_u64_e32 vcc, s[44:45], v[10:11]
	v_cndmask_b32_e32 v3, v14, v3, vcc
	v_cndmask_b32_e64 v14, 0, 1, vcc
	v_lshrrev_b64 v[10:11], v14, v[10:11]
; %bb.3062:                             ;   in Loop: Header=BB4_2791 Depth=2
	s_andn2_saveexec_b64 s[18:19], s[18:19]
; %bb.3063:                             ;   in Loop: Header=BB4_2791 Depth=2
	v_bfe_u32 v3, v10, 23, 1
; %bb.3064:                             ;   in Loop: Header=BB4_2791 Depth=2
	s_or_b64 exec, exec, s[18:19]
	v_lshrrev_b64 v[10:11], 20, v[10:11]
	v_cmp_gt_i32_e32 vcc, 16, v3
	v_cndmask_b32_e32 v11, 0, v11, vcc
	v_cndmask_b32_e32 v10, 7, v10, vcc
	v_cmp_eq_u32_e32 vcc, 0, v3
	v_min_i32_e32 v3, 15, v3
	v_lshlrev_b32_e32 v3, 3, v3
	v_cmp_eq_u64_e64 s[18:19], 0, v[10:11]
	v_and_b32_e32 v3, 0xf8, v3
	v_and_or_b32 v3, v10, 7, v3
	s_and_b64 s[18:19], vcc, s[18:19]
	v_cndmask_b32_e64 v3, v3, 0, s[18:19]
	v_or_b32_e32 v20, v3, v0
.LBB4_3065:                             ;   in Loop: Header=BB4_2791 Depth=2
	s_or_b64 exec, exec, s[56:57]
.LBB4_3066:                             ;   in Loop: Header=BB4_2791 Depth=2
	s_or_b64 exec, exec, s[54:55]
                                        ; implicit-def: $vgpr3
.LBB4_3067:                             ;   in Loop: Header=BB4_2791 Depth=2
	s_andn2_saveexec_b64 s[18:19], s[52:53]
; %bb.3068:                             ;   in Loop: Header=BB4_2791 Depth=2
	v_or_b32_sdwa v0, v3, s69 dst_sel:DWORD dst_unused:UNUSED_PAD src0_sel:BYTE_3 src1_sel:DWORD
	v_cmp_eq_u64_e32 vcc, 0, v[36:37]
	v_cndmask_b32_e32 v20, v0, v20, vcc
; %bb.3069:                             ;   in Loop: Header=BB4_2791 Depth=2
	s_or_b64 exec, exec, s[18:19]
	v_cmp_lt_u64_e32 vcc, s[42:43], v[12:13]
	v_mov_b32_e32 v0, 0
	s_and_saveexec_b64 s[18:19], vcc
	s_cbranch_execz .LBB4_3075
; %bb.3070:                             ;   in Loop: Header=BB4_2791 Depth=2
	v_lshrrev_b32_e32 v10, 24, v13
	v_cmp_ne_u32_e32 vcc, s71, v10
	v_bfrev_b32_e32 v0, 1
	s_and_saveexec_b64 s[52:53], vcc
	s_cbranch_execz .LBB4_3074
; %bb.3071:                             ;   in Loop: Header=BB4_2791 Depth=2
	v_bfe_u32 v3, v13, 24, 7
	v_cmp_ne_u32_e32 vcc, s69, v3
	v_mov_b32_e32 v0, 0x7f800001
	s_and_saveexec_b64 s[54:55], vcc
	s_cbranch_execz .LBB4_3073
; %bb.3072:                             ;   in Loop: Header=BB4_2791 Depth=2
	v_and_b32_e32 v0, 7, v10
	v_ffbh_u32_e32 v12, v0
	v_min_u32_e32 v14, 32, v12
	v_lshrrev_b32_e32 v11, 3, v3
	v_subrev_u32_e32 v12, 28, v14
	v_lshlrev_b64 v[12:13], v12, v[10:11]
	v_sub_u32_e32 v13, 29, v14
	v_and_b32_e32 v12, 7, v12
	v_cmp_gt_u32_e32 vcc, 8, v3
	v_cndmask_b32_e32 v3, v11, v13, vcc
	v_cndmask_b32_e32 v0, v0, v12, vcc
	v_lshlrev_b32_e32 v10, 24, v10
	v_lshlrev_b32_e32 v0, 20, v0
	v_and_b32_e32 v10, 0x80000000, v10
	v_lshl_add_u32 v3, v3, 23, v55
	v_or3_b32 v0, v10, v3, v0
.LBB4_3073:                             ;   in Loop: Header=BB4_2791 Depth=2
	s_or_b64 exec, exec, s[54:55]
.LBB4_3074:                             ;   in Loop: Header=BB4_2791 Depth=2
	s_or_b64 exec, exec, s[52:53]
.LBB4_3075:                             ;   in Loop: Header=BB4_2791 Depth=2
	s_or_b64 exec, exec, s[18:19]
	v_mul_f32_e32 v3, v7, v0
	v_and_b32_sdwa v0, v3, s71 dst_sel:DWORD dst_unused:UNUSED_PAD src0_sel:BYTE_3 src1_sel:DWORD
	v_and_b32_e32 v10, 0x7f800000, v3
	v_mov_b32_e32 v11, v37
	v_and_b32_e32 v36, 0x7fffff, v3
	v_or_b32_e32 v18, 0x7e, v0
	v_cmp_ne_u64_e32 vcc, s[38:39], v[10:11]
	s_and_saveexec_b64 s[18:19], vcc
	s_xor_b64 s[52:53], exec, s[18:19]
	s_cbranch_execz .LBB4_3085
; %bb.3076:                             ;   in Loop: Header=BB4_2791 Depth=2
	v_and_b32_e32 v10, 0x7fffffff, v3
	v_mov_b32_e32 v11, v37
	v_cmp_gt_u64_e32 vcc, s[40:41], v[10:11]
	s_and_saveexec_b64 s[54:55], vcc
	s_cbranch_execz .LBB4_3084
; %bb.3077:                             ;   in Loop: Header=BB4_2791 Depth=2
	v_cmp_ne_u32_e32 vcc, 0, v3
	v_mov_b32_e32 v18, 0
	s_and_saveexec_b64 s[56:57], vcc
	s_cbranch_execz .LBB4_3083
; %bb.3078:                             ;   in Loop: Header=BB4_2791 Depth=2
	v_bfe_u32 v3, v3, 23, 8
	v_sub_u32_e32 v11, 0x79, v3
	v_cmp_gt_u32_e32 vcc, s72, v3
	v_add_u32_e32 v10, 0xffffff81, v3
	v_cndmask_b32_e32 v11, 0, v11, vcc
	v_cmp_eq_u32_e32 vcc, 0, v3
	v_mov_b32_e32 v3, 0xffffff82
	v_cndmask_b32_e32 v3, v10, v3, vcc
	v_mov_b32_e32 v10, 0x78
	v_or_b32_e32 v12, 0x800000, v36
	v_cndmask_b32_e32 v13, v11, v10, vcc
	v_cndmask_b32_e32 v36, v12, v36, vcc
	v_add_u32_e32 v10, 20, v13
	v_lshlrev_b64 v[10:11], v10, -1
	v_add_u32_e32 v12, 19, v13
	v_lshrrev_b64 v[16:17], v13, v[36:37]
	v_not_b32_e32 v11, v11
	v_not_b32_e32 v10, v10
	v_lshlrev_b64 v[14:15], v12, 1
	v_lshrrev_b32_e32 v12, 23, v16
	v_and_b32_e32 v11, 0, v11
	v_and_b32_e32 v10, v36, v10
	v_add3_u32 v13, v13, v3, v12
	v_bfe_u32 v3, v16, 20, 1
	v_add_u32_e32 v3, -1, v3
	v_cmp_eq_u64_e32 vcc, v[10:11], v[14:15]
	v_cndmask_b32_e32 v3, 0, v3, vcc
	v_add_u32_e32 v3, v3, v16
	v_and_b32_e32 v3, 0xfffff, v3
	v_add_co_u32_e32 v10, vcc, v3, v16
	v_add_u32_e32 v12, 6, v13
	v_addc_co_u32_e32 v11, vcc, 0, v17, vcc
	v_cmp_ne_u32_e32 vcc, 0, v12
                                        ; implicit-def: $vgpr3
	s_and_saveexec_b64 s[18:19], vcc
	s_xor_b64 s[18:19], exec, s[18:19]
; %bb.3079:                             ;   in Loop: Header=BB4_2791 Depth=2
	v_add_u32_e32 v3, 7, v13
	v_cmp_lt_u64_e32 vcc, s[44:45], v[10:11]
	v_cndmask_b32_e32 v3, v12, v3, vcc
	v_cndmask_b32_e64 v12, 0, 1, vcc
	v_lshrrev_b64 v[10:11], v12, v[10:11]
; %bb.3080:                             ;   in Loop: Header=BB4_2791 Depth=2
	s_andn2_saveexec_b64 s[18:19], s[18:19]
; %bb.3081:                             ;   in Loop: Header=BB4_2791 Depth=2
	v_bfe_u32 v3, v10, 23, 1
; %bb.3082:                             ;   in Loop: Header=BB4_2791 Depth=2
	s_or_b64 exec, exec, s[18:19]
	v_lshrrev_b64 v[10:11], 20, v[10:11]
	v_cmp_gt_i32_e32 vcc, 16, v3
	v_cndmask_b32_e32 v11, 0, v11, vcc
	v_cndmask_b32_e32 v10, 7, v10, vcc
	v_cmp_eq_u32_e32 vcc, 0, v3
	v_min_i32_e32 v3, 15, v3
	v_lshlrev_b32_e32 v3, 3, v3
	v_cmp_eq_u64_e64 s[18:19], 0, v[10:11]
	v_and_b32_e32 v3, 0xf8, v3
	v_and_or_b32 v3, v10, 7, v3
	s_and_b64 s[18:19], vcc, s[18:19]
	v_cndmask_b32_e64 v3, v3, 0, s[18:19]
	v_or_b32_e32 v18, v3, v0
.LBB4_3083:                             ;   in Loop: Header=BB4_2791 Depth=2
	s_or_b64 exec, exec, s[56:57]
.LBB4_3084:                             ;   in Loop: Header=BB4_2791 Depth=2
	s_or_b64 exec, exec, s[54:55]
                                        ; implicit-def: $vgpr3
.LBB4_3085:                             ;   in Loop: Header=BB4_2791 Depth=2
	s_andn2_saveexec_b64 s[18:19], s[52:53]
; %bb.3086:                             ;   in Loop: Header=BB4_2791 Depth=2
	v_or_b32_sdwa v0, v3, s69 dst_sel:DWORD dst_unused:UNUSED_PAD src0_sel:BYTE_3 src1_sel:DWORD
	v_cmp_eq_u64_e32 vcc, 0, v[36:37]
	v_cndmask_b32_e32 v18, v0, v18, vcc
; %bb.3087:                             ;   in Loop: Header=BB4_2791 Depth=2
	s_or_b64 exec, exec, s[18:19]
	global_load_dwordx4 v[10:13], v[40:41], off offset:1024 glc slc
	v_mov_b32_e32 v0, 0
	s_waitcnt vmcnt(0)
	v_cmp_ne_u16_sdwa vcc, v10, v37 src0_sel:BYTE_0 src1_sel:DWORD
	s_and_saveexec_b64 s[18:19], vcc
	s_cbranch_execz .LBB4_3093
; %bb.3088:                             ;   in Loop: Header=BB4_2791 Depth=2
	v_cmp_ne_u16_sdwa vcc, v10, s71 src0_sel:BYTE_0 src1_sel:DWORD
	v_bfrev_b32_e32 v0, 1
	s_and_saveexec_b64 s[52:53], vcc
	s_cbranch_execz .LBB4_3092
; %bb.3089:                             ;   in Loop: Header=BB4_2791 Depth=2
	v_and_b32_e32 v3, 0x7f, v10
	v_cmp_ne_u32_e32 vcc, s69, v3
	v_mov_b32_e32 v0, 0x7f800001
	s_and_saveexec_b64 s[54:55], vcc
	s_cbranch_execz .LBB4_3091
; %bb.3090:                             ;   in Loop: Header=BB4_2791 Depth=2
	v_and_b32_e32 v0, 7, v10
	v_ffbh_u32_e32 v0, v0
	v_min_u32_e32 v0, 32, v0
	v_subrev_u32_e32 v15, 28, v0
	v_cmp_gt_u32_e32 vcc, 8, v3
	v_lshrrev_b32_e32 v14, 3, v3
	v_sub_u32_e32 v0, 29, v0
	v_cndmask_b32_e32 v3, 0, v15, vcc
	v_cndmask_b32_e32 v0, v14, v0, vcc
	v_lshlrev_b64 v[14:15], v3, v[10:11]
	v_lshlrev_b32_e32 v3, 20, v14
	v_lshlrev_b32_e32 v14, 24, v10
	v_and_b32_e32 v3, 0x700000, v3
	v_and_b32_e32 v14, 0x80000000, v14
	v_lshl_add_u32 v0, v0, 23, v55
	v_or3_b32 v0, v14, v0, v3
.LBB4_3091:                             ;   in Loop: Header=BB4_2791 Depth=2
	s_or_b64 exec, exec, s[54:55]
.LBB4_3092:                             ;   in Loop: Header=BB4_2791 Depth=2
	s_or_b64 exec, exec, s[52:53]
.LBB4_3093:                             ;   in Loop: Header=BB4_2791 Depth=2
	s_or_b64 exec, exec, s[18:19]
	v_mul_f32_e32 v3, v7, v0
	v_and_b32_sdwa v0, v3, s71 dst_sel:DWORD dst_unused:UNUSED_PAD src0_sel:BYTE_3 src1_sel:DWORD
	v_and_b32_e32 v14, 0x7f800000, v3
	v_mov_b32_e32 v15, v37
	v_and_b32_e32 v36, 0x7fffff, v3
	v_or_b32_e32 v52, 0x7e, v0
	v_cmp_ne_u64_e32 vcc, s[38:39], v[14:15]
	s_and_saveexec_b64 s[18:19], vcc
	s_xor_b64 s[52:53], exec, s[18:19]
	s_cbranch_execz .LBB4_3103
; %bb.3094:                             ;   in Loop: Header=BB4_2791 Depth=2
	v_and_b32_e32 v14, 0x7fffffff, v3
	v_mov_b32_e32 v15, v37
	v_cmp_gt_u64_e32 vcc, s[40:41], v[14:15]
	s_and_saveexec_b64 s[54:55], vcc
	s_cbranch_execz .LBB4_3102
; %bb.3095:                             ;   in Loop: Header=BB4_2791 Depth=2
	v_cmp_ne_u32_e32 vcc, 0, v3
	v_mov_b32_e32 v52, 0
	s_and_saveexec_b64 s[56:57], vcc
	s_cbranch_execz .LBB4_3101
; %bb.3096:                             ;   in Loop: Header=BB4_2791 Depth=2
	v_bfe_u32 v3, v3, 23, 8
	v_sub_u32_e32 v15, 0x79, v3
	v_cmp_gt_u32_e32 vcc, s72, v3
	v_add_u32_e32 v14, 0xffffff81, v3
	v_cndmask_b32_e32 v15, 0, v15, vcc
	v_cmp_eq_u32_e32 vcc, 0, v3
	v_mov_b32_e32 v3, 0xffffff82
	v_cndmask_b32_e32 v3, v14, v3, vcc
	v_mov_b32_e32 v14, 0x78
	v_or_b32_e32 v16, 0x800000, v36
	v_cndmask_b32_e32 v17, v15, v14, vcc
	v_cndmask_b32_e32 v36, v16, v36, vcc
	v_add_u32_e32 v14, 20, v17
	v_lshlrev_b64 v[14:15], v14, -1
	v_add_u32_e32 v16, 19, v17
	v_lshrrev_b64 v[34:35], v17, v[36:37]
	v_not_b32_e32 v15, v15
	v_not_b32_e32 v14, v14
	v_lshlrev_b64 v[26:27], v16, 1
	v_lshrrev_b32_e32 v16, 23, v34
	v_and_b32_e32 v15, 0, v15
	v_and_b32_e32 v14, v36, v14
	v_add3_u32 v17, v17, v3, v16
	v_bfe_u32 v3, v34, 20, 1
	v_add_u32_e32 v3, -1, v3
	v_cmp_eq_u64_e32 vcc, v[14:15], v[26:27]
	v_cndmask_b32_e32 v3, 0, v3, vcc
	v_add_u32_e32 v3, v3, v34
	v_and_b32_e32 v3, 0xfffff, v3
	v_add_co_u32_e32 v14, vcc, v3, v34
	v_add_u32_e32 v16, 6, v17
	v_addc_co_u32_e32 v15, vcc, 0, v35, vcc
	v_cmp_ne_u32_e32 vcc, 0, v16
                                        ; implicit-def: $vgpr3
	s_and_saveexec_b64 s[18:19], vcc
	s_xor_b64 s[18:19], exec, s[18:19]
; %bb.3097:                             ;   in Loop: Header=BB4_2791 Depth=2
	v_add_u32_e32 v3, 7, v17
	v_cmp_lt_u64_e32 vcc, s[44:45], v[14:15]
	v_cndmask_b32_e32 v3, v16, v3, vcc
	v_cndmask_b32_e64 v16, 0, 1, vcc
	v_lshrrev_b64 v[14:15], v16, v[14:15]
; %bb.3098:                             ;   in Loop: Header=BB4_2791 Depth=2
	s_andn2_saveexec_b64 s[18:19], s[18:19]
; %bb.3099:                             ;   in Loop: Header=BB4_2791 Depth=2
	v_bfe_u32 v3, v14, 23, 1
; %bb.3100:                             ;   in Loop: Header=BB4_2791 Depth=2
	s_or_b64 exec, exec, s[18:19]
	v_lshrrev_b64 v[14:15], 20, v[14:15]
	v_cmp_gt_i32_e32 vcc, 16, v3
	v_cndmask_b32_e32 v15, 0, v15, vcc
	v_cndmask_b32_e32 v14, 7, v14, vcc
	v_cmp_eq_u32_e32 vcc, 0, v3
	v_min_i32_e32 v3, 15, v3
	v_cmp_eq_u64_e64 s[18:19], 0, v[14:15]
	v_lshlrev_b32_e32 v3, 3, v3
	v_and_or_b32 v3, v14, 7, v3
	s_and_b64 s[18:19], vcc, s[18:19]
	v_cndmask_b32_e64 v3, v3, 0, s[18:19]
	v_or_b32_e32 v52, v3, v0
.LBB4_3101:                             ;   in Loop: Header=BB4_2791 Depth=2
	s_or_b64 exec, exec, s[56:57]
.LBB4_3102:                             ;   in Loop: Header=BB4_2791 Depth=2
	s_or_b64 exec, exec, s[54:55]
                                        ; implicit-def: $vgpr3
.LBB4_3103:                             ;   in Loop: Header=BB4_2791 Depth=2
	s_andn2_saveexec_b64 s[18:19], s[52:53]
; %bb.3104:                             ;   in Loop: Header=BB4_2791 Depth=2
	v_or_b32_sdwa v0, v3, s69 dst_sel:DWORD dst_unused:UNUSED_PAD src0_sel:BYTE_3 src1_sel:DWORD
	v_cmp_eq_u64_e32 vcc, 0, v[36:37]
	v_cndmask_b32_e32 v52, v0, v52, vcc
; %bb.3105:                             ;   in Loop: Header=BB4_2791 Depth=2
	s_or_b64 exec, exec, s[18:19]
	v_lshrrev_b16_e32 v14, 8, v10
	v_cmp_ne_u16_e32 vcc, 0, v14
	v_mov_b32_e32 v0, 0
	s_and_saveexec_b64 s[18:19], vcc
	s_cbranch_execz .LBB4_3111
; %bb.3106:                             ;   in Loop: Header=BB4_2791 Depth=2
	v_cmp_ne_u16_e32 vcc, s71, v14
	v_bfrev_b32_e32 v0, 1
	s_and_saveexec_b64 s[52:53], vcc
	s_cbranch_execz .LBB4_3110
; %bb.3107:                             ;   in Loop: Header=BB4_2791 Depth=2
	v_and_b32_e32 v3, 0x7f, v14
	v_cmp_ne_u32_e32 vcc, s69, v3
	v_mov_b32_e32 v0, 0x7f800001
	s_and_saveexec_b64 s[54:55], vcc
	s_cbranch_execz .LBB4_3109
; %bb.3108:                             ;   in Loop: Header=BB4_2791 Depth=2
	v_and_b32_e32 v0, 7, v14
	v_ffbh_u32_e32 v15, v0
	v_min_u32_e32 v17, 32, v15
	v_subrev_u32_e32 v15, 28, v17
	v_lshlrev_b64 v[14:15], v15, v[14:15]
	v_lshrrev_b32_e32 v16, 3, v3
	v_sub_u32_e32 v15, 29, v17
	v_and_b32_e32 v14, 7, v14
	v_cmp_gt_u32_e32 vcc, 8, v3
	v_cndmask_b32_e32 v3, v16, v15, vcc
	v_cndmask_b32_e32 v0, v0, v14, vcc
	v_lshlrev_b32_e32 v14, 16, v10
	v_lshlrev_b32_e32 v0, 20, v0
	v_and_b32_e32 v14, 0x80000000, v14
	v_lshl_add_u32 v3, v3, 23, v55
	v_or3_b32 v0, v14, v3, v0
.LBB4_3109:                             ;   in Loop: Header=BB4_2791 Depth=2
	s_or_b64 exec, exec, s[54:55]
.LBB4_3110:                             ;   in Loop: Header=BB4_2791 Depth=2
	s_or_b64 exec, exec, s[52:53]
.LBB4_3111:                             ;   in Loop: Header=BB4_2791 Depth=2
	s_or_b64 exec, exec, s[18:19]
	v_mul_f32_e32 v3, v7, v0
	v_and_b32_sdwa v0, v3, s71 dst_sel:DWORD dst_unused:UNUSED_PAD src0_sel:BYTE_3 src1_sel:DWORD
	v_and_b32_e32 v14, 0x7f800000, v3
	v_mov_b32_e32 v15, v37
	v_and_b32_e32 v36, 0x7fffff, v3
	v_or_b32_e32 v35, 0x7e, v0
	v_cmp_ne_u64_e32 vcc, s[38:39], v[14:15]
	s_and_saveexec_b64 s[18:19], vcc
	s_xor_b64 s[52:53], exec, s[18:19]
	s_cbranch_execz .LBB4_3121
; %bb.3112:                             ;   in Loop: Header=BB4_2791 Depth=2
	v_and_b32_e32 v14, 0x7fffffff, v3
	v_mov_b32_e32 v15, v37
	v_cmp_gt_u64_e32 vcc, s[40:41], v[14:15]
	s_and_saveexec_b64 s[54:55], vcc
	s_cbranch_execz .LBB4_3120
; %bb.3113:                             ;   in Loop: Header=BB4_2791 Depth=2
	v_cmp_ne_u32_e32 vcc, 0, v3
	v_mov_b32_e32 v35, 0
	s_and_saveexec_b64 s[56:57], vcc
	s_cbranch_execz .LBB4_3119
; %bb.3114:                             ;   in Loop: Header=BB4_2791 Depth=2
	v_bfe_u32 v3, v3, 23, 8
	v_sub_u32_e32 v15, 0x79, v3
	v_cmp_gt_u32_e32 vcc, s72, v3
	v_add_u32_e32 v14, 0xffffff81, v3
	v_cndmask_b32_e32 v15, 0, v15, vcc
	v_cmp_eq_u32_e32 vcc, 0, v3
	v_mov_b32_e32 v3, 0xffffff82
	v_cndmask_b32_e32 v3, v14, v3, vcc
	v_mov_b32_e32 v14, 0x78
	v_or_b32_e32 v16, 0x800000, v36
	v_cndmask_b32_e32 v17, v15, v14, vcc
	v_cndmask_b32_e32 v36, v16, v36, vcc
	v_add_u32_e32 v14, 20, v17
	v_lshlrev_b64 v[14:15], v14, -1
	v_add_u32_e32 v16, 19, v17
	v_lshrrev_b64 v[34:35], v17, v[36:37]
	v_not_b32_e32 v15, v15
	v_not_b32_e32 v14, v14
	v_lshlrev_b64 v[26:27], v16, 1
	v_lshrrev_b32_e32 v16, 23, v34
	v_and_b32_e32 v15, 0, v15
	v_and_b32_e32 v14, v36, v14
	v_add3_u32 v17, v17, v3, v16
	v_bfe_u32 v3, v34, 20, 1
	v_add_u32_e32 v3, -1, v3
	v_cmp_eq_u64_e32 vcc, v[14:15], v[26:27]
	v_cndmask_b32_e32 v3, 0, v3, vcc
	v_add_u32_e32 v3, v3, v34
	v_and_b32_e32 v3, 0xfffff, v3
	v_add_co_u32_e32 v14, vcc, v3, v34
	v_add_u32_e32 v16, 6, v17
	v_addc_co_u32_e32 v15, vcc, 0, v35, vcc
	v_cmp_ne_u32_e32 vcc, 0, v16
                                        ; implicit-def: $vgpr3
	s_and_saveexec_b64 s[18:19], vcc
	s_xor_b64 s[18:19], exec, s[18:19]
; %bb.3115:                             ;   in Loop: Header=BB4_2791 Depth=2
	v_add_u32_e32 v3, 7, v17
	v_cmp_lt_u64_e32 vcc, s[44:45], v[14:15]
	v_cndmask_b32_e32 v3, v16, v3, vcc
	v_cndmask_b32_e64 v16, 0, 1, vcc
	v_lshrrev_b64 v[14:15], v16, v[14:15]
; %bb.3116:                             ;   in Loop: Header=BB4_2791 Depth=2
	s_andn2_saveexec_b64 s[18:19], s[18:19]
; %bb.3117:                             ;   in Loop: Header=BB4_2791 Depth=2
	v_bfe_u32 v3, v14, 23, 1
; %bb.3118:                             ;   in Loop: Header=BB4_2791 Depth=2
	s_or_b64 exec, exec, s[18:19]
	v_lshrrev_b64 v[14:15], 20, v[14:15]
	v_cmp_gt_i32_e32 vcc, 16, v3
	v_cndmask_b32_e32 v15, 0, v15, vcc
	v_cndmask_b32_e32 v14, 7, v14, vcc
	v_cmp_eq_u32_e32 vcc, 0, v3
	v_min_i32_e32 v3, 15, v3
	v_cmp_eq_u64_e64 s[18:19], 0, v[14:15]
	v_lshlrev_b32_e32 v3, 3, v3
	v_and_or_b32 v3, v14, 7, v3
	s_and_b64 s[18:19], vcc, s[18:19]
	v_cndmask_b32_e64 v3, v3, 0, s[18:19]
	v_or_b32_e32 v35, v3, v0
.LBB4_3119:                             ;   in Loop: Header=BB4_2791 Depth=2
	s_or_b64 exec, exec, s[56:57]
.LBB4_3120:                             ;   in Loop: Header=BB4_2791 Depth=2
	s_or_b64 exec, exec, s[54:55]
                                        ; implicit-def: $vgpr3
.LBB4_3121:                             ;   in Loop: Header=BB4_2791 Depth=2
	s_andn2_saveexec_b64 s[18:19], s[52:53]
; %bb.3122:                             ;   in Loop: Header=BB4_2791 Depth=2
	v_or_b32_sdwa v0, v3, s69 dst_sel:DWORD dst_unused:UNUSED_PAD src0_sel:BYTE_3 src1_sel:DWORD
	v_cmp_eq_u64_e32 vcc, 0, v[36:37]
	v_cndmask_b32_e32 v35, v0, v35, vcc
; %bb.3123:                             ;   in Loop: Header=BB4_2791 Depth=2
	s_or_b64 exec, exec, s[18:19]
	v_lshrrev_b32_e32 v14, 16, v10
	v_cmp_ne_u16_sdwa vcc, v14, v37 src0_sel:BYTE_0 src1_sel:DWORD
	v_mov_b32_e32 v0, 0
	s_and_saveexec_b64 s[18:19], vcc
	s_cbranch_execz .LBB4_3129
; %bb.3124:                             ;   in Loop: Header=BB4_2791 Depth=2
	v_cmp_ne_u16_sdwa vcc, v14, s71 src0_sel:BYTE_0 src1_sel:DWORD
	v_bfrev_b32_e32 v0, 1
	s_and_saveexec_b64 s[52:53], vcc
	s_cbranch_execz .LBB4_3128
; %bb.3125:                             ;   in Loop: Header=BB4_2791 Depth=2
	v_bfe_u32 v3, v10, 16, 7
	v_cmp_ne_u32_e32 vcc, s69, v3
	v_mov_b32_e32 v0, 0x7f800001
	s_and_saveexec_b64 s[54:55], vcc
	s_cbranch_execz .LBB4_3127
; %bb.3126:                             ;   in Loop: Header=BB4_2791 Depth=2
	v_and_b32_e32 v0, 7, v14
	v_ffbh_u32_e32 v16, v0
	v_min_u32_e32 v19, 32, v16
	v_lshrrev_b32_e32 v15, 3, v3
	v_subrev_u32_e32 v16, 28, v19
	v_lshlrev_b64 v[16:17], v16, v[14:15]
	v_sub_u32_e32 v17, 29, v19
	v_and_b32_e32 v16, 7, v16
	v_cmp_gt_u32_e32 vcc, 8, v3
	v_cndmask_b32_e32 v3, v15, v17, vcc
	v_cndmask_b32_e32 v0, v0, v16, vcc
	v_lshlrev_b32_e32 v14, 24, v14
	v_lshlrev_b32_e32 v0, 20, v0
	v_and_b32_e32 v14, 0x80000000, v14
	v_lshl_add_u32 v3, v3, 23, v55
	v_or3_b32 v0, v14, v3, v0
.LBB4_3127:                             ;   in Loop: Header=BB4_2791 Depth=2
	s_or_b64 exec, exec, s[54:55]
.LBB4_3128:                             ;   in Loop: Header=BB4_2791 Depth=2
	s_or_b64 exec, exec, s[52:53]
.LBB4_3129:                             ;   in Loop: Header=BB4_2791 Depth=2
	s_or_b64 exec, exec, s[18:19]
	v_mul_f32_e32 v3, v7, v0
	v_and_b32_sdwa v0, v3, s71 dst_sel:DWORD dst_unused:UNUSED_PAD src0_sel:BYTE_3 src1_sel:DWORD
	v_and_b32_e32 v14, 0x7f800000, v3
	v_mov_b32_e32 v15, v37
	v_and_b32_e32 v36, 0x7fffff, v3
	v_or_b32_e32 v56, 0x7e, v0
	v_cmp_ne_u64_e32 vcc, s[38:39], v[14:15]
	s_and_saveexec_b64 s[18:19], vcc
	s_xor_b64 s[52:53], exec, s[18:19]
	s_cbranch_execz .LBB4_3139
; %bb.3130:                             ;   in Loop: Header=BB4_2791 Depth=2
	v_and_b32_e32 v14, 0x7fffffff, v3
	v_mov_b32_e32 v15, v37
	v_cmp_gt_u64_e32 vcc, s[40:41], v[14:15]
	s_and_saveexec_b64 s[54:55], vcc
	s_cbranch_execz .LBB4_3138
; %bb.3131:                             ;   in Loop: Header=BB4_2791 Depth=2
	v_cmp_ne_u32_e32 vcc, 0, v3
	v_mov_b32_e32 v56, 0
	s_and_saveexec_b64 s[56:57], vcc
	s_cbranch_execz .LBB4_3137
; %bb.3132:                             ;   in Loop: Header=BB4_2791 Depth=2
	v_bfe_u32 v3, v3, 23, 8
	v_sub_u32_e32 v15, 0x79, v3
	v_cmp_gt_u32_e32 vcc, s72, v3
	v_add_u32_e32 v14, 0xffffff81, v3
	v_cndmask_b32_e32 v15, 0, v15, vcc
	v_cmp_eq_u32_e32 vcc, 0, v3
	v_mov_b32_e32 v3, 0xffffff82
	v_cndmask_b32_e32 v3, v14, v3, vcc
	v_mov_b32_e32 v14, 0x78
	v_or_b32_e32 v16, 0x800000, v36
	v_cndmask_b32_e32 v17, v15, v14, vcc
	v_cndmask_b32_e32 v36, v16, v36, vcc
	v_add_u32_e32 v14, 20, v17
	v_lshlrev_b64 v[14:15], v14, -1
	v_add_u32_e32 v16, 19, v17
	v_lshrrev_b64 v[48:49], v17, v[36:37]
	v_not_b32_e32 v15, v15
	v_not_b32_e32 v14, v14
	v_lshlrev_b64 v[26:27], v16, 1
	v_lshrrev_b32_e32 v16, 23, v48
	v_and_b32_e32 v15, 0, v15
	v_and_b32_e32 v14, v36, v14
	v_add3_u32 v17, v17, v3, v16
	v_bfe_u32 v3, v48, 20, 1
	v_add_u32_e32 v3, -1, v3
	v_cmp_eq_u64_e32 vcc, v[14:15], v[26:27]
	v_cndmask_b32_e32 v3, 0, v3, vcc
	v_add_u32_e32 v3, v3, v48
	v_and_b32_e32 v3, 0xfffff, v3
	v_add_co_u32_e32 v14, vcc, v3, v48
	v_add_u32_e32 v16, 6, v17
	v_addc_co_u32_e32 v15, vcc, 0, v49, vcc
	v_cmp_ne_u32_e32 vcc, 0, v16
                                        ; implicit-def: $vgpr3
	s_and_saveexec_b64 s[18:19], vcc
	s_xor_b64 s[18:19], exec, s[18:19]
; %bb.3133:                             ;   in Loop: Header=BB4_2791 Depth=2
	v_add_u32_e32 v3, 7, v17
	v_cmp_lt_u64_e32 vcc, s[44:45], v[14:15]
	v_cndmask_b32_e32 v3, v16, v3, vcc
	v_cndmask_b32_e64 v16, 0, 1, vcc
	v_lshrrev_b64 v[14:15], v16, v[14:15]
; %bb.3134:                             ;   in Loop: Header=BB4_2791 Depth=2
	s_andn2_saveexec_b64 s[18:19], s[18:19]
; %bb.3135:                             ;   in Loop: Header=BB4_2791 Depth=2
	v_bfe_u32 v3, v14, 23, 1
; %bb.3136:                             ;   in Loop: Header=BB4_2791 Depth=2
	s_or_b64 exec, exec, s[18:19]
	v_lshrrev_b64 v[14:15], 20, v[14:15]
	v_cmp_gt_i32_e32 vcc, 16, v3
	v_cndmask_b32_e32 v15, 0, v15, vcc
	v_cndmask_b32_e32 v14, 7, v14, vcc
	v_cmp_eq_u32_e32 vcc, 0, v3
	v_min_i32_e32 v3, 15, v3
	v_cmp_eq_u64_e64 s[18:19], 0, v[14:15]
	v_lshlrev_b32_e32 v3, 3, v3
	v_and_or_b32 v3, v14, 7, v3
	s_and_b64 s[18:19], vcc, s[18:19]
	v_cndmask_b32_e64 v3, v3, 0, s[18:19]
	v_or_b32_e32 v56, v3, v0
.LBB4_3137:                             ;   in Loop: Header=BB4_2791 Depth=2
	s_or_b64 exec, exec, s[56:57]
.LBB4_3138:                             ;   in Loop: Header=BB4_2791 Depth=2
	s_or_b64 exec, exec, s[54:55]
                                        ; implicit-def: $vgpr3
.LBB4_3139:                             ;   in Loop: Header=BB4_2791 Depth=2
	s_andn2_saveexec_b64 s[18:19], s[52:53]
; %bb.3140:                             ;   in Loop: Header=BB4_2791 Depth=2
	v_or_b32_sdwa v0, v3, s69 dst_sel:DWORD dst_unused:UNUSED_PAD src0_sel:BYTE_3 src1_sel:DWORD
	v_cmp_eq_u64_e32 vcc, 0, v[36:37]
	v_cndmask_b32_e32 v56, v0, v56, vcc
; %bb.3141:                             ;   in Loop: Header=BB4_2791 Depth=2
	s_or_b64 exec, exec, s[18:19]
	v_cmp_lt_u32_e32 vcc, s43, v10
	v_mov_b32_e32 v0, 0
	s_and_saveexec_b64 s[18:19], vcc
	s_cbranch_execz .LBB4_3147
; %bb.3142:                             ;   in Loop: Header=BB4_2791 Depth=2
	v_lshrrev_b32_e32 v14, 24, v10
	v_cmp_ne_u32_e32 vcc, s71, v14
	v_bfrev_b32_e32 v0, 1
	s_and_saveexec_b64 s[52:53], vcc
	s_cbranch_execz .LBB4_3146
; %bb.3143:                             ;   in Loop: Header=BB4_2791 Depth=2
	v_bfe_u32 v3, v10, 24, 7
	v_cmp_ne_u32_e32 vcc, s69, v3
	v_mov_b32_e32 v0, 0x7f800001
	s_and_saveexec_b64 s[54:55], vcc
	s_cbranch_execz .LBB4_3145
; %bb.3144:                             ;   in Loop: Header=BB4_2791 Depth=2
	v_and_b32_e32 v0, 7, v14
	v_ffbh_u32_e32 v16, v0
	v_min_u32_e32 v19, 32, v16
	v_lshrrev_b32_e32 v15, 3, v3
	v_subrev_u32_e32 v16, 28, v19
	v_lshlrev_b64 v[16:17], v16, v[14:15]
	v_sub_u32_e32 v17, 29, v19
	v_and_b32_e32 v16, 7, v16
	v_cmp_gt_u32_e32 vcc, 8, v3
	v_cndmask_b32_e32 v3, v15, v17, vcc
	v_cndmask_b32_e32 v0, v0, v16, vcc
	v_lshlrev_b32_e32 v14, 24, v14
	v_lshlrev_b32_e32 v0, 20, v0
	v_and_b32_e32 v14, 0x80000000, v14
	v_lshl_add_u32 v3, v3, 23, v55
	v_or3_b32 v0, v14, v3, v0
.LBB4_3145:                             ;   in Loop: Header=BB4_2791 Depth=2
	s_or_b64 exec, exec, s[54:55]
.LBB4_3146:                             ;   in Loop: Header=BB4_2791 Depth=2
	s_or_b64 exec, exec, s[52:53]
.LBB4_3147:                             ;   in Loop: Header=BB4_2791 Depth=2
	s_or_b64 exec, exec, s[18:19]
	v_mul_f32_e32 v3, v7, v0
	v_and_b32_sdwa v0, v3, s71 dst_sel:DWORD dst_unused:UNUSED_PAD src0_sel:BYTE_3 src1_sel:DWORD
	v_and_b32_e32 v14, 0x7f800000, v3
	v_mov_b32_e32 v15, v37
	v_and_b32_e32 v36, 0x7fffff, v3
	v_or_b32_e32 v30, 0x7e, v0
	v_cmp_ne_u64_e32 vcc, s[38:39], v[14:15]
	s_and_saveexec_b64 s[18:19], vcc
	s_xor_b64 s[52:53], exec, s[18:19]
	s_cbranch_execz .LBB4_3157
; %bb.3148:                             ;   in Loop: Header=BB4_2791 Depth=2
	v_and_b32_e32 v14, 0x7fffffff, v3
	v_mov_b32_e32 v15, v37
	v_cmp_gt_u64_e32 vcc, s[40:41], v[14:15]
	s_and_saveexec_b64 s[54:55], vcc
	s_cbranch_execz .LBB4_3156
; %bb.3149:                             ;   in Loop: Header=BB4_2791 Depth=2
	v_cmp_ne_u32_e32 vcc, 0, v3
	v_mov_b32_e32 v30, 0
	s_and_saveexec_b64 s[56:57], vcc
	s_cbranch_execz .LBB4_3155
; %bb.3150:                             ;   in Loop: Header=BB4_2791 Depth=2
	v_bfe_u32 v3, v3, 23, 8
	v_sub_u32_e32 v15, 0x79, v3
	v_cmp_gt_u32_e32 vcc, s72, v3
	v_add_u32_e32 v14, 0xffffff81, v3
	v_cndmask_b32_e32 v15, 0, v15, vcc
	v_cmp_eq_u32_e32 vcc, 0, v3
	v_mov_b32_e32 v3, 0xffffff82
	v_cndmask_b32_e32 v3, v14, v3, vcc
	v_mov_b32_e32 v14, 0x78
	v_or_b32_e32 v16, 0x800000, v36
	v_cndmask_b32_e32 v17, v15, v14, vcc
	v_cndmask_b32_e32 v36, v16, v36, vcc
	v_add_u32_e32 v14, 20, v17
	v_lshlrev_b64 v[14:15], v14, -1
	v_add_u32_e32 v16, 19, v17
	v_lshrrev_b64 v[48:49], v17, v[36:37]
	v_not_b32_e32 v15, v15
	v_not_b32_e32 v14, v14
	v_lshlrev_b64 v[26:27], v16, 1
	v_lshrrev_b32_e32 v16, 23, v48
	v_and_b32_e32 v15, 0, v15
	v_and_b32_e32 v14, v36, v14
	v_add3_u32 v17, v17, v3, v16
	v_bfe_u32 v3, v48, 20, 1
	v_add_u32_e32 v3, -1, v3
	v_cmp_eq_u64_e32 vcc, v[14:15], v[26:27]
	v_cndmask_b32_e32 v3, 0, v3, vcc
	v_add_u32_e32 v3, v3, v48
	v_and_b32_e32 v3, 0xfffff, v3
	v_add_co_u32_e32 v14, vcc, v3, v48
	v_add_u32_e32 v16, 6, v17
	v_addc_co_u32_e32 v15, vcc, 0, v49, vcc
	v_cmp_ne_u32_e32 vcc, 0, v16
                                        ; implicit-def: $vgpr3
	s_and_saveexec_b64 s[18:19], vcc
	s_xor_b64 s[18:19], exec, s[18:19]
; %bb.3151:                             ;   in Loop: Header=BB4_2791 Depth=2
	v_add_u32_e32 v3, 7, v17
	v_cmp_lt_u64_e32 vcc, s[44:45], v[14:15]
	v_cndmask_b32_e32 v3, v16, v3, vcc
	v_cndmask_b32_e64 v16, 0, 1, vcc
	v_lshrrev_b64 v[14:15], v16, v[14:15]
; %bb.3152:                             ;   in Loop: Header=BB4_2791 Depth=2
	s_andn2_saveexec_b64 s[18:19], s[18:19]
; %bb.3153:                             ;   in Loop: Header=BB4_2791 Depth=2
	v_bfe_u32 v3, v14, 23, 1
; %bb.3154:                             ;   in Loop: Header=BB4_2791 Depth=2
	s_or_b64 exec, exec, s[18:19]
	v_lshrrev_b64 v[14:15], 20, v[14:15]
	v_cmp_gt_i32_e32 vcc, 16, v3
	v_cndmask_b32_e32 v15, 0, v15, vcc
	v_cndmask_b32_e32 v14, 7, v14, vcc
	v_cmp_eq_u32_e32 vcc, 0, v3
	v_min_i32_e32 v3, 15, v3
	v_cmp_eq_u64_e64 s[18:19], 0, v[14:15]
	v_lshlrev_b32_e32 v3, 3, v3
	v_and_or_b32 v3, v14, 7, v3
	s_and_b64 s[18:19], vcc, s[18:19]
	v_cndmask_b32_e64 v3, v3, 0, s[18:19]
	v_or_b32_e32 v30, v3, v0
.LBB4_3155:                             ;   in Loop: Header=BB4_2791 Depth=2
	s_or_b64 exec, exec, s[56:57]
.LBB4_3156:                             ;   in Loop: Header=BB4_2791 Depth=2
	s_or_b64 exec, exec, s[54:55]
                                        ; implicit-def: $vgpr3
.LBB4_3157:                             ;   in Loop: Header=BB4_2791 Depth=2
	s_andn2_saveexec_b64 s[18:19], s[52:53]
; %bb.3158:                             ;   in Loop: Header=BB4_2791 Depth=2
	v_or_b32_sdwa v0, v3, s69 dst_sel:DWORD dst_unused:UNUSED_PAD src0_sel:BYTE_3 src1_sel:DWORD
	v_cmp_eq_u64_e32 vcc, 0, v[36:37]
	v_cndmask_b32_e32 v30, v0, v30, vcc
; %bb.3159:                             ;   in Loop: Header=BB4_2791 Depth=2
	s_or_b64 exec, exec, s[18:19]
	v_mov_b32_e32 v36, v11
	v_cmp_ne_u16_sdwa vcc, v11, v37 src0_sel:BYTE_0 src1_sel:DWORD
	v_mov_b32_e32 v0, 0
	s_and_saveexec_b64 s[18:19], vcc
	s_cbranch_execz .LBB4_3165
; %bb.3160:                             ;   in Loop: Header=BB4_2791 Depth=2
	v_cmp_ne_u16_sdwa vcc, v11, s71 src0_sel:BYTE_0 src1_sel:DWORD
	v_bfrev_b32_e32 v0, 1
	s_and_saveexec_b64 s[52:53], vcc
	s_cbranch_execz .LBB4_3164
; %bb.3161:                             ;   in Loop: Header=BB4_2791 Depth=2
	v_and_b32_e32 v3, 0x7f, v11
	v_cmp_ne_u32_e32 vcc, s69, v3
	v_mov_b32_e32 v0, 0x7f800001
	s_and_saveexec_b64 s[54:55], vcc
	s_cbranch_execz .LBB4_3163
; %bb.3162:                             ;   in Loop: Header=BB4_2791 Depth=2
	v_and_b32_e32 v0, 7, v11
	v_ffbh_u32_e32 v0, v0
	v_min_u32_e32 v0, 32, v0
	v_subrev_u32_e32 v15, 28, v0
	v_cmp_gt_u32_e32 vcc, 8, v3
	v_lshrrev_b32_e32 v14, 3, v3
	v_sub_u32_e32 v0, 29, v0
	v_cndmask_b32_e32 v3, 0, v15, vcc
	v_cndmask_b32_e32 v0, v14, v0, vcc
	v_lshlrev_b64 v[14:15], v3, v[36:37]
	v_lshlrev_b32_e32 v3, 20, v14
	v_lshlrev_b32_e32 v14, 24, v36
	v_and_b32_e32 v3, 0x700000, v3
	v_and_b32_e32 v14, 0x80000000, v14
	v_lshl_add_u32 v0, v0, 23, v55
	v_or3_b32 v0, v14, v0, v3
.LBB4_3163:                             ;   in Loop: Header=BB4_2791 Depth=2
	s_or_b64 exec, exec, s[54:55]
.LBB4_3164:                             ;   in Loop: Header=BB4_2791 Depth=2
	s_or_b64 exec, exec, s[52:53]
.LBB4_3165:                             ;   in Loop: Header=BB4_2791 Depth=2
	s_or_b64 exec, exec, s[18:19]
	v_mul_f32_e32 v3, v7, v0
	v_and_b32_sdwa v0, v3, s71 dst_sel:DWORD dst_unused:UNUSED_PAD src0_sel:BYTE_3 src1_sel:DWORD
	v_and_b32_e32 v16, 0x7f800000, v3
	v_mov_b32_e32 v17, v37
	v_and_b32_e32 v14, 0x7fffff, v3
	v_mov_b32_e32 v15, v37
	v_or_b32_e32 v48, 0x7e, v0
	v_cmp_ne_u64_e32 vcc, s[38:39], v[16:17]
	s_and_saveexec_b64 s[18:19], vcc
	s_xor_b64 s[52:53], exec, s[18:19]
	s_cbranch_execz .LBB4_3175
; %bb.3166:                             ;   in Loop: Header=BB4_2791 Depth=2
	v_and_b32_e32 v16, 0x7fffffff, v3
	v_mov_b32_e32 v17, v37
	v_cmp_gt_u64_e32 vcc, s[40:41], v[16:17]
	s_and_saveexec_b64 s[54:55], vcc
	s_cbranch_execz .LBB4_3174
; %bb.3167:                             ;   in Loop: Header=BB4_2791 Depth=2
	v_cmp_ne_u32_e32 vcc, 0, v3
	v_mov_b32_e32 v48, 0
	s_and_saveexec_b64 s[56:57], vcc
	s_cbranch_execz .LBB4_3173
; %bb.3168:                             ;   in Loop: Header=BB4_2791 Depth=2
	v_bfe_u32 v3, v3, 23, 8
	v_sub_u32_e32 v17, 0x79, v3
	v_cmp_gt_u32_e32 vcc, s72, v3
	v_add_u32_e32 v16, 0xffffff81, v3
	v_cndmask_b32_e32 v17, 0, v17, vcc
	v_cmp_eq_u32_e32 vcc, 0, v3
	v_mov_b32_e32 v3, 0xffffff82
	v_cndmask_b32_e32 v3, v16, v3, vcc
	v_mov_b32_e32 v16, 0x78
	v_cndmask_b32_e32 v21, v17, v16, vcc
	v_add_u32_e32 v16, 20, v21
	v_or_b32_e32 v19, 0x800000, v14
	v_lshlrev_b64 v[16:17], v16, -1
	v_cndmask_b32_e32 v14, v19, v14, vcc
	v_not_b32_e32 v16, v16
	v_and_b32_e32 v26, v14, v16
	v_add_u32_e32 v16, 19, v21
	v_lshrrev_b64 v[14:15], v21, v[14:15]
	v_not_b32_e32 v17, v17
	v_lshlrev_b64 v[48:49], v16, 1
	v_lshrrev_b32_e32 v16, 23, v14
	v_and_b32_e32 v27, 0, v17
	v_add3_u32 v17, v21, v3, v16
	v_bfe_u32 v3, v14, 20, 1
	v_add_u32_e32 v3, -1, v3
	v_cmp_eq_u64_e32 vcc, v[26:27], v[48:49]
	v_cndmask_b32_e32 v3, 0, v3, vcc
	v_add_u32_e32 v3, v3, v14
	v_and_b32_e32 v3, 0xfffff, v3
	v_add_co_u32_e32 v14, vcc, v3, v14
	v_add_u32_e32 v16, 6, v17
	v_addc_co_u32_e32 v15, vcc, 0, v15, vcc
	v_cmp_ne_u32_e32 vcc, 0, v16
                                        ; implicit-def: $vgpr3
	s_and_saveexec_b64 s[18:19], vcc
	s_xor_b64 s[18:19], exec, s[18:19]
; %bb.3169:                             ;   in Loop: Header=BB4_2791 Depth=2
	v_add_u32_e32 v3, 7, v17
	v_cmp_lt_u64_e32 vcc, s[44:45], v[14:15]
	v_cndmask_b32_e32 v3, v16, v3, vcc
	v_cndmask_b32_e64 v16, 0, 1, vcc
	v_lshrrev_b64 v[14:15], v16, v[14:15]
; %bb.3170:                             ;   in Loop: Header=BB4_2791 Depth=2
	s_andn2_saveexec_b64 s[18:19], s[18:19]
; %bb.3171:                             ;   in Loop: Header=BB4_2791 Depth=2
	v_bfe_u32 v3, v14, 23, 1
; %bb.3172:                             ;   in Loop: Header=BB4_2791 Depth=2
	s_or_b64 exec, exec, s[18:19]
	v_lshrrev_b64 v[14:15], 20, v[14:15]
	v_cmp_gt_i32_e32 vcc, 16, v3
	v_cndmask_b32_e32 v15, 0, v15, vcc
	v_cndmask_b32_e32 v14, 7, v14, vcc
	v_cmp_eq_u32_e32 vcc, 0, v3
	v_min_i32_e32 v3, 15, v3
	v_cmp_eq_u64_e64 s[18:19], 0, v[14:15]
	v_lshlrev_b32_e32 v3, 3, v3
	v_and_or_b32 v3, v14, 7, v3
	s_and_b64 s[18:19], vcc, s[18:19]
	v_cndmask_b32_e64 v3, v3, 0, s[18:19]
	v_or_b32_e32 v48, v3, v0
.LBB4_3173:                             ;   in Loop: Header=BB4_2791 Depth=2
	s_or_b64 exec, exec, s[56:57]
.LBB4_3174:                             ;   in Loop: Header=BB4_2791 Depth=2
	s_or_b64 exec, exec, s[54:55]
                                        ; implicit-def: $vgpr3
                                        ; implicit-def: $vgpr14_vgpr15
.LBB4_3175:                             ;   in Loop: Header=BB4_2791 Depth=2
	s_andn2_saveexec_b64 s[18:19], s[52:53]
; %bb.3176:                             ;   in Loop: Header=BB4_2791 Depth=2
	v_or_b32_sdwa v0, v3, s69 dst_sel:DWORD dst_unused:UNUSED_PAD src0_sel:BYTE_3 src1_sel:DWORD
	v_cmp_eq_u64_e32 vcc, 0, v[14:15]
	v_cndmask_b32_e32 v48, v0, v48, vcc
; %bb.3177:                             ;   in Loop: Header=BB4_2791 Depth=2
	s_or_b64 exec, exec, s[18:19]
	v_lshrrev_b16_e32 v14, 8, v36
	v_cmp_ne_u16_e32 vcc, 0, v14
	v_mov_b32_e32 v0, 0
	s_and_saveexec_b64 s[18:19], vcc
	s_cbranch_execz .LBB4_3183
; %bb.3178:                             ;   in Loop: Header=BB4_2791 Depth=2
	v_cmp_ne_u16_e32 vcc, s71, v14
	v_bfrev_b32_e32 v0, 1
	s_and_saveexec_b64 s[52:53], vcc
	s_cbranch_execz .LBB4_3182
; %bb.3179:                             ;   in Loop: Header=BB4_2791 Depth=2
	v_and_b32_e32 v3, 0x7f, v14
	v_cmp_ne_u32_e32 vcc, s69, v3
	v_mov_b32_e32 v0, 0x7f800001
	s_and_saveexec_b64 s[54:55], vcc
	s_cbranch_execz .LBB4_3181
; %bb.3180:                             ;   in Loop: Header=BB4_2791 Depth=2
	v_and_b32_e32 v0, 7, v14
	v_ffbh_u32_e32 v15, v0
	v_min_u32_e32 v17, 32, v15
	v_subrev_u32_e32 v15, 28, v17
	v_lshlrev_b64 v[14:15], v15, v[14:15]
	v_lshrrev_b32_e32 v16, 3, v3
	v_sub_u32_e32 v15, 29, v17
	v_and_b32_e32 v14, 7, v14
	v_cmp_gt_u32_e32 vcc, 8, v3
	v_cndmask_b32_e32 v3, v16, v15, vcc
	v_cndmask_b32_e32 v0, v0, v14, vcc
	v_lshlrev_b32_e32 v14, 16, v36
	v_lshlrev_b32_e32 v0, 20, v0
	v_and_b32_e32 v14, 0x80000000, v14
	v_lshl_add_u32 v3, v3, 23, v55
	v_or3_b32 v0, v14, v3, v0
.LBB4_3181:                             ;   in Loop: Header=BB4_2791 Depth=2
	s_or_b64 exec, exec, s[54:55]
.LBB4_3182:                             ;   in Loop: Header=BB4_2791 Depth=2
	s_or_b64 exec, exec, s[52:53]
.LBB4_3183:                             ;   in Loop: Header=BB4_2791 Depth=2
	s_or_b64 exec, exec, s[18:19]
	v_mul_f32_e32 v3, v7, v0
	v_and_b32_sdwa v0, v3, s71 dst_sel:DWORD dst_unused:UNUSED_PAD src0_sel:BYTE_3 src1_sel:DWORD
	v_and_b32_e32 v14, 0x7f800000, v3
	v_mov_b32_e32 v15, v37
	v_and_b32_e32 v36, 0x7fffff, v3
	v_or_b32_e32 v21, 0x7e, v0
	v_cmp_ne_u64_e32 vcc, s[38:39], v[14:15]
	s_and_saveexec_b64 s[18:19], vcc
	s_xor_b64 s[52:53], exec, s[18:19]
	s_cbranch_execz .LBB4_3193
; %bb.3184:                             ;   in Loop: Header=BB4_2791 Depth=2
	v_and_b32_e32 v14, 0x7fffffff, v3
	v_mov_b32_e32 v15, v37
	v_cmp_gt_u64_e32 vcc, s[40:41], v[14:15]
	s_and_saveexec_b64 s[54:55], vcc
	s_cbranch_execz .LBB4_3192
; %bb.3185:                             ;   in Loop: Header=BB4_2791 Depth=2
	v_cmp_ne_u32_e32 vcc, 0, v3
	v_mov_b32_e32 v21, 0
	s_and_saveexec_b64 s[56:57], vcc
	s_cbranch_execz .LBB4_3191
; %bb.3186:                             ;   in Loop: Header=BB4_2791 Depth=2
	v_bfe_u32 v3, v3, 23, 8
	v_sub_u32_e32 v15, 0x79, v3
	v_cmp_gt_u32_e32 vcc, s72, v3
	v_add_u32_e32 v14, 0xffffff81, v3
	v_cndmask_b32_e32 v15, 0, v15, vcc
	v_cmp_eq_u32_e32 vcc, 0, v3
	v_mov_b32_e32 v3, 0xffffff82
	v_cndmask_b32_e32 v3, v14, v3, vcc
	v_mov_b32_e32 v14, 0x78
	v_or_b32_e32 v16, 0x800000, v36
	v_cndmask_b32_e32 v17, v15, v14, vcc
	v_cndmask_b32_e32 v36, v16, v36, vcc
	v_add_u32_e32 v14, 20, v17
	v_lshlrev_b64 v[14:15], v14, -1
	v_add_u32_e32 v16, 19, v17
	v_lshrrev_b64 v[46:47], v17, v[36:37]
	v_not_b32_e32 v15, v15
	v_not_b32_e32 v14, v14
	v_lshlrev_b64 v[26:27], v16, 1
	v_lshrrev_b32_e32 v16, 23, v46
	v_and_b32_e32 v15, 0, v15
	v_and_b32_e32 v14, v36, v14
	v_add3_u32 v17, v17, v3, v16
	v_bfe_u32 v3, v46, 20, 1
	v_add_u32_e32 v3, -1, v3
	v_cmp_eq_u64_e32 vcc, v[14:15], v[26:27]
	v_cndmask_b32_e32 v3, 0, v3, vcc
	v_add_u32_e32 v3, v3, v46
	v_and_b32_e32 v3, 0xfffff, v3
	v_add_co_u32_e32 v14, vcc, v3, v46
	v_add_u32_e32 v16, 6, v17
	v_addc_co_u32_e32 v15, vcc, 0, v47, vcc
	v_cmp_ne_u32_e32 vcc, 0, v16
                                        ; implicit-def: $vgpr3
	s_and_saveexec_b64 s[18:19], vcc
	s_xor_b64 s[18:19], exec, s[18:19]
; %bb.3187:                             ;   in Loop: Header=BB4_2791 Depth=2
	v_add_u32_e32 v3, 7, v17
	v_cmp_lt_u64_e32 vcc, s[44:45], v[14:15]
	v_cndmask_b32_e32 v3, v16, v3, vcc
	v_cndmask_b32_e64 v16, 0, 1, vcc
	v_lshrrev_b64 v[14:15], v16, v[14:15]
; %bb.3188:                             ;   in Loop: Header=BB4_2791 Depth=2
	s_andn2_saveexec_b64 s[18:19], s[18:19]
; %bb.3189:                             ;   in Loop: Header=BB4_2791 Depth=2
	v_bfe_u32 v3, v14, 23, 1
; %bb.3190:                             ;   in Loop: Header=BB4_2791 Depth=2
	s_or_b64 exec, exec, s[18:19]
	v_lshrrev_b64 v[14:15], 20, v[14:15]
	v_cmp_gt_i32_e32 vcc, 16, v3
	v_cndmask_b32_e32 v15, 0, v15, vcc
	v_cndmask_b32_e32 v14, 7, v14, vcc
	v_cmp_eq_u32_e32 vcc, 0, v3
	v_min_i32_e32 v3, 15, v3
	v_lshlrev_b32_e32 v3, 3, v3
	v_cmp_eq_u64_e64 s[18:19], 0, v[14:15]
	v_and_b32_e32 v3, 0xf8, v3
	v_and_or_b32 v3, v14, 7, v3
	s_and_b64 s[18:19], vcc, s[18:19]
	v_cndmask_b32_e64 v3, v3, 0, s[18:19]
	v_or_b32_e32 v21, v3, v0
.LBB4_3191:                             ;   in Loop: Header=BB4_2791 Depth=2
	s_or_b64 exec, exec, s[56:57]
.LBB4_3192:                             ;   in Loop: Header=BB4_2791 Depth=2
	s_or_b64 exec, exec, s[54:55]
                                        ; implicit-def: $vgpr3
.LBB4_3193:                             ;   in Loop: Header=BB4_2791 Depth=2
	s_andn2_saveexec_b64 s[18:19], s[52:53]
; %bb.3194:                             ;   in Loop: Header=BB4_2791 Depth=2
	v_or_b32_sdwa v0, v3, s69 dst_sel:DWORD dst_unused:UNUSED_PAD src0_sel:BYTE_3 src1_sel:DWORD
	v_cmp_eq_u64_e32 vcc, 0, v[36:37]
	v_cndmask_b32_e32 v21, v0, v21, vcc
; %bb.3195:                             ;   in Loop: Header=BB4_2791 Depth=2
	s_or_b64 exec, exec, s[18:19]
	v_lshrrev_b32_e32 v14, 16, v11
	v_cmp_ne_u16_sdwa vcc, v14, v37 src0_sel:BYTE_0 src1_sel:DWORD
	v_mov_b32_e32 v0, 0
	s_and_saveexec_b64 s[18:19], vcc
	s_cbranch_execz .LBB4_3201
; %bb.3196:                             ;   in Loop: Header=BB4_2791 Depth=2
	v_cmp_ne_u16_sdwa vcc, v14, s71 src0_sel:BYTE_0 src1_sel:DWORD
	v_bfrev_b32_e32 v0, 1
	s_and_saveexec_b64 s[52:53], vcc
	s_cbranch_execz .LBB4_3200
; %bb.3197:                             ;   in Loop: Header=BB4_2791 Depth=2
	v_bfe_u32 v3, v11, 16, 7
	v_cmp_ne_u32_e32 vcc, s69, v3
	v_mov_b32_e32 v0, 0x7f800001
	s_and_saveexec_b64 s[54:55], vcc
	s_cbranch_execz .LBB4_3199
; %bb.3198:                             ;   in Loop: Header=BB4_2791 Depth=2
	v_and_b32_e32 v0, 7, v14
	v_ffbh_u32_e32 v16, v0
	v_min_u32_e32 v19, 32, v16
	v_lshrrev_b32_e32 v15, 3, v3
	v_subrev_u32_e32 v16, 28, v19
	v_lshlrev_b64 v[16:17], v16, v[14:15]
	v_sub_u32_e32 v17, 29, v19
	v_and_b32_e32 v16, 7, v16
	v_cmp_gt_u32_e32 vcc, 8, v3
	v_cndmask_b32_e32 v3, v15, v17, vcc
	v_cndmask_b32_e32 v0, v0, v16, vcc
	v_lshlrev_b32_e32 v14, 24, v14
	v_lshlrev_b32_e32 v0, 20, v0
	v_and_b32_e32 v14, 0x80000000, v14
	v_lshl_add_u32 v3, v3, 23, v55
	v_or3_b32 v0, v14, v3, v0
.LBB4_3199:                             ;   in Loop: Header=BB4_2791 Depth=2
	s_or_b64 exec, exec, s[54:55]
.LBB4_3200:                             ;   in Loop: Header=BB4_2791 Depth=2
	s_or_b64 exec, exec, s[52:53]
.LBB4_3201:                             ;   in Loop: Header=BB4_2791 Depth=2
	s_or_b64 exec, exec, s[18:19]
	v_mul_f32_e32 v3, v7, v0
	v_and_b32_sdwa v0, v3, s71 dst_sel:DWORD dst_unused:UNUSED_PAD src0_sel:BYTE_3 src1_sel:DWORD
	v_and_b32_e32 v14, 0x7f800000, v3
	v_mov_b32_e32 v15, v37
	v_and_b32_e32 v36, 0x7fffff, v3
	v_or_b32_e32 v34, 0x7e, v0
	v_cmp_ne_u64_e32 vcc, s[38:39], v[14:15]
	s_and_saveexec_b64 s[18:19], vcc
	s_xor_b64 s[52:53], exec, s[18:19]
	s_cbranch_execz .LBB4_3211
; %bb.3202:                             ;   in Loop: Header=BB4_2791 Depth=2
	v_and_b32_e32 v14, 0x7fffffff, v3
	v_mov_b32_e32 v15, v37
	v_cmp_gt_u64_e32 vcc, s[40:41], v[14:15]
	s_and_saveexec_b64 s[54:55], vcc
	s_cbranch_execz .LBB4_3210
; %bb.3203:                             ;   in Loop: Header=BB4_2791 Depth=2
	v_cmp_ne_u32_e32 vcc, 0, v3
	v_mov_b32_e32 v34, 0
	s_and_saveexec_b64 s[56:57], vcc
	s_cbranch_execz .LBB4_3209
; %bb.3204:                             ;   in Loop: Header=BB4_2791 Depth=2
	v_bfe_u32 v3, v3, 23, 8
	v_sub_u32_e32 v15, 0x79, v3
	v_cmp_gt_u32_e32 vcc, s72, v3
	v_add_u32_e32 v14, 0xffffff81, v3
	v_cndmask_b32_e32 v15, 0, v15, vcc
	v_cmp_eq_u32_e32 vcc, 0, v3
	v_mov_b32_e32 v3, 0xffffff82
	v_cndmask_b32_e32 v3, v14, v3, vcc
	v_mov_b32_e32 v14, 0x78
	v_or_b32_e32 v16, 0x800000, v36
	v_cndmask_b32_e32 v17, v15, v14, vcc
	v_cndmask_b32_e32 v36, v16, v36, vcc
	v_add_u32_e32 v14, 20, v17
	v_lshlrev_b64 v[14:15], v14, -1
	v_add_u32_e32 v16, 19, v17
	v_lshrrev_b64 v[46:47], v17, v[36:37]
	v_not_b32_e32 v15, v15
	v_not_b32_e32 v14, v14
	v_lshlrev_b64 v[26:27], v16, 1
	v_lshrrev_b32_e32 v16, 23, v46
	v_and_b32_e32 v15, 0, v15
	v_and_b32_e32 v14, v36, v14
	v_add3_u32 v17, v17, v3, v16
	v_bfe_u32 v3, v46, 20, 1
	v_add_u32_e32 v3, -1, v3
	v_cmp_eq_u64_e32 vcc, v[14:15], v[26:27]
	v_cndmask_b32_e32 v3, 0, v3, vcc
	v_add_u32_e32 v3, v3, v46
	v_and_b32_e32 v3, 0xfffff, v3
	v_add_co_u32_e32 v14, vcc, v3, v46
	v_add_u32_e32 v16, 6, v17
	v_addc_co_u32_e32 v15, vcc, 0, v47, vcc
	v_cmp_ne_u32_e32 vcc, 0, v16
                                        ; implicit-def: $vgpr3
	s_and_saveexec_b64 s[18:19], vcc
	s_xor_b64 s[18:19], exec, s[18:19]
; %bb.3205:                             ;   in Loop: Header=BB4_2791 Depth=2
	v_add_u32_e32 v3, 7, v17
	v_cmp_lt_u64_e32 vcc, s[44:45], v[14:15]
	v_cndmask_b32_e32 v3, v16, v3, vcc
	v_cndmask_b32_e64 v16, 0, 1, vcc
	v_lshrrev_b64 v[14:15], v16, v[14:15]
; %bb.3206:                             ;   in Loop: Header=BB4_2791 Depth=2
	s_andn2_saveexec_b64 s[18:19], s[18:19]
; %bb.3207:                             ;   in Loop: Header=BB4_2791 Depth=2
	v_bfe_u32 v3, v14, 23, 1
; %bb.3208:                             ;   in Loop: Header=BB4_2791 Depth=2
	s_or_b64 exec, exec, s[18:19]
	v_lshrrev_b64 v[14:15], 20, v[14:15]
	v_cmp_gt_i32_e32 vcc, 16, v3
	v_cndmask_b32_e32 v15, 0, v15, vcc
	v_cndmask_b32_e32 v14, 7, v14, vcc
	v_cmp_eq_u32_e32 vcc, 0, v3
	v_min_i32_e32 v3, 15, v3
	v_lshlrev_b32_e32 v3, 3, v3
	v_cmp_eq_u64_e64 s[18:19], 0, v[14:15]
	v_and_b32_e32 v3, 0xf8, v3
	v_and_or_b32 v3, v14, 7, v3
	s_and_b64 s[18:19], vcc, s[18:19]
	v_cndmask_b32_e64 v3, v3, 0, s[18:19]
	v_or_b32_e32 v34, v3, v0
.LBB4_3209:                             ;   in Loop: Header=BB4_2791 Depth=2
	s_or_b64 exec, exec, s[56:57]
.LBB4_3210:                             ;   in Loop: Header=BB4_2791 Depth=2
	s_or_b64 exec, exec, s[54:55]
                                        ; implicit-def: $vgpr3
.LBB4_3211:                             ;   in Loop: Header=BB4_2791 Depth=2
	s_andn2_saveexec_b64 s[18:19], s[52:53]
; %bb.3212:                             ;   in Loop: Header=BB4_2791 Depth=2
	v_or_b32_sdwa v0, v3, s69 dst_sel:DWORD dst_unused:UNUSED_PAD src0_sel:BYTE_3 src1_sel:DWORD
	v_cmp_eq_u64_e32 vcc, 0, v[36:37]
	v_cndmask_b32_e32 v34, v0, v34, vcc
; %bb.3213:                             ;   in Loop: Header=BB4_2791 Depth=2
	s_or_b64 exec, exec, s[18:19]
	v_cmp_lt_u64_e32 vcc, s[42:43], v[10:11]
	v_mov_b32_e32 v0, 0
	s_and_saveexec_b64 s[18:19], vcc
	s_cbranch_execz .LBB4_3219
; %bb.3214:                             ;   in Loop: Header=BB4_2791 Depth=2
	v_lshrrev_b32_e32 v10, 24, v11
	v_cmp_ne_u32_e32 vcc, s71, v10
	v_bfrev_b32_e32 v0, 1
	s_and_saveexec_b64 s[52:53], vcc
	s_cbranch_execz .LBB4_3218
; %bb.3215:                             ;   in Loop: Header=BB4_2791 Depth=2
	v_bfe_u32 v3, v11, 24, 7
	v_cmp_ne_u32_e32 vcc, s69, v3
	v_mov_b32_e32 v0, 0x7f800001
	s_and_saveexec_b64 s[54:55], vcc
	s_cbranch_execz .LBB4_3217
; %bb.3216:                             ;   in Loop: Header=BB4_2791 Depth=2
	v_and_b32_e32 v0, 7, v10
	v_ffbh_u32_e32 v14, v0
	v_min_u32_e32 v16, 32, v14
	v_lshrrev_b32_e32 v11, 3, v3
	v_subrev_u32_e32 v14, 28, v16
	v_lshlrev_b64 v[14:15], v14, v[10:11]
	v_sub_u32_e32 v15, 29, v16
	v_and_b32_e32 v14, 7, v14
	v_cmp_gt_u32_e32 vcc, 8, v3
	v_cndmask_b32_e32 v3, v11, v15, vcc
	v_cndmask_b32_e32 v0, v0, v14, vcc
	v_lshlrev_b32_e32 v10, 24, v10
	v_lshlrev_b32_e32 v0, 20, v0
	v_and_b32_e32 v10, 0x80000000, v10
	v_lshl_add_u32 v3, v3, 23, v55
	v_or3_b32 v0, v10, v3, v0
.LBB4_3217:                             ;   in Loop: Header=BB4_2791 Depth=2
	s_or_b64 exec, exec, s[54:55]
.LBB4_3218:                             ;   in Loop: Header=BB4_2791 Depth=2
	s_or_b64 exec, exec, s[52:53]
.LBB4_3219:                             ;   in Loop: Header=BB4_2791 Depth=2
	s_or_b64 exec, exec, s[18:19]
	v_mul_f32_e32 v3, v7, v0
	v_and_b32_sdwa v0, v3, s71 dst_sel:DWORD dst_unused:UNUSED_PAD src0_sel:BYTE_3 src1_sel:DWORD
	v_and_b32_e32 v10, 0x7f800000, v3
	v_mov_b32_e32 v11, v37
	v_and_b32_e32 v36, 0x7fffff, v3
	v_or_b32_e32 v32, 0x7e, v0
	v_cmp_ne_u64_e32 vcc, s[38:39], v[10:11]
	s_and_saveexec_b64 s[18:19], vcc
	s_xor_b64 s[52:53], exec, s[18:19]
	s_cbranch_execz .LBB4_3229
; %bb.3220:                             ;   in Loop: Header=BB4_2791 Depth=2
	v_and_b32_e32 v10, 0x7fffffff, v3
	v_mov_b32_e32 v11, v37
	v_cmp_gt_u64_e32 vcc, s[40:41], v[10:11]
	s_and_saveexec_b64 s[54:55], vcc
	s_cbranch_execz .LBB4_3228
; %bb.3221:                             ;   in Loop: Header=BB4_2791 Depth=2
	v_cmp_ne_u32_e32 vcc, 0, v3
	v_mov_b32_e32 v32, 0
	s_and_saveexec_b64 s[56:57], vcc
	s_cbranch_execz .LBB4_3227
; %bb.3222:                             ;   in Loop: Header=BB4_2791 Depth=2
	v_bfe_u32 v3, v3, 23, 8
	v_sub_u32_e32 v11, 0x79, v3
	v_cmp_gt_u32_e32 vcc, s72, v3
	v_add_u32_e32 v10, 0xffffff81, v3
	v_cndmask_b32_e32 v11, 0, v11, vcc
	v_cmp_eq_u32_e32 vcc, 0, v3
	v_mov_b32_e32 v3, 0xffffff82
	v_cndmask_b32_e32 v3, v10, v3, vcc
	v_mov_b32_e32 v10, 0x78
	v_or_b32_e32 v14, 0x800000, v36
	v_cndmask_b32_e32 v15, v11, v10, vcc
	v_cndmask_b32_e32 v36, v14, v36, vcc
	v_add_u32_e32 v10, 20, v15
	v_lshlrev_b64 v[10:11], v10, -1
	v_add_u32_e32 v14, 19, v15
	v_lshrrev_b64 v[26:27], v15, v[36:37]
	v_not_b32_e32 v11, v11
	v_not_b32_e32 v10, v10
	v_lshlrev_b64 v[16:17], v14, 1
	v_lshrrev_b32_e32 v14, 23, v26
	v_and_b32_e32 v11, 0, v11
	v_and_b32_e32 v10, v36, v10
	v_add3_u32 v15, v15, v3, v14
	v_bfe_u32 v3, v26, 20, 1
	v_add_u32_e32 v3, -1, v3
	v_cmp_eq_u64_e32 vcc, v[10:11], v[16:17]
	v_cndmask_b32_e32 v3, 0, v3, vcc
	v_add_u32_e32 v3, v3, v26
	v_and_b32_e32 v3, 0xfffff, v3
	v_add_co_u32_e32 v10, vcc, v3, v26
	v_add_u32_e32 v14, 6, v15
	v_addc_co_u32_e32 v11, vcc, 0, v27, vcc
	v_cmp_ne_u32_e32 vcc, 0, v14
                                        ; implicit-def: $vgpr3
	s_and_saveexec_b64 s[18:19], vcc
	s_xor_b64 s[18:19], exec, s[18:19]
; %bb.3223:                             ;   in Loop: Header=BB4_2791 Depth=2
	v_add_u32_e32 v3, 7, v15
	v_cmp_lt_u64_e32 vcc, s[44:45], v[10:11]
	v_cndmask_b32_e32 v3, v14, v3, vcc
	v_cndmask_b32_e64 v14, 0, 1, vcc
	v_lshrrev_b64 v[10:11], v14, v[10:11]
; %bb.3224:                             ;   in Loop: Header=BB4_2791 Depth=2
	s_andn2_saveexec_b64 s[18:19], s[18:19]
; %bb.3225:                             ;   in Loop: Header=BB4_2791 Depth=2
	v_bfe_u32 v3, v10, 23, 1
; %bb.3226:                             ;   in Loop: Header=BB4_2791 Depth=2
	s_or_b64 exec, exec, s[18:19]
	v_lshrrev_b64 v[10:11], 20, v[10:11]
	v_cmp_gt_i32_e32 vcc, 16, v3
	v_cndmask_b32_e32 v11, 0, v11, vcc
	v_cndmask_b32_e32 v10, 7, v10, vcc
	v_cmp_eq_u32_e32 vcc, 0, v3
	v_min_i32_e32 v3, 15, v3
	v_lshlrev_b32_e32 v3, 3, v3
	v_cmp_eq_u64_e64 s[18:19], 0, v[10:11]
	v_and_b32_e32 v3, 0xf8, v3
	v_and_or_b32 v3, v10, 7, v3
	s_and_b64 s[18:19], vcc, s[18:19]
	v_cndmask_b32_e64 v3, v3, 0, s[18:19]
	v_or_b32_e32 v32, v3, v0
.LBB4_3227:                             ;   in Loop: Header=BB4_2791 Depth=2
	s_or_b64 exec, exec, s[56:57]
.LBB4_3228:                             ;   in Loop: Header=BB4_2791 Depth=2
	s_or_b64 exec, exec, s[54:55]
                                        ; implicit-def: $vgpr3
.LBB4_3229:                             ;   in Loop: Header=BB4_2791 Depth=2
	s_andn2_saveexec_b64 s[18:19], s[52:53]
; %bb.3230:                             ;   in Loop: Header=BB4_2791 Depth=2
	v_or_b32_sdwa v0, v3, s69 dst_sel:DWORD dst_unused:UNUSED_PAD src0_sel:BYTE_3 src1_sel:DWORD
	v_cmp_eq_u64_e32 vcc, 0, v[36:37]
	v_cndmask_b32_e32 v32, v0, v32, vcc
; %bb.3231:                             ;   in Loop: Header=BB4_2791 Depth=2
	s_or_b64 exec, exec, s[18:19]
	v_cmp_ne_u16_sdwa vcc, v12, v37 src0_sel:BYTE_0 src1_sel:DWORD
	v_mov_b32_e32 v0, 0
	s_and_saveexec_b64 s[18:19], vcc
	s_cbranch_execz .LBB4_3237
; %bb.3232:                             ;   in Loop: Header=BB4_2791 Depth=2
	v_cmp_ne_u16_sdwa vcc, v12, s71 src0_sel:BYTE_0 src1_sel:DWORD
	v_bfrev_b32_e32 v0, 1
	s_and_saveexec_b64 s[52:53], vcc
	s_cbranch_execz .LBB4_3236
; %bb.3233:                             ;   in Loop: Header=BB4_2791 Depth=2
	v_and_b32_e32 v3, 0x7f, v12
	v_cmp_ne_u32_e32 vcc, s69, v3
	v_mov_b32_e32 v0, 0x7f800001
	s_and_saveexec_b64 s[54:55], vcc
	s_cbranch_execz .LBB4_3235
; %bb.3234:                             ;   in Loop: Header=BB4_2791 Depth=2
	v_and_b32_e32 v0, 7, v12
	v_ffbh_u32_e32 v0, v0
	v_min_u32_e32 v0, 32, v0
	v_subrev_u32_e32 v11, 28, v0
	v_cmp_gt_u32_e32 vcc, 8, v3
	v_lshrrev_b32_e32 v10, 3, v3
	v_sub_u32_e32 v0, 29, v0
	v_cndmask_b32_e32 v3, 0, v11, vcc
	v_cndmask_b32_e32 v0, v10, v0, vcc
	v_lshlrev_b64 v[10:11], v3, v[12:13]
	v_lshlrev_b32_e32 v3, 20, v10
	v_lshlrev_b32_e32 v10, 24, v12
	v_and_b32_e32 v3, 0x700000, v3
	v_and_b32_e32 v10, 0x80000000, v10
	v_lshl_add_u32 v0, v0, 23, v55
	v_or3_b32 v0, v10, v0, v3
.LBB4_3235:                             ;   in Loop: Header=BB4_2791 Depth=2
	s_or_b64 exec, exec, s[54:55]
.LBB4_3236:                             ;   in Loop: Header=BB4_2791 Depth=2
	s_or_b64 exec, exec, s[52:53]
.LBB4_3237:                             ;   in Loop: Header=BB4_2791 Depth=2
	s_or_b64 exec, exec, s[18:19]
	v_mul_f32_e32 v3, v7, v0
	v_and_b32_sdwa v0, v3, s71 dst_sel:DWORD dst_unused:UNUSED_PAD src0_sel:BYTE_3 src1_sel:DWORD
	v_and_b32_e32 v10, 0x7f800000, v3
	v_mov_b32_e32 v11, v37
	v_and_b32_e32 v36, 0x7fffff, v3
	v_or_b32_e32 v39, 0x7e, v0
	v_cmp_ne_u64_e32 vcc, s[38:39], v[10:11]
	s_and_saveexec_b64 s[18:19], vcc
	s_xor_b64 s[52:53], exec, s[18:19]
	s_cbranch_execz .LBB4_3247
; %bb.3238:                             ;   in Loop: Header=BB4_2791 Depth=2
	v_and_b32_e32 v10, 0x7fffffff, v3
	v_mov_b32_e32 v11, v37
	v_cmp_gt_u64_e32 vcc, s[40:41], v[10:11]
	s_and_saveexec_b64 s[54:55], vcc
	s_cbranch_execz .LBB4_3246
; %bb.3239:                             ;   in Loop: Header=BB4_2791 Depth=2
	v_cmp_ne_u32_e32 vcc, 0, v3
	v_mov_b32_e32 v39, 0
	s_and_saveexec_b64 s[56:57], vcc
	s_cbranch_execz .LBB4_3245
; %bb.3240:                             ;   in Loop: Header=BB4_2791 Depth=2
	v_bfe_u32 v3, v3, 23, 8
	v_sub_u32_e32 v11, 0x79, v3
	v_cmp_gt_u32_e32 vcc, s72, v3
	v_add_u32_e32 v10, 0xffffff81, v3
	v_cndmask_b32_e32 v11, 0, v11, vcc
	v_cmp_eq_u32_e32 vcc, 0, v3
	v_mov_b32_e32 v3, 0xffffff82
	v_cndmask_b32_e32 v3, v10, v3, vcc
	v_mov_b32_e32 v10, 0x78
	v_or_b32_e32 v14, 0x800000, v36
	v_cndmask_b32_e32 v15, v11, v10, vcc
	v_cndmask_b32_e32 v36, v14, v36, vcc
	v_add_u32_e32 v10, 20, v15
	v_lshlrev_b64 v[10:11], v10, -1
	v_add_u32_e32 v14, 19, v15
	v_lshrrev_b64 v[26:27], v15, v[36:37]
	v_not_b32_e32 v11, v11
	v_not_b32_e32 v10, v10
	v_lshlrev_b64 v[16:17], v14, 1
	v_lshrrev_b32_e32 v14, 23, v26
	v_and_b32_e32 v11, 0, v11
	v_and_b32_e32 v10, v36, v10
	v_add3_u32 v15, v15, v3, v14
	v_bfe_u32 v3, v26, 20, 1
	v_add_u32_e32 v3, -1, v3
	v_cmp_eq_u64_e32 vcc, v[10:11], v[16:17]
	v_cndmask_b32_e32 v3, 0, v3, vcc
	v_add_u32_e32 v3, v3, v26
	v_and_b32_e32 v3, 0xfffff, v3
	v_add_co_u32_e32 v10, vcc, v3, v26
	v_add_u32_e32 v14, 6, v15
	v_addc_co_u32_e32 v11, vcc, 0, v27, vcc
	v_cmp_ne_u32_e32 vcc, 0, v14
                                        ; implicit-def: $vgpr3
	s_and_saveexec_b64 s[18:19], vcc
	s_xor_b64 s[18:19], exec, s[18:19]
; %bb.3241:                             ;   in Loop: Header=BB4_2791 Depth=2
	v_add_u32_e32 v3, 7, v15
	v_cmp_lt_u64_e32 vcc, s[44:45], v[10:11]
	v_cndmask_b32_e32 v3, v14, v3, vcc
	v_cndmask_b32_e64 v14, 0, 1, vcc
	v_lshrrev_b64 v[10:11], v14, v[10:11]
; %bb.3242:                             ;   in Loop: Header=BB4_2791 Depth=2
	s_andn2_saveexec_b64 s[18:19], s[18:19]
; %bb.3243:                             ;   in Loop: Header=BB4_2791 Depth=2
	v_bfe_u32 v3, v10, 23, 1
; %bb.3244:                             ;   in Loop: Header=BB4_2791 Depth=2
	s_or_b64 exec, exec, s[18:19]
	v_lshrrev_b64 v[10:11], 20, v[10:11]
	v_cmp_gt_i32_e32 vcc, 16, v3
	v_cndmask_b32_e32 v11, 0, v11, vcc
	v_cndmask_b32_e32 v10, 7, v10, vcc
	v_cmp_eq_u32_e32 vcc, 0, v3
	v_min_i32_e32 v3, 15, v3
	v_cmp_eq_u64_e64 s[18:19], 0, v[10:11]
	v_lshlrev_b32_e32 v3, 3, v3
	v_and_or_b32 v3, v10, 7, v3
	s_and_b64 s[18:19], vcc, s[18:19]
	v_cndmask_b32_e64 v3, v3, 0, s[18:19]
	v_or_b32_e32 v39, v3, v0
.LBB4_3245:                             ;   in Loop: Header=BB4_2791 Depth=2
	s_or_b64 exec, exec, s[56:57]
.LBB4_3246:                             ;   in Loop: Header=BB4_2791 Depth=2
	s_or_b64 exec, exec, s[54:55]
                                        ; implicit-def: $vgpr3
.LBB4_3247:                             ;   in Loop: Header=BB4_2791 Depth=2
	s_andn2_saveexec_b64 s[18:19], s[52:53]
; %bb.3248:                             ;   in Loop: Header=BB4_2791 Depth=2
	v_or_b32_sdwa v0, v3, s69 dst_sel:DWORD dst_unused:UNUSED_PAD src0_sel:BYTE_3 src1_sel:DWORD
	v_cmp_eq_u64_e32 vcc, 0, v[36:37]
	v_cndmask_b32_e32 v39, v0, v39, vcc
; %bb.3249:                             ;   in Loop: Header=BB4_2791 Depth=2
	s_or_b64 exec, exec, s[18:19]
	v_lshrrev_b16_e32 v10, 8, v12
	v_cmp_ne_u16_e32 vcc, 0, v10
	v_mov_b32_e32 v0, 0
	s_and_saveexec_b64 s[18:19], vcc
	s_cbranch_execz .LBB4_3255
; %bb.3250:                             ;   in Loop: Header=BB4_2791 Depth=2
	v_cmp_ne_u16_e32 vcc, s71, v10
	v_bfrev_b32_e32 v0, 1
	s_and_saveexec_b64 s[52:53], vcc
	s_cbranch_execz .LBB4_3254
; %bb.3251:                             ;   in Loop: Header=BB4_2791 Depth=2
	v_and_b32_e32 v3, 0x7f, v10
	v_cmp_ne_u32_e32 vcc, s69, v3
	v_mov_b32_e32 v0, 0x7f800001
	s_and_saveexec_b64 s[54:55], vcc
	s_cbranch_execz .LBB4_3253
; %bb.3252:                             ;   in Loop: Header=BB4_2791 Depth=2
	v_and_b32_e32 v0, 7, v10
	v_ffbh_u32_e32 v11, v0
	v_min_u32_e32 v15, 32, v11
	v_subrev_u32_e32 v11, 28, v15
	v_lshlrev_b64 v[10:11], v11, v[10:11]
	v_lshrrev_b32_e32 v14, 3, v3
	v_sub_u32_e32 v11, 29, v15
	v_and_b32_e32 v10, 7, v10
	v_cmp_gt_u32_e32 vcc, 8, v3
	v_cndmask_b32_e32 v3, v14, v11, vcc
	v_cndmask_b32_e32 v0, v0, v10, vcc
	v_lshlrev_b32_e32 v10, 16, v12
	v_lshlrev_b32_e32 v0, 20, v0
	v_and_b32_e32 v10, 0x80000000, v10
	v_lshl_add_u32 v3, v3, 23, v55
	v_or3_b32 v0, v10, v3, v0
.LBB4_3253:                             ;   in Loop: Header=BB4_2791 Depth=2
	s_or_b64 exec, exec, s[54:55]
.LBB4_3254:                             ;   in Loop: Header=BB4_2791 Depth=2
	s_or_b64 exec, exec, s[52:53]
.LBB4_3255:                             ;   in Loop: Header=BB4_2791 Depth=2
	s_or_b64 exec, exec, s[18:19]
	v_mul_f32_e32 v3, v7, v0
	v_and_b32_sdwa v0, v3, s71 dst_sel:DWORD dst_unused:UNUSED_PAD src0_sel:BYTE_3 src1_sel:DWORD
	v_and_b32_e32 v10, 0x7f800000, v3
	v_mov_b32_e32 v11, v37
	v_and_b32_e32 v36, 0x7fffff, v3
	v_or_b32_e32 v57, 0x7e, v0
	v_cmp_ne_u64_e32 vcc, s[38:39], v[10:11]
	s_and_saveexec_b64 s[18:19], vcc
	s_xor_b64 s[52:53], exec, s[18:19]
	s_cbranch_execz .LBB4_3265
; %bb.3256:                             ;   in Loop: Header=BB4_2791 Depth=2
	v_and_b32_e32 v10, 0x7fffffff, v3
	v_mov_b32_e32 v11, v37
	v_cmp_gt_u64_e32 vcc, s[40:41], v[10:11]
	s_and_saveexec_b64 s[54:55], vcc
	s_cbranch_execz .LBB4_3264
; %bb.3257:                             ;   in Loop: Header=BB4_2791 Depth=2
	v_cmp_ne_u32_e32 vcc, 0, v3
	v_mov_b32_e32 v57, 0
	s_and_saveexec_b64 s[56:57], vcc
	s_cbranch_execz .LBB4_3263
; %bb.3258:                             ;   in Loop: Header=BB4_2791 Depth=2
	v_bfe_u32 v3, v3, 23, 8
	v_sub_u32_e32 v11, 0x79, v3
	v_cmp_gt_u32_e32 vcc, s72, v3
	v_add_u32_e32 v10, 0xffffff81, v3
	v_cndmask_b32_e32 v11, 0, v11, vcc
	v_cmp_eq_u32_e32 vcc, 0, v3
	v_mov_b32_e32 v3, 0xffffff82
	v_cndmask_b32_e32 v3, v10, v3, vcc
	v_mov_b32_e32 v10, 0x78
	v_or_b32_e32 v14, 0x800000, v36
	v_cndmask_b32_e32 v15, v11, v10, vcc
	v_cndmask_b32_e32 v36, v14, v36, vcc
	v_add_u32_e32 v10, 20, v15
	v_lshlrev_b64 v[10:11], v10, -1
	v_add_u32_e32 v14, 19, v15
	v_lshrrev_b64 v[26:27], v15, v[36:37]
	v_not_b32_e32 v11, v11
	v_not_b32_e32 v10, v10
	v_lshlrev_b64 v[16:17], v14, 1
	v_lshrrev_b32_e32 v14, 23, v26
	v_and_b32_e32 v11, 0, v11
	v_and_b32_e32 v10, v36, v10
	v_add3_u32 v15, v15, v3, v14
	v_bfe_u32 v3, v26, 20, 1
	v_add_u32_e32 v3, -1, v3
	v_cmp_eq_u64_e32 vcc, v[10:11], v[16:17]
	v_cndmask_b32_e32 v3, 0, v3, vcc
	v_add_u32_e32 v3, v3, v26
	v_and_b32_e32 v3, 0xfffff, v3
	v_add_co_u32_e32 v10, vcc, v3, v26
	v_add_u32_e32 v14, 6, v15
	v_addc_co_u32_e32 v11, vcc, 0, v27, vcc
	v_cmp_ne_u32_e32 vcc, 0, v14
                                        ; implicit-def: $vgpr3
	s_and_saveexec_b64 s[18:19], vcc
	s_xor_b64 s[18:19], exec, s[18:19]
; %bb.3259:                             ;   in Loop: Header=BB4_2791 Depth=2
	v_add_u32_e32 v3, 7, v15
	v_cmp_lt_u64_e32 vcc, s[44:45], v[10:11]
	v_cndmask_b32_e32 v3, v14, v3, vcc
	v_cndmask_b32_e64 v14, 0, 1, vcc
	v_lshrrev_b64 v[10:11], v14, v[10:11]
; %bb.3260:                             ;   in Loop: Header=BB4_2791 Depth=2
	s_andn2_saveexec_b64 s[18:19], s[18:19]
; %bb.3261:                             ;   in Loop: Header=BB4_2791 Depth=2
	v_bfe_u32 v3, v10, 23, 1
; %bb.3262:                             ;   in Loop: Header=BB4_2791 Depth=2
	s_or_b64 exec, exec, s[18:19]
	v_lshrrev_b64 v[10:11], 20, v[10:11]
	v_cmp_gt_i32_e32 vcc, 16, v3
	v_cndmask_b32_e32 v11, 0, v11, vcc
	v_cndmask_b32_e32 v10, 7, v10, vcc
	v_cmp_eq_u32_e32 vcc, 0, v3
	v_min_i32_e32 v3, 15, v3
	v_cmp_eq_u64_e64 s[18:19], 0, v[10:11]
	v_lshlrev_b32_e32 v3, 3, v3
	v_and_or_b32 v3, v10, 7, v3
	s_and_b64 s[18:19], vcc, s[18:19]
	v_cndmask_b32_e64 v3, v3, 0, s[18:19]
	v_or_b32_e32 v57, v3, v0
.LBB4_3263:                             ;   in Loop: Header=BB4_2791 Depth=2
	s_or_b64 exec, exec, s[56:57]
.LBB4_3264:                             ;   in Loop: Header=BB4_2791 Depth=2
	s_or_b64 exec, exec, s[54:55]
                                        ; implicit-def: $vgpr3
.LBB4_3265:                             ;   in Loop: Header=BB4_2791 Depth=2
	s_andn2_saveexec_b64 s[18:19], s[52:53]
; %bb.3266:                             ;   in Loop: Header=BB4_2791 Depth=2
	v_or_b32_sdwa v0, v3, s69 dst_sel:DWORD dst_unused:UNUSED_PAD src0_sel:BYTE_3 src1_sel:DWORD
	v_cmp_eq_u64_e32 vcc, 0, v[36:37]
	v_cndmask_b32_e32 v57, v0, v57, vcc
; %bb.3267:                             ;   in Loop: Header=BB4_2791 Depth=2
	s_or_b64 exec, exec, s[18:19]
	v_lshrrev_b32_e32 v10, 16, v12
	v_cmp_ne_u16_sdwa vcc, v10, v37 src0_sel:BYTE_0 src1_sel:DWORD
	v_mov_b32_e32 v0, 0
	s_and_saveexec_b64 s[18:19], vcc
	s_cbranch_execz .LBB4_3273
; %bb.3268:                             ;   in Loop: Header=BB4_2791 Depth=2
	v_cmp_ne_u16_sdwa vcc, v10, s71 src0_sel:BYTE_0 src1_sel:DWORD
	v_bfrev_b32_e32 v0, 1
	s_and_saveexec_b64 s[52:53], vcc
	s_cbranch_execz .LBB4_3272
; %bb.3269:                             ;   in Loop: Header=BB4_2791 Depth=2
	v_bfe_u32 v3, v12, 16, 7
	v_cmp_ne_u32_e32 vcc, s69, v3
	v_mov_b32_e32 v0, 0x7f800001
	s_and_saveexec_b64 s[54:55], vcc
	s_cbranch_execz .LBB4_3271
; %bb.3270:                             ;   in Loop: Header=BB4_2791 Depth=2
	v_and_b32_e32 v0, 7, v10
	v_ffbh_u32_e32 v14, v0
	v_min_u32_e32 v16, 32, v14
	v_lshrrev_b32_e32 v11, 3, v3
	v_subrev_u32_e32 v14, 28, v16
	v_lshlrev_b64 v[14:15], v14, v[10:11]
	v_sub_u32_e32 v15, 29, v16
	v_and_b32_e32 v14, 7, v14
	v_cmp_gt_u32_e32 vcc, 8, v3
	v_cndmask_b32_e32 v3, v11, v15, vcc
	v_cndmask_b32_e32 v0, v0, v14, vcc
	v_lshlrev_b32_e32 v10, 24, v10
	v_lshlrev_b32_e32 v0, 20, v0
	v_and_b32_e32 v10, 0x80000000, v10
	v_lshl_add_u32 v3, v3, 23, v55
	v_or3_b32 v0, v10, v3, v0
.LBB4_3271:                             ;   in Loop: Header=BB4_2791 Depth=2
	s_or_b64 exec, exec, s[54:55]
.LBB4_3272:                             ;   in Loop: Header=BB4_2791 Depth=2
	s_or_b64 exec, exec, s[52:53]
.LBB4_3273:                             ;   in Loop: Header=BB4_2791 Depth=2
	s_or_b64 exec, exec, s[18:19]
	v_mul_f32_e32 v3, v7, v0
	v_and_b32_sdwa v0, v3, s71 dst_sel:DWORD dst_unused:UNUSED_PAD src0_sel:BYTE_3 src1_sel:DWORD
	v_and_b32_e32 v10, 0x7f800000, v3
	v_mov_b32_e32 v11, v37
	v_and_b32_e32 v36, 0x7fffff, v3
	v_or_b32_e32 v46, 0x7e, v0
	v_cmp_ne_u64_e32 vcc, s[38:39], v[10:11]
	s_and_saveexec_b64 s[18:19], vcc
	s_xor_b64 s[52:53], exec, s[18:19]
	s_cbranch_execz .LBB4_3283
; %bb.3274:                             ;   in Loop: Header=BB4_2791 Depth=2
	v_and_b32_e32 v10, 0x7fffffff, v3
	v_mov_b32_e32 v11, v37
	v_cmp_gt_u64_e32 vcc, s[40:41], v[10:11]
	s_and_saveexec_b64 s[54:55], vcc
	s_cbranch_execz .LBB4_3282
; %bb.3275:                             ;   in Loop: Header=BB4_2791 Depth=2
	v_cmp_ne_u32_e32 vcc, 0, v3
	v_mov_b32_e32 v46, 0
	s_and_saveexec_b64 s[56:57], vcc
	s_cbranch_execz .LBB4_3281
; %bb.3276:                             ;   in Loop: Header=BB4_2791 Depth=2
	v_bfe_u32 v3, v3, 23, 8
	v_sub_u32_e32 v11, 0x79, v3
	v_cmp_gt_u32_e32 vcc, s72, v3
	v_add_u32_e32 v10, 0xffffff81, v3
	v_cndmask_b32_e32 v11, 0, v11, vcc
	v_cmp_eq_u32_e32 vcc, 0, v3
	v_mov_b32_e32 v3, 0xffffff82
	v_cndmask_b32_e32 v3, v10, v3, vcc
	v_mov_b32_e32 v10, 0x78
	v_or_b32_e32 v14, 0x800000, v36
	v_cndmask_b32_e32 v15, v11, v10, vcc
	v_cndmask_b32_e32 v36, v14, v36, vcc
	v_add_u32_e32 v10, 20, v15
	v_lshlrev_b64 v[10:11], v10, -1
	v_add_u32_e32 v14, 19, v15
	v_lshrrev_b64 v[26:27], v15, v[36:37]
	v_not_b32_e32 v11, v11
	v_not_b32_e32 v10, v10
	v_lshlrev_b64 v[16:17], v14, 1
	v_lshrrev_b32_e32 v14, 23, v26
	v_and_b32_e32 v11, 0, v11
	v_and_b32_e32 v10, v36, v10
	v_add3_u32 v15, v15, v3, v14
	v_bfe_u32 v3, v26, 20, 1
	v_add_u32_e32 v3, -1, v3
	v_cmp_eq_u64_e32 vcc, v[10:11], v[16:17]
	v_cndmask_b32_e32 v3, 0, v3, vcc
	v_add_u32_e32 v3, v3, v26
	v_and_b32_e32 v3, 0xfffff, v3
	v_add_co_u32_e32 v10, vcc, v3, v26
	v_add_u32_e32 v14, 6, v15
	v_addc_co_u32_e32 v11, vcc, 0, v27, vcc
	v_cmp_ne_u32_e32 vcc, 0, v14
                                        ; implicit-def: $vgpr3
	s_and_saveexec_b64 s[18:19], vcc
	s_xor_b64 s[18:19], exec, s[18:19]
; %bb.3277:                             ;   in Loop: Header=BB4_2791 Depth=2
	v_add_u32_e32 v3, 7, v15
	v_cmp_lt_u64_e32 vcc, s[44:45], v[10:11]
	v_cndmask_b32_e32 v3, v14, v3, vcc
	v_cndmask_b32_e64 v14, 0, 1, vcc
	v_lshrrev_b64 v[10:11], v14, v[10:11]
; %bb.3278:                             ;   in Loop: Header=BB4_2791 Depth=2
	s_andn2_saveexec_b64 s[18:19], s[18:19]
; %bb.3279:                             ;   in Loop: Header=BB4_2791 Depth=2
	v_bfe_u32 v3, v10, 23, 1
; %bb.3280:                             ;   in Loop: Header=BB4_2791 Depth=2
	s_or_b64 exec, exec, s[18:19]
	v_lshrrev_b64 v[10:11], 20, v[10:11]
	v_cmp_gt_i32_e32 vcc, 16, v3
	v_cndmask_b32_e32 v11, 0, v11, vcc
	v_cndmask_b32_e32 v10, 7, v10, vcc
	v_cmp_eq_u32_e32 vcc, 0, v3
	v_min_i32_e32 v3, 15, v3
	v_cmp_eq_u64_e64 s[18:19], 0, v[10:11]
	v_lshlrev_b32_e32 v3, 3, v3
	v_and_or_b32 v3, v10, 7, v3
	s_and_b64 s[18:19], vcc, s[18:19]
	v_cndmask_b32_e64 v3, v3, 0, s[18:19]
	v_or_b32_e32 v46, v3, v0
.LBB4_3281:                             ;   in Loop: Header=BB4_2791 Depth=2
	s_or_b64 exec, exec, s[56:57]
.LBB4_3282:                             ;   in Loop: Header=BB4_2791 Depth=2
	s_or_b64 exec, exec, s[54:55]
                                        ; implicit-def: $vgpr3
.LBB4_3283:                             ;   in Loop: Header=BB4_2791 Depth=2
	s_andn2_saveexec_b64 s[18:19], s[52:53]
; %bb.3284:                             ;   in Loop: Header=BB4_2791 Depth=2
	v_or_b32_sdwa v0, v3, s69 dst_sel:DWORD dst_unused:UNUSED_PAD src0_sel:BYTE_3 src1_sel:DWORD
	v_cmp_eq_u64_e32 vcc, 0, v[36:37]
	v_cndmask_b32_e32 v46, v0, v46, vcc
; %bb.3285:                             ;   in Loop: Header=BB4_2791 Depth=2
	s_or_b64 exec, exec, s[18:19]
	v_cmp_lt_u32_e32 vcc, s43, v12
	v_mov_b32_e32 v0, 0
	s_and_saveexec_b64 s[18:19], vcc
	s_cbranch_execz .LBB4_3291
; %bb.3286:                             ;   in Loop: Header=BB4_2791 Depth=2
	v_lshrrev_b32_e32 v10, 24, v12
	v_cmp_ne_u32_e32 vcc, s71, v10
	v_bfrev_b32_e32 v0, 1
	s_and_saveexec_b64 s[52:53], vcc
	s_cbranch_execz .LBB4_3290
; %bb.3287:                             ;   in Loop: Header=BB4_2791 Depth=2
	v_bfe_u32 v3, v12, 24, 7
	v_cmp_ne_u32_e32 vcc, s69, v3
	v_mov_b32_e32 v0, 0x7f800001
	s_and_saveexec_b64 s[54:55], vcc
	s_cbranch_execz .LBB4_3289
; %bb.3288:                             ;   in Loop: Header=BB4_2791 Depth=2
	v_and_b32_e32 v0, 7, v10
	v_ffbh_u32_e32 v14, v0
	v_min_u32_e32 v16, 32, v14
	v_lshrrev_b32_e32 v11, 3, v3
	v_subrev_u32_e32 v14, 28, v16
	v_lshlrev_b64 v[14:15], v14, v[10:11]
	v_sub_u32_e32 v15, 29, v16
	v_and_b32_e32 v14, 7, v14
	v_cmp_gt_u32_e32 vcc, 8, v3
	v_cndmask_b32_e32 v3, v11, v15, vcc
	v_cndmask_b32_e32 v0, v0, v14, vcc
	v_lshlrev_b32_e32 v10, 24, v10
	v_lshlrev_b32_e32 v0, 20, v0
	v_and_b32_e32 v10, 0x80000000, v10
	v_lshl_add_u32 v3, v3, 23, v55
	v_or3_b32 v0, v10, v3, v0
.LBB4_3289:                             ;   in Loop: Header=BB4_2791 Depth=2
	s_or_b64 exec, exec, s[54:55]
.LBB4_3290:                             ;   in Loop: Header=BB4_2791 Depth=2
	s_or_b64 exec, exec, s[52:53]
.LBB4_3291:                             ;   in Loop: Header=BB4_2791 Depth=2
	s_or_b64 exec, exec, s[18:19]
	v_mul_f32_e32 v10, v7, v0
	v_and_b32_sdwa v3, v10, s71 dst_sel:DWORD dst_unused:UNUSED_PAD src0_sel:BYTE_3 src1_sel:DWORD
	v_and_b32_e32 v14, 0x7f800000, v10
	v_mov_b32_e32 v15, v37
	v_and_b32_e32 v36, 0x7fffff, v10
	v_or_b32_e32 v0, 0x7e, v3
	v_cmp_ne_u64_e32 vcc, s[38:39], v[14:15]
	s_and_saveexec_b64 s[18:19], vcc
	s_xor_b64 s[52:53], exec, s[18:19]
	s_cbranch_execz .LBB4_3301
; %bb.3292:                             ;   in Loop: Header=BB4_2791 Depth=2
	v_and_b32_e32 v14, 0x7fffffff, v10
	v_mov_b32_e32 v15, v37
	v_cmp_gt_u64_e32 vcc, s[40:41], v[14:15]
	s_and_saveexec_b64 s[54:55], vcc
	s_cbranch_execz .LBB4_3300
; %bb.3293:                             ;   in Loop: Header=BB4_2791 Depth=2
	v_cmp_ne_u32_e32 vcc, 0, v10
	v_mov_b32_e32 v0, 0
	s_and_saveexec_b64 s[56:57], vcc
	s_cbranch_execz .LBB4_3299
; %bb.3294:                             ;   in Loop: Header=BB4_2791 Depth=2
	v_bfe_u32 v0, v10, 23, 8
	v_sub_u32_e32 v11, 0x79, v0
	v_cmp_gt_u32_e32 vcc, s72, v0
	v_add_u32_e32 v10, 0xffffff81, v0
	v_cndmask_b32_e32 v11, 0, v11, vcc
	v_cmp_eq_u32_e32 vcc, 0, v0
	v_mov_b32_e32 v0, 0xffffff82
	v_cndmask_b32_e32 v0, v10, v0, vcc
	v_mov_b32_e32 v10, 0x78
	v_or_b32_e32 v14, 0x800000, v36
	v_cndmask_b32_e32 v15, v11, v10, vcc
	v_cndmask_b32_e32 v36, v14, v36, vcc
	v_add_u32_e32 v10, 20, v15
	v_lshlrev_b64 v[10:11], v10, -1
	v_add_u32_e32 v14, 19, v15
	v_lshrrev_b64 v[26:27], v15, v[36:37]
	v_not_b32_e32 v11, v11
	v_not_b32_e32 v10, v10
	v_lshlrev_b64 v[16:17], v14, 1
	v_lshrrev_b32_e32 v14, 23, v26
	v_and_b32_e32 v11, 0, v11
	v_and_b32_e32 v10, v36, v10
	v_add3_u32 v15, v15, v0, v14
	v_bfe_u32 v0, v26, 20, 1
	v_add_u32_e32 v0, -1, v0
	v_cmp_eq_u64_e32 vcc, v[10:11], v[16:17]
	v_cndmask_b32_e32 v0, 0, v0, vcc
	v_add_u32_e32 v0, v0, v26
	v_and_b32_e32 v0, 0xfffff, v0
	v_add_co_u32_e32 v10, vcc, v0, v26
	v_add_u32_e32 v14, 6, v15
	v_addc_co_u32_e32 v11, vcc, 0, v27, vcc
	v_cmp_ne_u32_e32 vcc, 0, v14
                                        ; implicit-def: $vgpr0
	s_and_saveexec_b64 s[18:19], vcc
	s_xor_b64 s[18:19], exec, s[18:19]
; %bb.3295:                             ;   in Loop: Header=BB4_2791 Depth=2
	v_add_u32_e32 v0, 7, v15
	v_cmp_lt_u64_e32 vcc, s[44:45], v[10:11]
	v_cndmask_b32_e32 v0, v14, v0, vcc
	v_cndmask_b32_e64 v14, 0, 1, vcc
	v_lshrrev_b64 v[10:11], v14, v[10:11]
; %bb.3296:                             ;   in Loop: Header=BB4_2791 Depth=2
	s_andn2_saveexec_b64 s[18:19], s[18:19]
; %bb.3297:                             ;   in Loop: Header=BB4_2791 Depth=2
	v_bfe_u32 v0, v10, 23, 1
; %bb.3298:                             ;   in Loop: Header=BB4_2791 Depth=2
	s_or_b64 exec, exec, s[18:19]
	v_lshrrev_b64 v[10:11], 20, v[10:11]
	v_cmp_gt_i32_e32 vcc, 16, v0
	v_cndmask_b32_e32 v11, 0, v11, vcc
	v_cndmask_b32_e32 v10, 7, v10, vcc
	v_cmp_eq_u32_e32 vcc, 0, v0
	v_min_i32_e32 v0, 15, v0
	v_cmp_eq_u64_e64 s[18:19], 0, v[10:11]
	v_lshlrev_b32_e32 v0, 3, v0
	v_and_or_b32 v0, v10, 7, v0
	s_and_b64 s[18:19], vcc, s[18:19]
	v_cndmask_b32_e64 v0, v0, 0, s[18:19]
	v_or_b32_e32 v0, v0, v3
.LBB4_3299:                             ;   in Loop: Header=BB4_2791 Depth=2
	s_or_b64 exec, exec, s[56:57]
.LBB4_3300:                             ;   in Loop: Header=BB4_2791 Depth=2
	s_or_b64 exec, exec, s[54:55]
                                        ; implicit-def: $vgpr10
.LBB4_3301:                             ;   in Loop: Header=BB4_2791 Depth=2
	s_andn2_saveexec_b64 s[18:19], s[52:53]
; %bb.3302:                             ;   in Loop: Header=BB4_2791 Depth=2
	v_or_b32_sdwa v3, v10, s69 dst_sel:DWORD dst_unused:UNUSED_PAD src0_sel:BYTE_3 src1_sel:DWORD
	v_cmp_eq_u64_e32 vcc, 0, v[36:37]
	v_cndmask_b32_e32 v0, v3, v0, vcc
; %bb.3303:                             ;   in Loop: Header=BB4_2791 Depth=2
	s_or_b64 exec, exec, s[18:19]
	v_mov_b32_e32 v36, v13
	v_cmp_ne_u16_sdwa vcc, v13, v37 src0_sel:BYTE_0 src1_sel:DWORD
	v_mov_b32_e32 v3, 0
	s_and_saveexec_b64 s[18:19], vcc
	s_cbranch_execz .LBB4_3309
; %bb.3304:                             ;   in Loop: Header=BB4_2791 Depth=2
	v_cmp_ne_u16_sdwa vcc, v13, s71 src0_sel:BYTE_0 src1_sel:DWORD
	v_bfrev_b32_e32 v3, 1
	s_and_saveexec_b64 s[52:53], vcc
	s_cbranch_execz .LBB4_3308
; %bb.3305:                             ;   in Loop: Header=BB4_2791 Depth=2
	v_and_b32_e32 v10, 0x7f, v13
	v_cmp_ne_u32_e32 vcc, s69, v10
	v_mov_b32_e32 v3, 0x7f800001
	s_and_saveexec_b64 s[54:55], vcc
	s_cbranch_execz .LBB4_3307
; %bb.3306:                             ;   in Loop: Header=BB4_2791 Depth=2
	v_and_b32_e32 v3, 7, v13
	v_ffbh_u32_e32 v3, v3
	v_min_u32_e32 v3, 32, v3
	v_subrev_u32_e32 v14, 28, v3
	v_cmp_gt_u32_e32 vcc, 8, v10
	v_lshrrev_b32_e32 v11, 3, v10
	v_sub_u32_e32 v3, 29, v3
	v_cndmask_b32_e32 v10, 0, v14, vcc
	v_cndmask_b32_e32 v3, v11, v3, vcc
	v_lshlrev_b64 v[10:11], v10, v[36:37]
	v_lshlrev_b32_e32 v10, 20, v10
	v_lshlrev_b32_e32 v11, 24, v36
	v_and_b32_e32 v10, 0x700000, v10
	v_and_b32_e32 v11, 0x80000000, v11
	v_lshl_add_u32 v3, v3, 23, v55
	v_or3_b32 v3, v11, v3, v10
.LBB4_3307:                             ;   in Loop: Header=BB4_2791 Depth=2
	s_or_b64 exec, exec, s[54:55]
.LBB4_3308:                             ;   in Loop: Header=BB4_2791 Depth=2
	s_or_b64 exec, exec, s[52:53]
.LBB4_3309:                             ;   in Loop: Header=BB4_2791 Depth=2
	s_or_b64 exec, exec, s[18:19]
	v_mul_f32_e32 v14, v7, v3
	v_and_b32_sdwa v3, v14, s71 dst_sel:DWORD dst_unused:UNUSED_PAD src0_sel:BYTE_3 src1_sel:DWORD
	v_and_b32_e32 v16, 0x7f800000, v14
	v_mov_b32_e32 v17, v37
	v_and_b32_e32 v10, 0x7fffff, v14
	v_mov_b32_e32 v11, v37
	v_or_b32_e32 v19, 0x7e, v3
	v_cmp_ne_u64_e32 vcc, s[38:39], v[16:17]
	s_and_saveexec_b64 s[18:19], vcc
	s_xor_b64 s[52:53], exec, s[18:19]
	s_cbranch_execz .LBB4_3319
; %bb.3310:                             ;   in Loop: Header=BB4_2791 Depth=2
	v_and_b32_e32 v16, 0x7fffffff, v14
	v_mov_b32_e32 v17, v37
	v_cmp_gt_u64_e32 vcc, s[40:41], v[16:17]
	s_and_saveexec_b64 s[54:55], vcc
	s_cbranch_execz .LBB4_3318
; %bb.3311:                             ;   in Loop: Header=BB4_2791 Depth=2
	v_cmp_ne_u32_e32 vcc, 0, v14
	v_mov_b32_e32 v19, 0
	s_and_saveexec_b64 s[56:57], vcc
	s_cbranch_execz .LBB4_3317
; %bb.3312:                             ;   in Loop: Header=BB4_2791 Depth=2
	v_bfe_u32 v14, v14, 23, 8
	v_sub_u32_e32 v16, 0x79, v14
	v_cmp_gt_u32_e32 vcc, s72, v14
	v_add_u32_e32 v15, 0xffffff81, v14
	v_cndmask_b32_e32 v16, 0, v16, vcc
	v_cmp_eq_u32_e32 vcc, 0, v14
	v_mov_b32_e32 v14, 0xffffff82
	v_cndmask_b32_e32 v19, v15, v14, vcc
	v_mov_b32_e32 v14, 0x78
	v_cndmask_b32_e32 v16, v16, v14, vcc
	v_add_u32_e32 v14, 20, v16
	v_or_b32_e32 v17, 0x800000, v10
	v_lshlrev_b64 v[14:15], v14, -1
	v_cndmask_b32_e32 v10, v17, v10, vcc
	v_not_b32_e32 v14, v14
	v_and_b32_e32 v26, v10, v14
	v_add_u32_e32 v14, 19, v16
	v_lshrrev_b64 v[10:11], v16, v[10:11]
	v_not_b32_e32 v15, v15
	v_lshlrev_b64 v[60:61], v14, 1
	v_lshrrev_b32_e32 v14, 23, v10
	v_and_b32_e32 v27, 0, v15
	v_add3_u32 v16, v16, v19, v14
	v_bfe_u32 v14, v10, 20, 1
	v_add_u32_e32 v14, -1, v14
	v_cmp_eq_u64_e32 vcc, v[26:27], v[60:61]
	v_cndmask_b32_e32 v14, 0, v14, vcc
	v_add_u32_e32 v14, v14, v10
	v_and_b32_e32 v14, 0xfffff, v14
	v_add_co_u32_e32 v10, vcc, v14, v10
	v_add_u32_e32 v15, 6, v16
	v_addc_co_u32_e32 v11, vcc, 0, v11, vcc
	v_cmp_ne_u32_e32 vcc, 0, v15
                                        ; implicit-def: $vgpr14
	s_and_saveexec_b64 s[18:19], vcc
	s_xor_b64 s[18:19], exec, s[18:19]
; %bb.3313:                             ;   in Loop: Header=BB4_2791 Depth=2
	v_add_u32_e32 v14, 7, v16
	v_cmp_lt_u64_e32 vcc, s[44:45], v[10:11]
	v_cndmask_b32_e32 v14, v15, v14, vcc
	v_cndmask_b32_e64 v15, 0, 1, vcc
	v_lshrrev_b64 v[10:11], v15, v[10:11]
; %bb.3314:                             ;   in Loop: Header=BB4_2791 Depth=2
	s_andn2_saveexec_b64 s[18:19], s[18:19]
; %bb.3315:                             ;   in Loop: Header=BB4_2791 Depth=2
	v_bfe_u32 v14, v10, 23, 1
; %bb.3316:                             ;   in Loop: Header=BB4_2791 Depth=2
	s_or_b64 exec, exec, s[18:19]
	v_lshrrev_b64 v[10:11], 20, v[10:11]
	v_cmp_gt_i32_e32 vcc, 16, v14
	v_cndmask_b32_e32 v11, 0, v11, vcc
	v_cndmask_b32_e32 v10, 7, v10, vcc
	v_cmp_eq_u64_e64 s[18:19], 0, v[10:11]
	v_min_i32_e32 v11, 15, v14
	v_cmp_eq_u32_e32 vcc, 0, v14
	v_lshlrev_b32_e32 v11, 3, v11
	v_and_or_b32 v10, v10, 7, v11
	s_and_b64 s[18:19], vcc, s[18:19]
	v_cndmask_b32_e64 v10, v10, 0, s[18:19]
	v_or_b32_e32 v19, v10, v3
.LBB4_3317:                             ;   in Loop: Header=BB4_2791 Depth=2
	s_or_b64 exec, exec, s[56:57]
.LBB4_3318:                             ;   in Loop: Header=BB4_2791 Depth=2
	s_or_b64 exec, exec, s[54:55]
                                        ; implicit-def: $vgpr14
                                        ; implicit-def: $vgpr10_vgpr11
.LBB4_3319:                             ;   in Loop: Header=BB4_2791 Depth=2
	s_andn2_saveexec_b64 s[18:19], s[52:53]
; %bb.3320:                             ;   in Loop: Header=BB4_2791 Depth=2
	v_or_b32_sdwa v3, v14, s69 dst_sel:DWORD dst_unused:UNUSED_PAD src0_sel:BYTE_3 src1_sel:DWORD
	v_cmp_eq_u64_e32 vcc, 0, v[10:11]
	v_cndmask_b32_e32 v19, v3, v19, vcc
; %bb.3321:                             ;   in Loop: Header=BB4_2791 Depth=2
	s_or_b64 exec, exec, s[18:19]
	v_lshrrev_b16_e32 v10, 8, v36
	v_cmp_ne_u16_e32 vcc, 0, v10
	v_mov_b32_e32 v3, 0
	s_and_saveexec_b64 s[18:19], vcc
	s_cbranch_execz .LBB4_3327
; %bb.3322:                             ;   in Loop: Header=BB4_2791 Depth=2
	v_cmp_ne_u16_e32 vcc, s71, v10
	v_bfrev_b32_e32 v3, 1
	s_and_saveexec_b64 s[52:53], vcc
	s_cbranch_execz .LBB4_3326
; %bb.3323:                             ;   in Loop: Header=BB4_2791 Depth=2
	v_and_b32_e32 v11, 0x7f, v10
	v_cmp_ne_u32_e32 vcc, s69, v11
	v_mov_b32_e32 v3, 0x7f800001
	s_and_saveexec_b64 s[54:55], vcc
	s_cbranch_execz .LBB4_3325
; %bb.3324:                             ;   in Loop: Header=BB4_2791 Depth=2
	v_and_b32_e32 v3, 7, v10
	v_ffbh_u32_e32 v14, v3
	v_min_u32_e32 v17, 32, v14
	v_subrev_u32_e32 v14, 28, v17
	v_lshlrev_b64 v[14:15], v14, v[10:11]
	v_lshrrev_b32_e32 v16, 3, v11
	v_sub_u32_e32 v10, 29, v17
	v_and_b32_e32 v14, 7, v14
	v_cmp_gt_u32_e32 vcc, 8, v11
	v_cndmask_b32_e32 v10, v16, v10, vcc
	v_cndmask_b32_e32 v3, v3, v14, vcc
	v_lshlrev_b32_e32 v11, 16, v36
	v_lshlrev_b32_e32 v3, 20, v3
	v_and_b32_e32 v11, 0x80000000, v11
	v_lshl_add_u32 v10, v10, 23, v55
	v_or3_b32 v3, v11, v10, v3
.LBB4_3325:                             ;   in Loop: Header=BB4_2791 Depth=2
	s_or_b64 exec, exec, s[54:55]
.LBB4_3326:                             ;   in Loop: Header=BB4_2791 Depth=2
	s_or_b64 exec, exec, s[52:53]
.LBB4_3327:                             ;   in Loop: Header=BB4_2791 Depth=2
	s_or_b64 exec, exec, s[18:19]
	v_mul_f32_e32 v10, v7, v3
	v_and_b32_sdwa v3, v10, s71 dst_sel:DWORD dst_unused:UNUSED_PAD src0_sel:BYTE_3 src1_sel:DWORD
	v_and_b32_e32 v14, 0x7f800000, v10
	v_mov_b32_e32 v15, v37
	v_and_b32_e32 v36, 0x7fffff, v10
	v_or_b32_e32 v26, 0x7e, v3
	v_cmp_ne_u64_e32 vcc, s[38:39], v[14:15]
	s_and_saveexec_b64 s[18:19], vcc
	s_xor_b64 s[52:53], exec, s[18:19]
	s_cbranch_execz .LBB4_3337
; %bb.3328:                             ;   in Loop: Header=BB4_2791 Depth=2
	v_and_b32_e32 v14, 0x7fffffff, v10
	v_mov_b32_e32 v15, v37
	v_cmp_gt_u64_e32 vcc, s[40:41], v[14:15]
	s_and_saveexec_b64 s[54:55], vcc
	s_cbranch_execz .LBB4_3336
; %bb.3329:                             ;   in Loop: Header=BB4_2791 Depth=2
	v_cmp_ne_u32_e32 vcc, 0, v10
	v_mov_b32_e32 v26, 0
	s_and_saveexec_b64 s[56:57], vcc
	s_cbranch_execz .LBB4_3335
; %bb.3330:                             ;   in Loop: Header=BB4_2791 Depth=2
	v_bfe_u32 v10, v10, 23, 8
	v_sub_u32_e32 v14, 0x79, v10
	v_cmp_gt_u32_e32 vcc, s72, v10
	v_add_u32_e32 v11, 0xffffff81, v10
	v_cndmask_b32_e32 v14, 0, v14, vcc
	v_cmp_eq_u32_e32 vcc, 0, v10
	v_mov_b32_e32 v10, 0xffffff82
	v_cndmask_b32_e32 v16, v11, v10, vcc
	v_mov_b32_e32 v10, 0x78
	v_or_b32_e32 v15, 0x800000, v36
	v_cndmask_b32_e32 v14, v14, v10, vcc
	v_cndmask_b32_e32 v36, v15, v36, vcc
	v_add_u32_e32 v10, 20, v14
	v_lshlrev_b64 v[10:11], v10, -1
	v_add_u32_e32 v15, 19, v14
	v_lshrrev_b64 v[60:61], v14, v[36:37]
	v_not_b32_e32 v11, v11
	v_not_b32_e32 v10, v10
	v_lshlrev_b64 v[26:27], v15, 1
	v_lshrrev_b32_e32 v15, 23, v60
	v_and_b32_e32 v11, 0, v11
	v_and_b32_e32 v10, v36, v10
	v_add3_u32 v16, v14, v16, v15
	v_bfe_u32 v14, v60, 20, 1
	v_add_u32_e32 v14, -1, v14
	v_cmp_eq_u64_e32 vcc, v[10:11], v[26:27]
	v_cndmask_b32_e32 v10, 0, v14, vcc
	v_add_u32_e32 v10, v10, v60
	v_and_b32_e32 v10, 0xfffff, v10
	v_add_co_u32_e32 v10, vcc, v10, v60
	v_add_u32_e32 v15, 6, v16
	v_addc_co_u32_e32 v11, vcc, 0, v61, vcc
	v_cmp_ne_u32_e32 vcc, 0, v15
                                        ; implicit-def: $vgpr14
	s_and_saveexec_b64 s[18:19], vcc
	s_xor_b64 s[18:19], exec, s[18:19]
; %bb.3331:                             ;   in Loop: Header=BB4_2791 Depth=2
	v_add_u32_e32 v14, 7, v16
	v_cmp_lt_u64_e32 vcc, s[44:45], v[10:11]
	v_cndmask_b32_e32 v14, v15, v14, vcc
	v_cndmask_b32_e64 v15, 0, 1, vcc
	v_lshrrev_b64 v[10:11], v15, v[10:11]
; %bb.3332:                             ;   in Loop: Header=BB4_2791 Depth=2
	s_andn2_saveexec_b64 s[18:19], s[18:19]
; %bb.3333:                             ;   in Loop: Header=BB4_2791 Depth=2
	v_bfe_u32 v14, v10, 23, 1
; %bb.3334:                             ;   in Loop: Header=BB4_2791 Depth=2
	s_or_b64 exec, exec, s[18:19]
	v_lshrrev_b64 v[10:11], 20, v[10:11]
	v_cmp_gt_i32_e32 vcc, 16, v14
	v_cndmask_b32_e32 v11, 0, v11, vcc
	v_cndmask_b32_e32 v10, 7, v10, vcc
	v_cmp_eq_u64_e64 s[18:19], 0, v[10:11]
	v_min_i32_e32 v11, 15, v14
	v_lshlrev_b32_e32 v11, 3, v11
	v_cmp_eq_u32_e32 vcc, 0, v14
	v_and_b32_e32 v11, 0xf8, v11
	v_and_or_b32 v10, v10, 7, v11
	s_and_b64 s[18:19], vcc, s[18:19]
	v_cndmask_b32_e64 v10, v10, 0, s[18:19]
	v_or_b32_e32 v26, v10, v3
.LBB4_3335:                             ;   in Loop: Header=BB4_2791 Depth=2
	s_or_b64 exec, exec, s[56:57]
.LBB4_3336:                             ;   in Loop: Header=BB4_2791 Depth=2
	s_or_b64 exec, exec, s[54:55]
                                        ; implicit-def: $vgpr10
.LBB4_3337:                             ;   in Loop: Header=BB4_2791 Depth=2
	s_andn2_saveexec_b64 s[18:19], s[52:53]
; %bb.3338:                             ;   in Loop: Header=BB4_2791 Depth=2
	v_or_b32_sdwa v3, v10, s69 dst_sel:DWORD dst_unused:UNUSED_PAD src0_sel:BYTE_3 src1_sel:DWORD
	v_cmp_eq_u64_e32 vcc, 0, v[36:37]
	v_cndmask_b32_e32 v26, v3, v26, vcc
; %bb.3339:                             ;   in Loop: Header=BB4_2791 Depth=2
	s_or_b64 exec, exec, s[18:19]
	v_lshrrev_b32_e32 v10, 16, v13
	v_cmp_ne_u16_sdwa vcc, v10, v37 src0_sel:BYTE_0 src1_sel:DWORD
	v_mov_b32_e32 v3, 0
	s_and_saveexec_b64 s[18:19], vcc
	s_cbranch_execz .LBB4_3345
; %bb.3340:                             ;   in Loop: Header=BB4_2791 Depth=2
	v_cmp_ne_u16_sdwa vcc, v10, s71 src0_sel:BYTE_0 src1_sel:DWORD
	v_bfrev_b32_e32 v3, 1
	s_and_saveexec_b64 s[52:53], vcc
	s_cbranch_execz .LBB4_3344
; %bb.3341:                             ;   in Loop: Header=BB4_2791 Depth=2
	v_bfe_u32 v11, v13, 16, 7
	v_cmp_ne_u32_e32 vcc, s69, v11
	v_mov_b32_e32 v3, 0x7f800001
	s_and_saveexec_b64 s[54:55], vcc
	s_cbranch_execz .LBB4_3343
; %bb.3342:                             ;   in Loop: Header=BB4_2791 Depth=2
	v_and_b32_e32 v3, 7, v10
	v_ffbh_u32_e32 v14, v3
	v_min_u32_e32 v17, 32, v14
	v_subrev_u32_e32 v14, 28, v17
	v_lshlrev_b64 v[14:15], v14, v[10:11]
	v_lshrrev_b32_e32 v16, 3, v11
	v_sub_u32_e32 v15, 29, v17
	v_and_b32_e32 v14, 7, v14
	v_cmp_gt_u32_e32 vcc, 8, v11
	v_cndmask_b32_e32 v11, v16, v15, vcc
	v_cndmask_b32_e32 v3, v3, v14, vcc
	v_lshlrev_b32_e32 v10, 24, v10
	v_lshlrev_b32_e32 v3, 20, v3
	v_and_b32_e32 v10, 0x80000000, v10
	v_lshl_add_u32 v11, v11, 23, v55
	v_or3_b32 v3, v10, v11, v3
.LBB4_3343:                             ;   in Loop: Header=BB4_2791 Depth=2
	s_or_b64 exec, exec, s[54:55]
.LBB4_3344:                             ;   in Loop: Header=BB4_2791 Depth=2
	s_or_b64 exec, exec, s[52:53]
.LBB4_3345:                             ;   in Loop: Header=BB4_2791 Depth=2
	s_or_b64 exec, exec, s[18:19]
	v_mul_f32_e32 v10, v7, v3
	v_and_b32_sdwa v3, v10, s71 dst_sel:DWORD dst_unused:UNUSED_PAD src0_sel:BYTE_3 src1_sel:DWORD
	v_and_b32_e32 v14, 0x7f800000, v10
	v_mov_b32_e32 v15, v37
	v_and_b32_e32 v36, 0x7fffff, v10
	v_or_b32_e32 v47, 0x7e, v3
	v_cmp_ne_u64_e32 vcc, s[38:39], v[14:15]
	s_and_saveexec_b64 s[18:19], vcc
	s_xor_b64 s[52:53], exec, s[18:19]
	s_cbranch_execz .LBB4_3355
; %bb.3346:                             ;   in Loop: Header=BB4_2791 Depth=2
	v_and_b32_e32 v14, 0x7fffffff, v10
	v_mov_b32_e32 v15, v37
	v_cmp_gt_u64_e32 vcc, s[40:41], v[14:15]
	s_and_saveexec_b64 s[54:55], vcc
	s_cbranch_execz .LBB4_3354
; %bb.3347:                             ;   in Loop: Header=BB4_2791 Depth=2
	v_cmp_ne_u32_e32 vcc, 0, v10
	v_mov_b32_e32 v47, 0
	s_and_saveexec_b64 s[56:57], vcc
	s_cbranch_execz .LBB4_3353
; %bb.3348:                             ;   in Loop: Header=BB4_2791 Depth=2
	v_bfe_u32 v10, v10, 23, 8
	v_sub_u32_e32 v14, 0x79, v10
	v_cmp_gt_u32_e32 vcc, s72, v10
	v_add_u32_e32 v11, 0xffffff81, v10
	v_cndmask_b32_e32 v14, 0, v14, vcc
	v_cmp_eq_u32_e32 vcc, 0, v10
	v_mov_b32_e32 v10, 0xffffff82
	v_cndmask_b32_e32 v16, v11, v10, vcc
	v_mov_b32_e32 v10, 0x78
	v_or_b32_e32 v15, 0x800000, v36
	v_cndmask_b32_e32 v14, v14, v10, vcc
	v_cndmask_b32_e32 v36, v15, v36, vcc
	v_add_u32_e32 v10, 20, v14
	v_lshlrev_b64 v[10:11], v10, -1
	v_add_u32_e32 v15, 19, v14
	v_lshrrev_b64 v[24:25], v14, v[36:37]
	v_not_b32_e32 v11, v11
	v_not_b32_e32 v10, v10
	v_lshlrev_b64 v[60:61], v15, 1
	v_lshrrev_b32_e32 v15, 23, v24
	v_and_b32_e32 v11, 0, v11
	v_and_b32_e32 v10, v36, v10
	v_add3_u32 v16, v14, v16, v15
	v_bfe_u32 v14, v24, 20, 1
	v_add_u32_e32 v14, -1, v14
	v_cmp_eq_u64_e32 vcc, v[10:11], v[60:61]
	v_cndmask_b32_e32 v10, 0, v14, vcc
	v_add_u32_e32 v10, v10, v24
	v_and_b32_e32 v10, 0xfffff, v10
	v_add_co_u32_e32 v10, vcc, v10, v24
	v_add_u32_e32 v15, 6, v16
	v_addc_co_u32_e32 v11, vcc, 0, v25, vcc
	v_cmp_ne_u32_e32 vcc, 0, v15
                                        ; implicit-def: $vgpr14
	s_and_saveexec_b64 s[18:19], vcc
	s_xor_b64 s[18:19], exec, s[18:19]
; %bb.3349:                             ;   in Loop: Header=BB4_2791 Depth=2
	v_add_u32_e32 v14, 7, v16
	v_cmp_lt_u64_e32 vcc, s[44:45], v[10:11]
	v_cndmask_b32_e32 v14, v15, v14, vcc
	v_cndmask_b32_e64 v15, 0, 1, vcc
	v_lshrrev_b64 v[10:11], v15, v[10:11]
; %bb.3350:                             ;   in Loop: Header=BB4_2791 Depth=2
	s_andn2_saveexec_b64 s[18:19], s[18:19]
; %bb.3351:                             ;   in Loop: Header=BB4_2791 Depth=2
	v_bfe_u32 v14, v10, 23, 1
; %bb.3352:                             ;   in Loop: Header=BB4_2791 Depth=2
	s_or_b64 exec, exec, s[18:19]
	v_lshrrev_b64 v[10:11], 20, v[10:11]
	v_cmp_gt_i32_e32 vcc, 16, v14
	v_cndmask_b32_e32 v11, 0, v11, vcc
	v_cndmask_b32_e32 v10, 7, v10, vcc
	v_cmp_eq_u64_e64 s[18:19], 0, v[10:11]
	v_min_i32_e32 v11, 15, v14
	v_lshlrev_b32_e32 v11, 3, v11
	v_cmp_eq_u32_e32 vcc, 0, v14
	v_and_b32_e32 v11, 0xf8, v11
	v_and_or_b32 v10, v10, 7, v11
	s_and_b64 s[18:19], vcc, s[18:19]
	v_cndmask_b32_e64 v10, v10, 0, s[18:19]
	v_or_b32_e32 v47, v10, v3
.LBB4_3353:                             ;   in Loop: Header=BB4_2791 Depth=2
	s_or_b64 exec, exec, s[56:57]
.LBB4_3354:                             ;   in Loop: Header=BB4_2791 Depth=2
	s_or_b64 exec, exec, s[54:55]
                                        ; implicit-def: $vgpr10
.LBB4_3355:                             ;   in Loop: Header=BB4_2791 Depth=2
	s_andn2_saveexec_b64 s[18:19], s[52:53]
; %bb.3356:                             ;   in Loop: Header=BB4_2791 Depth=2
	v_or_b32_sdwa v3, v10, s69 dst_sel:DWORD dst_unused:UNUSED_PAD src0_sel:BYTE_3 src1_sel:DWORD
	v_cmp_eq_u64_e32 vcc, 0, v[36:37]
	v_cndmask_b32_e32 v47, v3, v47, vcc
; %bb.3357:                             ;   in Loop: Header=BB4_2791 Depth=2
	s_or_b64 exec, exec, s[18:19]
	v_cmp_lt_u64_e32 vcc, s[42:43], v[12:13]
	v_mov_b32_e32 v3, 0
	s_and_saveexec_b64 s[18:19], vcc
	s_cbranch_execz .LBB4_3363
; %bb.3358:                             ;   in Loop: Header=BB4_2791 Depth=2
	v_lshrrev_b32_e32 v10, 24, v13
	v_cmp_ne_u32_e32 vcc, s71, v10
	v_bfrev_b32_e32 v3, 1
	s_and_saveexec_b64 s[52:53], vcc
	s_cbranch_execz .LBB4_3362
; %bb.3359:                             ;   in Loop: Header=BB4_2791 Depth=2
	v_bfe_u32 v11, v13, 24, 7
	v_cmp_ne_u32_e32 vcc, s69, v11
	v_mov_b32_e32 v3, 0x7f800001
	s_and_saveexec_b64 s[54:55], vcc
	s_cbranch_execz .LBB4_3361
; %bb.3360:                             ;   in Loop: Header=BB4_2791 Depth=2
	v_and_b32_e32 v3, 7, v10
	v_ffbh_u32_e32 v12, v3
	v_min_u32_e32 v15, 32, v12
	v_subrev_u32_e32 v12, 28, v15
	v_lshlrev_b64 v[12:13], v12, v[10:11]
	v_lshrrev_b32_e32 v14, 3, v11
	v_sub_u32_e32 v13, 29, v15
	v_and_b32_e32 v12, 7, v12
	v_cmp_gt_u32_e32 vcc, 8, v11
	v_cndmask_b32_e32 v11, v14, v13, vcc
	v_cndmask_b32_e32 v3, v3, v12, vcc
	v_lshlrev_b32_e32 v10, 24, v10
	v_lshlrev_b32_e32 v3, 20, v3
	v_and_b32_e32 v10, 0x80000000, v10
	v_lshl_add_u32 v11, v11, 23, v55
	v_or3_b32 v3, v10, v11, v3
.LBB4_3361:                             ;   in Loop: Header=BB4_2791 Depth=2
	s_or_b64 exec, exec, s[54:55]
.LBB4_3362:                             ;   in Loop: Header=BB4_2791 Depth=2
	s_or_b64 exec, exec, s[52:53]
.LBB4_3363:                             ;   in Loop: Header=BB4_2791 Depth=2
	s_or_b64 exec, exec, s[18:19]
	v_mul_f32_e32 v7, v7, v3
	v_and_b32_sdwa v3, v7, s71 dst_sel:DWORD dst_unused:UNUSED_PAD src0_sel:BYTE_3 src1_sel:DWORD
	v_and_b32_e32 v10, 0x7f800000, v7
	v_mov_b32_e32 v11, v37
	v_and_b32_e32 v36, 0x7fffff, v7
	v_or_b32_e32 v49, 0x7e, v3
	v_cmp_ne_u64_e32 vcc, s[38:39], v[10:11]
	s_and_saveexec_b64 s[18:19], vcc
	s_xor_b64 s[52:53], exec, s[18:19]
	s_cbranch_execz .LBB4_3373
; %bb.3364:                             ;   in Loop: Header=BB4_2791 Depth=2
	v_and_b32_e32 v10, 0x7fffffff, v7
	v_mov_b32_e32 v11, v37
	v_cmp_gt_u64_e32 vcc, s[40:41], v[10:11]
	s_and_saveexec_b64 s[54:55], vcc
	s_cbranch_execz .LBB4_3372
; %bb.3365:                             ;   in Loop: Header=BB4_2791 Depth=2
	v_cmp_ne_u32_e32 vcc, 0, v7
	v_mov_b32_e32 v49, 0
	s_and_saveexec_b64 s[56:57], vcc
	s_cbranch_execz .LBB4_3371
; %bb.3366:                             ;   in Loop: Header=BB4_2791 Depth=2
	v_bfe_u32 v7, v7, 23, 8
	v_sub_u32_e32 v11, 0x79, v7
	v_cmp_gt_u32_e32 vcc, s72, v7
	v_add_u32_e32 v10, 0xffffff81, v7
	v_cndmask_b32_e32 v11, 0, v11, vcc
	v_cmp_eq_u32_e32 vcc, 0, v7
	v_mov_b32_e32 v7, 0xffffff82
	v_cndmask_b32_e32 v7, v10, v7, vcc
	v_mov_b32_e32 v10, 0x78
	v_or_b32_e32 v12, 0x800000, v36
	v_cndmask_b32_e32 v13, v11, v10, vcc
	v_cndmask_b32_e32 v36, v12, v36, vcc
	v_add_u32_e32 v10, 20, v13
	v_lshlrev_b64 v[10:11], v10, -1
	v_add_u32_e32 v12, 19, v13
	v_lshrrev_b64 v[16:17], v13, v[36:37]
	v_not_b32_e32 v11, v11
	v_not_b32_e32 v10, v10
	v_lshlrev_b64 v[14:15], v12, 1
	v_lshrrev_b32_e32 v12, 23, v16
	v_and_b32_e32 v11, 0, v11
	v_and_b32_e32 v10, v36, v10
	v_add3_u32 v13, v13, v7, v12
	v_bfe_u32 v7, v16, 20, 1
	v_add_u32_e32 v7, -1, v7
	v_cmp_eq_u64_e32 vcc, v[10:11], v[14:15]
	v_cndmask_b32_e32 v7, 0, v7, vcc
	v_add_u32_e32 v7, v7, v16
	v_and_b32_e32 v7, 0xfffff, v7
	v_add_co_u32_e32 v10, vcc, v7, v16
	v_add_u32_e32 v12, 6, v13
	v_addc_co_u32_e32 v11, vcc, 0, v17, vcc
	v_cmp_ne_u32_e32 vcc, 0, v12
                                        ; implicit-def: $vgpr7
	s_and_saveexec_b64 s[18:19], vcc
	s_xor_b64 s[18:19], exec, s[18:19]
; %bb.3367:                             ;   in Loop: Header=BB4_2791 Depth=2
	v_add_u32_e32 v7, 7, v13
	v_cmp_lt_u64_e32 vcc, s[44:45], v[10:11]
	v_cndmask_b32_e32 v7, v12, v7, vcc
	v_cndmask_b32_e64 v12, 0, 1, vcc
	v_lshrrev_b64 v[10:11], v12, v[10:11]
; %bb.3368:                             ;   in Loop: Header=BB4_2791 Depth=2
	s_andn2_saveexec_b64 s[18:19], s[18:19]
; %bb.3369:                             ;   in Loop: Header=BB4_2791 Depth=2
	v_bfe_u32 v7, v10, 23, 1
; %bb.3370:                             ;   in Loop: Header=BB4_2791 Depth=2
	s_or_b64 exec, exec, s[18:19]
	v_lshrrev_b64 v[10:11], 20, v[10:11]
	v_cmp_gt_i32_e32 vcc, 16, v7
	v_cndmask_b32_e32 v11, 0, v11, vcc
	v_cndmask_b32_e32 v10, 7, v10, vcc
	v_cmp_eq_u32_e32 vcc, 0, v7
	v_min_i32_e32 v7, 15, v7
	v_lshlrev_b32_e32 v7, 3, v7
	v_cmp_eq_u64_e64 s[18:19], 0, v[10:11]
	v_and_b32_e32 v7, 0xf8, v7
	v_and_or_b32 v7, v10, 7, v7
	s_and_b64 s[18:19], vcc, s[18:19]
	v_cndmask_b32_e64 v7, v7, 0, s[18:19]
	v_or_b32_e32 v49, v7, v3
.LBB4_3371:                             ;   in Loop: Header=BB4_2791 Depth=2
	s_or_b64 exec, exec, s[56:57]
.LBB4_3372:                             ;   in Loop: Header=BB4_2791 Depth=2
	s_or_b64 exec, exec, s[54:55]
                                        ; implicit-def: $vgpr7
.LBB4_3373:                             ;   in Loop: Header=BB4_2791 Depth=2
	s_andn2_saveexec_b64 s[18:19], s[52:53]
; %bb.3374:                             ;   in Loop: Header=BB4_2791 Depth=2
	v_or_b32_sdwa v3, v7, s69 dst_sel:DWORD dst_unused:UNUSED_PAD src0_sel:BYTE_3 src1_sel:DWORD
	v_cmp_eq_u64_e32 vcc, 0, v[36:37]
	v_cndmask_b32_e32 v49, v3, v49, vcc
; %bb.3375:                             ;   in Loop: Header=BB4_2791 Depth=2
	s_or_b64 exec, exec, s[18:19]
	global_load_dwordx4 v[14:17], v[42:43], off glc slc
	global_load_dwordx4 v[10:13], v[42:43], off offset:1024 glc slc
	v_lshlrev_b32_e32 v3, 8, v9
	v_cmp_ne_u16_sdwa vcc, v1, v37 src0_sel:BYTE_0 src1_sel:DWORD
	v_mov_b32_e32 v7, 0
	v_mov_b32_e32 v9, 0
	s_and_saveexec_b64 s[18:19], vcc
	s_cbranch_execz .LBB4_3381
; %bb.3376:                             ;   in Loop: Header=BB4_2791 Depth=2
	v_cmp_ne_u16_sdwa vcc, v1, s71 src0_sel:BYTE_0 src1_sel:DWORD
	v_bfrev_b32_e32 v9, 1
	s_and_saveexec_b64 s[52:53], vcc
	s_cbranch_execz .LBB4_3380
; %bb.3377:                             ;   in Loop: Header=BB4_2791 Depth=2
	v_and_b32_e32 v23, 0x7f, v1
	v_cmp_ne_u32_e32 vcc, s69, v23
	v_mov_b32_e32 v9, 0x7f800001
	s_and_saveexec_b64 s[54:55], vcc
	s_cbranch_execz .LBB4_3379
; %bb.3378:                             ;   in Loop: Header=BB4_2791 Depth=2
	v_and_b32_e32 v9, 7, v1
	v_ffbh_u32_e32 v9, v9
	v_min_u32_e32 v9, 32, v9
	v_subrev_u32_e32 v27, 28, v9
	v_cmp_gt_u32_e32 vcc, 8, v23
	v_lshrrev_b32_e32 v25, 3, v23
	v_perm_b32 v24, v3, v1, s73
	v_sub_u32_e32 v9, 29, v9
	v_cndmask_b32_e32 v23, 0, v27, vcc
	v_cndmask_b32_e32 v9, v25, v9, vcc
	v_lshlrev_b64 v[24:25], v23, v[24:25]
	v_lshlrev_b32_e32 v23, 20, v24
	v_lshlrev_b32_e32 v1, 24, v1
	v_and_b32_e32 v23, 0x700000, v23
	v_and_b32_e32 v1, 0x80000000, v1
	v_lshl_add_u32 v9, v9, 23, v55
	v_or3_b32 v9, v1, v9, v23
.LBB4_3379:                             ;   in Loop: Header=BB4_2791 Depth=2
	s_or_b64 exec, exec, s[54:55]
.LBB4_3380:                             ;   in Loop: Header=BB4_2791 Depth=2
	s_or_b64 exec, exec, s[52:53]
.LBB4_3381:                             ;   in Loop: Header=BB4_2791 Depth=2
	s_or_b64 exec, exec, s[18:19]
	s_waitcnt vmcnt(1)
	v_cmp_ne_u16_sdwa vcc, v14, v37 src0_sel:BYTE_0 src1_sel:DWORD
	s_and_saveexec_b64 s[18:19], vcc
	s_cbranch_execz .LBB4_3387
; %bb.3382:                             ;   in Loop: Header=BB4_2791 Depth=2
	v_cmp_ne_u16_sdwa vcc, v14, s71 src0_sel:BYTE_0 src1_sel:DWORD
	v_bfrev_b32_e32 v7, 1
	s_and_saveexec_b64 s[52:53], vcc
	s_cbranch_execz .LBB4_3386
; %bb.3383:                             ;   in Loop: Header=BB4_2791 Depth=2
	v_and_b32_e32 v1, 0x7f, v14
	v_cmp_ne_u32_e32 vcc, s69, v1
	v_mov_b32_e32 v7, 0x7f800001
	s_and_saveexec_b64 s[54:55], vcc
	s_cbranch_execz .LBB4_3385
; %bb.3384:                             ;   in Loop: Header=BB4_2791 Depth=2
	v_and_b32_e32 v7, 7, v14
	v_ffbh_u32_e32 v7, v7
	v_min_u32_e32 v7, 32, v7
	v_lshrrev_b32_e32 v23, 3, v1
	v_subrev_u32_e32 v24, 28, v7
	v_sub_u32_e32 v7, 29, v7
	v_cmp_gt_u32_e32 vcc, 8, v1
	v_cndmask_b32_e32 v1, v23, v7, vcc
	v_cndmask_b32_e32 v7, 0, v24, vcc
	v_lshlrev_b64 v[24:25], v7, v[14:15]
	v_lshlrev_b32_e32 v7, 20, v24
	v_lshlrev_b32_e32 v23, 24, v14
	v_and_b32_e32 v7, 0x700000, v7
	v_and_b32_e32 v23, 0x80000000, v23
	v_lshl_add_u32 v1, v1, 23, v55
	v_or3_b32 v7, v23, v1, v7
.LBB4_3385:                             ;   in Loop: Header=BB4_2791 Depth=2
	s_or_b64 exec, exec, s[54:55]
.LBB4_3386:                             ;   in Loop: Header=BB4_2791 Depth=2
	s_or_b64 exec, exec, s[52:53]
.LBB4_3387:                             ;   in Loop: Header=BB4_2791 Depth=2
	s_or_b64 exec, exec, s[18:19]
	v_add_f32_e32 v7, v9, v7
	v_and_b32_sdwa v1, v7, s71 dst_sel:DWORD dst_unused:UNUSED_PAD src0_sel:BYTE_3 src1_sel:DWORD
	v_and_b32_e32 v24, 0x7f800000, v7
	v_mov_b32_e32 v25, v37
	v_and_b32_e32 v36, 0x7fffff, v7
	v_or_b32_e32 v9, 0x7e, v1
	v_cmp_ne_u64_e32 vcc, s[38:39], v[24:25]
	buffer_store_dword v9, off, s[0:3], s33 offset:128 ; 4-byte Folded Spill
	s_and_saveexec_b64 s[18:19], vcc
	s_xor_b64 s[52:53], exec, s[18:19]
	s_cbranch_execz .LBB4_3397
; %bb.3388:                             ;   in Loop: Header=BB4_2791 Depth=2
	v_and_b32_e32 v24, 0x7fffffff, v7
	v_mov_b32_e32 v25, v37
	v_cmp_gt_u64_e32 vcc, s[40:41], v[24:25]
	s_and_saveexec_b64 s[54:55], vcc
	s_cbranch_execz .LBB4_3396
; %bb.3389:                             ;   in Loop: Header=BB4_2791 Depth=2
	v_cmp_ne_u32_e32 vcc, 0, v7
	v_mov_b32_e32 v9, 0
	buffer_store_dword v9, off, s[0:3], s33 offset:128 ; 4-byte Folded Spill
	s_and_saveexec_b64 s[56:57], vcc
	s_cbranch_execz .LBB4_3395
; %bb.3390:                             ;   in Loop: Header=BB4_2791 Depth=2
	v_bfe_u32 v7, v7, 23, 8
	v_sub_u32_e32 v23, 0x79, v7
	v_cmp_gt_u32_e32 vcc, s72, v7
	v_add_u32_e32 v9, 0xffffff81, v7
	v_cndmask_b32_e32 v23, 0, v23, vcc
	v_cmp_eq_u32_e32 vcc, 0, v7
	v_mov_b32_e32 v7, 0xffffff82
	v_cndmask_b32_e32 v7, v9, v7, vcc
	v_mov_b32_e32 v9, 0x78
	v_cndmask_b32_e32 v9, v23, v9, vcc
	v_or_b32_e32 v24, 0x800000, v36
	v_add_u32_e32 v23, 20, v9
	v_cndmask_b32_e32 v36, v24, v36, vcc
	v_lshlrev_b64 v[24:25], v23, -1
	v_not_b32_e32 v23, v25
	v_and_b32_e32 v25, 0, v23
	v_add_u32_e32 v23, 19, v9
	v_lshrrev_b64 v[50:51], v9, v[36:37]
	v_not_b32_e32 v24, v24
	v_lshlrev_b64 v[60:61], v23, 1
	v_lshrrev_b32_e32 v23, 23, v50
	v_and_b32_e32 v24, v36, v24
	v_add3_u32 v23, v9, v7, v23
	v_bfe_u32 v7, v50, 20, 1
	v_add_u32_e32 v7, -1, v7
	v_cmp_eq_u64_e32 vcc, v[24:25], v[60:61]
	v_cndmask_b32_e32 v7, 0, v7, vcc
	v_add_u32_e32 v7, v7, v50
	v_and_b32_e32 v7, 0xfffff, v7
	v_add_co_u32_e32 v60, vcc, v7, v50
	v_add_u32_e32 v9, 6, v23
	v_addc_co_u32_e32 v61, vcc, 0, v51, vcc
	v_cmp_ne_u32_e32 vcc, 0, v9
                                        ; implicit-def: $vgpr7
	s_and_saveexec_b64 s[18:19], vcc
	s_xor_b64 s[18:19], exec, s[18:19]
; %bb.3391:                             ;   in Loop: Header=BB4_2791 Depth=2
	v_add_u32_e32 v7, 7, v23
	v_cmp_lt_u64_e32 vcc, s[44:45], v[60:61]
	v_cndmask_b32_e32 v7, v9, v7, vcc
	v_cndmask_b32_e64 v9, 0, 1, vcc
	v_lshrrev_b64 v[60:61], v9, v[60:61]
; %bb.3392:                             ;   in Loop: Header=BB4_2791 Depth=2
	s_andn2_saveexec_b64 s[18:19], s[18:19]
; %bb.3393:                             ;   in Loop: Header=BB4_2791 Depth=2
	v_bfe_u32 v7, v60, 23, 1
; %bb.3394:                             ;   in Loop: Header=BB4_2791 Depth=2
	s_or_b64 exec, exec, s[18:19]
	v_lshrrev_b64 v[24:25], 20, v[60:61]
	v_cmp_gt_i32_e32 vcc, 16, v7
	v_cndmask_b32_e32 v25, 0, v25, vcc
	v_cndmask_b32_e32 v24, 7, v24, vcc
	v_cmp_eq_u32_e32 vcc, 0, v7
	v_min_i32_e32 v7, 15, v7
	v_cmp_eq_u64_e64 s[18:19], 0, v[24:25]
	v_lshlrev_b32_e32 v7, 3, v7
	v_and_or_b32 v7, v24, 7, v7
	s_and_b64 s[18:19], vcc, s[18:19]
	v_cndmask_b32_e64 v7, v7, 0, s[18:19]
	v_or_b32_e32 v1, v7, v1
	buffer_store_dword v1, off, s[0:3], s33 offset:128 ; 4-byte Folded Spill
.LBB4_3395:                             ;   in Loop: Header=BB4_2791 Depth=2
	s_or_b64 exec, exec, s[56:57]
.LBB4_3396:                             ;   in Loop: Header=BB4_2791 Depth=2
	s_or_b64 exec, exec, s[54:55]
                                        ; implicit-def: $vgpr7
.LBB4_3397:                             ;   in Loop: Header=BB4_2791 Depth=2
	s_andn2_saveexec_b64 s[18:19], s[52:53]
	s_cbranch_execz .LBB4_3399
; %bb.3398:                             ;   in Loop: Header=BB4_2791 Depth=2
	v_or_b32_sdwa v1, v7, s69 dst_sel:DWORD dst_unused:UNUSED_PAD src0_sel:BYTE_3 src1_sel:DWORD
	buffer_load_dword v7, off, s[0:3], s33 offset:128 ; 4-byte Folded Reload
	v_cmp_eq_u64_e32 vcc, 0, v[36:37]
	s_waitcnt vmcnt(0)
	v_cndmask_b32_e32 v7, v1, v7, vcc
	buffer_store_dword v7, off, s[0:3], s33 offset:128 ; 4-byte Folded Spill
.LBB4_3399:                             ;   in Loop: Header=BB4_2791 Depth=2
	s_or_b64 exec, exec, s[18:19]
	v_lshrrev_b16_e32 v24, 8, v3
	v_cmp_ne_u16_e32 vcc, 0, v24
	v_mov_b32_e32 v1, 0
	v_mov_b32_e32 v7, 0
	s_and_saveexec_b64 s[18:19], vcc
	s_cbranch_execz .LBB4_3405
; %bb.3400:                             ;   in Loop: Header=BB4_2791 Depth=2
	v_cmp_ne_u16_e32 vcc, s71, v24
	v_bfrev_b32_e32 v7, 1
	s_and_saveexec_b64 s[52:53], vcc
	s_cbranch_execz .LBB4_3404
; %bb.3401:                             ;   in Loop: Header=BB4_2791 Depth=2
	v_and_b32_e32 v9, 0x7f, v24
	v_cmp_ne_u32_e32 vcc, s69, v9
	v_mov_b32_e32 v7, 0x7f800001
	s_and_saveexec_b64 s[54:55], vcc
	s_cbranch_execz .LBB4_3403
; %bb.3402:                             ;   in Loop: Header=BB4_2791 Depth=2
	v_and_b32_e32 v7, 7, v24
	v_ffbh_u32_e32 v25, v7
	v_min_u32_e32 v27, 32, v25
	v_subrev_u32_e32 v25, 28, v27
	v_lshlrev_b64 v[24:25], v25, v[24:25]
	v_lshrrev_b32_e32 v23, 3, v9
	v_sub_u32_e32 v25, 29, v27
	v_and_b32_e32 v24, 7, v24
	v_cmp_gt_u32_e32 vcc, 8, v9
	v_cndmask_b32_e32 v9, v23, v25, vcc
	v_cndmask_b32_e32 v7, v7, v24, vcc
	v_lshlrev_b32_e32 v3, 16, v3
	v_lshlrev_b32_e32 v7, 20, v7
	v_and_b32_e32 v3, 0x80000000, v3
	v_lshl_add_u32 v9, v9, 23, v55
	v_or3_b32 v7, v3, v9, v7
.LBB4_3403:                             ;   in Loop: Header=BB4_2791 Depth=2
	s_or_b64 exec, exec, s[54:55]
.LBB4_3404:                             ;   in Loop: Header=BB4_2791 Depth=2
	s_or_b64 exec, exec, s[52:53]
.LBB4_3405:                             ;   in Loop: Header=BB4_2791 Depth=2
	s_or_b64 exec, exec, s[18:19]
	v_lshrrev_b16_e32 v24, 8, v14
	v_cmp_ne_u16_e32 vcc, 0, v24
	s_and_saveexec_b64 s[18:19], vcc
	s_cbranch_execz .LBB4_3411
; %bb.3406:                             ;   in Loop: Header=BB4_2791 Depth=2
	v_cmp_ne_u16_e32 vcc, s71, v24
	v_bfrev_b32_e32 v1, 1
	s_and_saveexec_b64 s[52:53], vcc
	s_cbranch_execz .LBB4_3410
; %bb.3407:                             ;   in Loop: Header=BB4_2791 Depth=2
	v_and_b32_e32 v3, 0x7f, v24
	v_cmp_ne_u32_e32 vcc, s69, v3
	v_mov_b32_e32 v1, 0x7f800001
	s_and_saveexec_b64 s[54:55], vcc
	s_cbranch_execz .LBB4_3409
; %bb.3408:                             ;   in Loop: Header=BB4_2791 Depth=2
	v_and_b32_e32 v1, 7, v24
	v_ffbh_u32_e32 v23, v1
	v_min_u32_e32 v23, 32, v23
	v_subrev_u32_e32 v25, 28, v23
	v_lshlrev_b64 v[24:25], v25, v[24:25]
	v_lshrrev_b32_e32 v9, 3, v3
	v_sub_u32_e32 v23, 29, v23
	v_and_b32_e32 v24, 7, v24
	v_cmp_gt_u32_e32 vcc, 8, v3
	v_cndmask_b32_e32 v3, v9, v23, vcc
	v_cndmask_b32_e32 v1, v1, v24, vcc
	v_lshlrev_b32_e32 v9, 16, v14
	v_lshlrev_b32_e32 v1, 20, v1
	v_and_b32_e32 v9, 0x80000000, v9
	v_lshl_add_u32 v3, v3, 23, v55
	v_or3_b32 v1, v9, v3, v1
.LBB4_3409:                             ;   in Loop: Header=BB4_2791 Depth=2
	s_or_b64 exec, exec, s[54:55]
.LBB4_3410:                             ;   in Loop: Header=BB4_2791 Depth=2
	s_or_b64 exec, exec, s[52:53]
.LBB4_3411:                             ;   in Loop: Header=BB4_2791 Depth=2
	s_or_b64 exec, exec, s[18:19]
	v_add_f32_e32 v7, v7, v1
	v_and_b32_sdwa v3, v7, s71 dst_sel:DWORD dst_unused:UNUSED_PAD src0_sel:BYTE_3 src1_sel:DWORD
	v_and_b32_e32 v24, 0x7f800000, v7
	v_mov_b32_e32 v25, v37
	v_and_b32_e32 v36, 0x7fffff, v7
	v_or_b32_e32 v1, 0x7e, v3
	v_cmp_ne_u64_e32 vcc, s[38:39], v[24:25]
	s_and_saveexec_b64 s[18:19], vcc
	s_xor_b64 s[52:53], exec, s[18:19]
	s_cbranch_execz .LBB4_3421
; %bb.3412:                             ;   in Loop: Header=BB4_2791 Depth=2
	v_and_b32_e32 v24, 0x7fffffff, v7
	v_mov_b32_e32 v25, v37
	v_cmp_gt_u64_e32 vcc, s[40:41], v[24:25]
	s_and_saveexec_b64 s[54:55], vcc
	s_cbranch_execz .LBB4_3420
; %bb.3413:                             ;   in Loop: Header=BB4_2791 Depth=2
	v_cmp_ne_u32_e32 vcc, 0, v7
	v_mov_b32_e32 v1, 0
	s_and_saveexec_b64 s[56:57], vcc
	s_cbranch_execz .LBB4_3419
; %bb.3414:                             ;   in Loop: Header=BB4_2791 Depth=2
	v_bfe_u32 v1, v7, 23, 8
	v_sub_u32_e32 v9, 0x79, v1
	v_cmp_gt_u32_e32 vcc, s72, v1
	v_add_u32_e32 v7, 0xffffff81, v1
	v_cndmask_b32_e32 v9, 0, v9, vcc
	v_cmp_eq_u32_e32 vcc, 0, v1
	v_mov_b32_e32 v1, 0xffffff82
	v_cndmask_b32_e32 v1, v7, v1, vcc
	v_mov_b32_e32 v7, 0x78
	v_cndmask_b32_e32 v7, v9, v7, vcc
	v_add_u32_e32 v9, 20, v7
	v_or_b32_e32 v23, 0x800000, v36
	v_lshlrev_b64 v[24:25], v9, -1
	v_cndmask_b32_e32 v36, v23, v36, vcc
	v_not_b32_e32 v9, v25
	v_and_b32_e32 v25, 0, v9
	v_add_u32_e32 v9, 19, v7
	v_lshrrev_b64 v[60:61], v7, v[36:37]
	v_not_b32_e32 v23, v24
	v_lshlrev_b64 v[50:51], v9, 1
	v_lshrrev_b32_e32 v9, 23, v60
	v_and_b32_e32 v24, v36, v23
	v_add3_u32 v9, v7, v1, v9
	v_bfe_u32 v1, v60, 20, 1
	v_add_u32_e32 v1, -1, v1
	v_cmp_eq_u64_e32 vcc, v[24:25], v[50:51]
	v_cndmask_b32_e32 v1, 0, v1, vcc
	v_add_u32_e32 v1, v1, v60
	v_and_b32_e32 v1, 0xfffff, v1
	v_add_co_u32_e32 v60, vcc, v1, v60
	v_add_u32_e32 v7, 6, v9
	v_addc_co_u32_e32 v61, vcc, 0, v61, vcc
	v_cmp_ne_u32_e32 vcc, 0, v7
                                        ; implicit-def: $vgpr1
	s_and_saveexec_b64 s[18:19], vcc
	s_xor_b64 s[18:19], exec, s[18:19]
; %bb.3415:                             ;   in Loop: Header=BB4_2791 Depth=2
	v_add_u32_e32 v1, 7, v9
	v_cmp_lt_u64_e32 vcc, s[44:45], v[60:61]
	v_cndmask_b32_e32 v1, v7, v1, vcc
	v_cndmask_b32_e64 v7, 0, 1, vcc
	v_lshrrev_b64 v[60:61], v7, v[60:61]
; %bb.3416:                             ;   in Loop: Header=BB4_2791 Depth=2
	s_andn2_saveexec_b64 s[18:19], s[18:19]
; %bb.3417:                             ;   in Loop: Header=BB4_2791 Depth=2
	v_bfe_u32 v1, v60, 23, 1
; %bb.3418:                             ;   in Loop: Header=BB4_2791 Depth=2
	s_or_b64 exec, exec, s[18:19]
	v_lshrrev_b64 v[24:25], 20, v[60:61]
	v_cmp_gt_i32_e32 vcc, 16, v1
	v_cndmask_b32_e32 v25, 0, v25, vcc
	v_cndmask_b32_e32 v24, 7, v24, vcc
	v_cmp_eq_u32_e32 vcc, 0, v1
	v_min_i32_e32 v1, 15, v1
	v_cmp_eq_u64_e64 s[18:19], 0, v[24:25]
	v_lshlrev_b32_e32 v1, 3, v1
	v_and_or_b32 v1, v24, 7, v1
	s_and_b64 s[18:19], vcc, s[18:19]
	v_cndmask_b32_e64 v1, v1, 0, s[18:19]
	v_or_b32_e32 v1, v1, v3
.LBB4_3419:                             ;   in Loop: Header=BB4_2791 Depth=2
	s_or_b64 exec, exec, s[56:57]
.LBB4_3420:                             ;   in Loop: Header=BB4_2791 Depth=2
	s_or_b64 exec, exec, s[54:55]
                                        ; implicit-def: $vgpr7
.LBB4_3421:                             ;   in Loop: Header=BB4_2791 Depth=2
	s_andn2_saveexec_b64 s[18:19], s[52:53]
; %bb.3422:                             ;   in Loop: Header=BB4_2791 Depth=2
	v_or_b32_sdwa v3, v7, s69 dst_sel:DWORD dst_unused:UNUSED_PAD src0_sel:BYTE_3 src1_sel:DWORD
	v_cmp_eq_u64_e32 vcc, 0, v[36:37]
	v_cndmask_b32_e32 v1, v3, v1, vcc
; %bb.3423:                             ;   in Loop: Header=BB4_2791 Depth=2
	s_or_b64 exec, exec, s[18:19]
	v_cmp_ne_u16_sdwa vcc, v2, v37 src0_sel:BYTE_0 src1_sel:DWORD
	v_mov_b32_e32 v3, 0
	v_mov_b32_e32 v7, 0
	s_and_saveexec_b64 s[18:19], vcc
	s_cbranch_execz .LBB4_3429
; %bb.3424:                             ;   in Loop: Header=BB4_2791 Depth=2
	v_cmp_ne_u16_sdwa vcc, v2, s71 src0_sel:BYTE_0 src1_sel:DWORD
	v_bfrev_b32_e32 v7, 1
	s_and_saveexec_b64 s[52:53], vcc
	s_cbranch_execz .LBB4_3428
; %bb.3425:                             ;   in Loop: Header=BB4_2791 Depth=2
	v_and_b32_e32 v9, 0x7f, v2
	v_cmp_ne_u32_e32 vcc, s69, v9
	v_mov_b32_e32 v7, 0x7f800001
	s_and_saveexec_b64 s[54:55], vcc
	s_cbranch_execz .LBB4_3427
; %bb.3426:                             ;   in Loop: Header=BB4_2791 Depth=2
	v_and_b32_e32 v7, 7, v2
	v_ffbh_u32_e32 v24, v7
	v_min_u32_e32 v27, 32, v24
	v_subrev_u32_e32 v24, 28, v27
	v_lshlrev_b64 v[24:25], v24, v[2:3]
	v_lshrrev_b32_e32 v23, 3, v9
	v_sub_u32_e32 v25, 29, v27
	v_and_b32_e32 v24, 7, v24
	v_cmp_gt_u32_e32 vcc, 8, v9
	v_cndmask_b32_e32 v9, v23, v25, vcc
	v_cndmask_b32_e32 v7, v7, v24, vcc
	v_lshlrev_b32_e32 v2, 24, v2
	v_lshlrev_b32_e32 v7, 20, v7
	v_and_b32_e32 v2, 0x80000000, v2
	v_lshl_add_u32 v9, v9, 23, v55
	v_or3_b32 v7, v2, v9, v7
.LBB4_3427:                             ;   in Loop: Header=BB4_2791 Depth=2
	s_or_b64 exec, exec, s[54:55]
.LBB4_3428:                             ;   in Loop: Header=BB4_2791 Depth=2
	s_or_b64 exec, exec, s[52:53]
.LBB4_3429:                             ;   in Loop: Header=BB4_2791 Depth=2
	s_or_b64 exec, exec, s[18:19]
	v_lshrrev_b32_e32 v2, 16, v14
	v_cmp_ne_u16_sdwa vcc, v2, v37 src0_sel:BYTE_0 src1_sel:DWORD
	s_and_saveexec_b64 s[18:19], vcc
	s_cbranch_execz .LBB4_3435
; %bb.3430:                             ;   in Loop: Header=BB4_2791 Depth=2
	v_cmp_ne_u16_sdwa vcc, v2, s71 src0_sel:BYTE_0 src1_sel:DWORD
	v_bfrev_b32_e32 v3, 1
	s_and_saveexec_b64 s[52:53], vcc
	s_cbranch_execz .LBB4_3434
; %bb.3431:                             ;   in Loop: Header=BB4_2791 Depth=2
	v_bfe_u32 v9, v14, 16, 7
	v_cmp_ne_u32_e32 vcc, s69, v9
	v_mov_b32_e32 v3, 0x7f800001
	s_and_saveexec_b64 s[54:55], vcc
	s_cbranch_execz .LBB4_3433
; %bb.3432:                             ;   in Loop: Header=BB4_2791 Depth=2
	v_and_b32_e32 v23, 7, v2
	v_ffbh_u32_e32 v3, v23
	v_min_u32_e32 v25, 32, v3
	v_subrev_u32_e32 v3, 28, v25
	v_lshlrev_b64 v[2:3], v3, v[2:3]
	v_lshrrev_b32_e32 v24, 3, v9
	v_sub_u32_e32 v3, 29, v25
	v_and_b32_e32 v2, 7, v2
	v_cmp_gt_u32_e32 vcc, 8, v9
	v_cndmask_b32_e32 v3, v24, v3, vcc
	v_cndmask_b32_e32 v2, v23, v2, vcc
	v_lshlrev_b32_e32 v9, 8, v14
	v_lshlrev_b32_e32 v2, 20, v2
	v_and_b32_e32 v9, 0x80000000, v9
	v_lshl_add_u32 v3, v3, 23, v55
	v_or3_b32 v3, v9, v3, v2
.LBB4_3433:                             ;   in Loop: Header=BB4_2791 Depth=2
	s_or_b64 exec, exec, s[54:55]
.LBB4_3434:                             ;   in Loop: Header=BB4_2791 Depth=2
	s_or_b64 exec, exec, s[52:53]
.LBB4_3435:                             ;   in Loop: Header=BB4_2791 Depth=2
	s_or_b64 exec, exec, s[18:19]
	v_add_f32_e32 v2, v7, v3
	v_and_b32_sdwa v7, v2, s71 dst_sel:DWORD dst_unused:UNUSED_PAD src0_sel:BYTE_3 src1_sel:DWORD
	v_and_b32_e32 v24, 0x7f800000, v2
	v_mov_b32_e32 v25, v37
	v_and_b32_e32 v36, 0x7fffff, v2
	v_or_b32_e32 v27, 0x7e, v7
	v_cmp_ne_u64_e32 vcc, s[38:39], v[24:25]
	s_and_saveexec_b64 s[18:19], vcc
	s_xor_b64 s[52:53], exec, s[18:19]
	s_cbranch_execz .LBB4_3445
; %bb.3436:                             ;   in Loop: Header=BB4_2791 Depth=2
	v_and_b32_e32 v24, 0x7fffffff, v2
	v_mov_b32_e32 v25, v37
	v_cmp_gt_u64_e32 vcc, s[40:41], v[24:25]
	s_and_saveexec_b64 s[54:55], vcc
	s_cbranch_execz .LBB4_3444
; %bb.3437:                             ;   in Loop: Header=BB4_2791 Depth=2
	v_cmp_ne_u32_e32 vcc, 0, v2
	v_mov_b32_e32 v27, 0
	s_and_saveexec_b64 s[56:57], vcc
	s_cbranch_execz .LBB4_3443
; %bb.3438:                             ;   in Loop: Header=BB4_2791 Depth=2
	v_bfe_u32 v2, v2, 23, 8
	v_sub_u32_e32 v9, 0x79, v2
	v_cmp_gt_u32_e32 vcc, s72, v2
	v_add_u32_e32 v3, 0xffffff81, v2
	v_cndmask_b32_e32 v9, 0, v9, vcc
	v_cmp_eq_u32_e32 vcc, 0, v2
	v_mov_b32_e32 v2, 0xffffff82
	v_cndmask_b32_e32 v24, v3, v2, vcc
	v_mov_b32_e32 v2, 0x78
	v_or_b32_e32 v23, 0x800000, v36
	v_cndmask_b32_e32 v9, v9, v2, vcc
	v_cndmask_b32_e32 v36, v23, v36, vcc
	v_add_u32_e32 v2, 20, v9
	v_lshlrev_b64 v[2:3], v2, -1
	v_add_u32_e32 v23, 19, v9
	v_lshrrev_b64 v[60:61], v9, v[36:37]
	v_not_b32_e32 v3, v3
	v_not_b32_e32 v2, v2
	v_lshlrev_b64 v[50:51], v23, 1
	v_lshrrev_b32_e32 v23, 23, v60
	v_and_b32_e32 v3, 0, v3
	v_and_b32_e32 v2, v36, v2
	v_add3_u32 v24, v9, v24, v23
	v_bfe_u32 v9, v60, 20, 1
	v_add_u32_e32 v9, -1, v9
	v_cmp_eq_u64_e32 vcc, v[2:3], v[50:51]
	v_cndmask_b32_e32 v2, 0, v9, vcc
	v_add_u32_e32 v2, v2, v60
	v_and_b32_e32 v2, 0xfffff, v2
	v_add_co_u32_e32 v2, vcc, v2, v60
	v_add_u32_e32 v23, 6, v24
	v_addc_co_u32_e32 v3, vcc, 0, v61, vcc
	v_cmp_ne_u32_e32 vcc, 0, v23
                                        ; implicit-def: $vgpr9
	s_and_saveexec_b64 s[18:19], vcc
	s_xor_b64 s[18:19], exec, s[18:19]
; %bb.3439:                             ;   in Loop: Header=BB4_2791 Depth=2
	v_add_u32_e32 v9, 7, v24
	v_cmp_lt_u64_e32 vcc, s[44:45], v[2:3]
	v_cndmask_b32_e32 v9, v23, v9, vcc
	v_cndmask_b32_e64 v23, 0, 1, vcc
	v_lshrrev_b64 v[2:3], v23, v[2:3]
; %bb.3440:                             ;   in Loop: Header=BB4_2791 Depth=2
	s_andn2_saveexec_b64 s[18:19], s[18:19]
; %bb.3441:                             ;   in Loop: Header=BB4_2791 Depth=2
	v_bfe_u32 v9, v2, 23, 1
; %bb.3442:                             ;   in Loop: Header=BB4_2791 Depth=2
	s_or_b64 exec, exec, s[18:19]
	v_lshrrev_b64 v[2:3], 20, v[2:3]
	v_cmp_gt_i32_e32 vcc, 16, v9
	v_cndmask_b32_e32 v3, 0, v3, vcc
	v_cndmask_b32_e32 v2, 7, v2, vcc
	v_cmp_eq_u64_e64 s[18:19], 0, v[2:3]
	v_min_i32_e32 v3, 15, v9
	v_cmp_eq_u32_e32 vcc, 0, v9
	v_lshlrev_b32_e32 v3, 3, v3
	v_and_or_b32 v2, v2, 7, v3
	s_and_b64 s[18:19], vcc, s[18:19]
	v_cndmask_b32_e64 v2, v2, 0, s[18:19]
	v_or_b32_e32 v27, v2, v7
.LBB4_3443:                             ;   in Loop: Header=BB4_2791 Depth=2
	s_or_b64 exec, exec, s[56:57]
.LBB4_3444:                             ;   in Loop: Header=BB4_2791 Depth=2
	s_or_b64 exec, exec, s[54:55]
                                        ; implicit-def: $vgpr2
.LBB4_3445:                             ;   in Loop: Header=BB4_2791 Depth=2
	s_andn2_saveexec_b64 s[18:19], s[52:53]
; %bb.3446:                             ;   in Loop: Header=BB4_2791 Depth=2
	v_or_b32_sdwa v2, v2, s69 dst_sel:DWORD dst_unused:UNUSED_PAD src0_sel:BYTE_3 src1_sel:DWORD
	v_cmp_eq_u64_e32 vcc, 0, v[36:37]
	v_cndmask_b32_e32 v27, v2, v27, vcc
; %bb.3447:                             ;   in Loop: Header=BB4_2791 Depth=2
	s_or_b64 exec, exec, s[18:19]
	v_lshlrev_b32_e32 v2, 8, v38
	v_and_b32_e32 v2, 0xff00, v2
	v_cmp_ne_u32_e32 vcc, 0, v2
	v_mov_b32_e32 v3, 0
	v_mov_b32_e32 v7, 0
	s_and_saveexec_b64 s[18:19], vcc
	s_cbranch_execz .LBB4_3453
; %bb.3448:                             ;   in Loop: Header=BB4_2791 Depth=2
	v_cmp_ne_u32_e32 vcc, s74, v2
	v_bfrev_b32_e32 v7, 1
	s_and_saveexec_b64 s[52:53], vcc
	s_cbranch_execz .LBB4_3452
; %bb.3449:                             ;   in Loop: Header=BB4_2791 Depth=2
	v_bfe_u32 v9, v2, 8, 7
	v_cmp_ne_u32_e32 vcc, s69, v9
	v_mov_b32_e32 v7, 0x7f800001
	s_and_saveexec_b64 s[54:55], vcc
	s_cbranch_execz .LBB4_3451
; %bb.3450:                             ;   in Loop: Header=BB4_2791 Depth=2
	v_lshrrev_b32_e32 v24, 8, v2
	v_and_b32_e32 v7, 7, v24
	v_ffbh_u32_e32 v25, v7
	v_min_u32_e32 v36, 32, v25
	v_subrev_u32_e32 v25, 28, v36
	v_lshlrev_b64 v[24:25], v25, v[24:25]
	v_lshrrev_b32_e32 v23, 3, v9
	v_sub_u32_e32 v25, 29, v36
	v_and_b32_e32 v24, 7, v24
	v_cmp_gt_u32_e32 vcc, 8, v9
	v_cndmask_b32_e32 v9, v23, v25, vcc
	v_cndmask_b32_e32 v7, v7, v24, vcc
	v_lshlrev_b32_e32 v2, 16, v2
	v_lshlrev_b32_e32 v7, 20, v7
	v_and_b32_e32 v2, 0x80000000, v2
	v_lshl_add_u32 v9, v9, 23, v55
	v_or3_b32 v7, v2, v9, v7
.LBB4_3451:                             ;   in Loop: Header=BB4_2791 Depth=2
	s_or_b64 exec, exec, s[54:55]
.LBB4_3452:                             ;   in Loop: Header=BB4_2791 Depth=2
	s_or_b64 exec, exec, s[52:53]
.LBB4_3453:                             ;   in Loop: Header=BB4_2791 Depth=2
	s_or_b64 exec, exec, s[18:19]
	v_cmp_lt_u32_e32 vcc, s43, v14
	s_and_saveexec_b64 s[18:19], vcc
	s_cbranch_execz .LBB4_3459
; %bb.3454:                             ;   in Loop: Header=BB4_2791 Depth=2
	v_lshrrev_b32_e32 v2, 24, v14
	v_cmp_ne_u32_e32 vcc, s71, v2
	v_bfrev_b32_e32 v3, 1
	s_and_saveexec_b64 s[52:53], vcc
	s_cbranch_execz .LBB4_3458
; %bb.3455:                             ;   in Loop: Header=BB4_2791 Depth=2
	v_bfe_u32 v9, v14, 24, 7
	v_cmp_ne_u32_e32 vcc, s69, v9
	v_mov_b32_e32 v3, 0x7f800001
	s_and_saveexec_b64 s[54:55], vcc
	s_cbranch_execz .LBB4_3457
; %bb.3456:                             ;   in Loop: Header=BB4_2791 Depth=2
	v_and_b32_e32 v3, 7, v2
	v_ffbh_u32_e32 v24, v3
	v_min_u32_e32 v36, 32, v24
	v_subrev_u32_e32 v24, 28, v36
	v_lshlrev_b64 v[24:25], v24, v[2:3]
	v_lshrrev_b32_e32 v23, 3, v9
	v_sub_u32_e32 v25, 29, v36
	v_and_b32_e32 v24, 7, v24
	v_cmp_gt_u32_e32 vcc, 8, v9
	v_cndmask_b32_e32 v9, v23, v25, vcc
	v_cndmask_b32_e32 v3, v3, v24, vcc
	v_lshlrev_b32_e32 v2, 24, v2
	v_lshlrev_b32_e32 v3, 20, v3
	v_and_b32_e32 v2, 0x80000000, v2
	v_lshl_add_u32 v9, v9, 23, v55
	v_or3_b32 v3, v2, v9, v3
.LBB4_3457:                             ;   in Loop: Header=BB4_2791 Depth=2
	s_or_b64 exec, exec, s[54:55]
.LBB4_3458:                             ;   in Loop: Header=BB4_2791 Depth=2
	s_or_b64 exec, exec, s[52:53]
.LBB4_3459:                             ;   in Loop: Header=BB4_2791 Depth=2
	s_or_b64 exec, exec, s[18:19]
	v_add_f32_e32 v2, v7, v3
	v_and_b32_sdwa v7, v2, s71 dst_sel:DWORD dst_unused:UNUSED_PAD src0_sel:BYTE_3 src1_sel:DWORD
	v_and_b32_e32 v24, 0x7f800000, v2
	v_mov_b32_e32 v25, v37
	v_and_b32_e32 v36, 0x7fffff, v2
	v_or_b32_e32 v60, 0x7e, v7
	v_cmp_ne_u64_e32 vcc, s[38:39], v[24:25]
	s_and_saveexec_b64 s[18:19], vcc
	s_xor_b64 s[52:53], exec, s[18:19]
	s_cbranch_execz .LBB4_3469
; %bb.3460:                             ;   in Loop: Header=BB4_2791 Depth=2
	v_and_b32_e32 v24, 0x7fffffff, v2
	v_mov_b32_e32 v25, v37
	v_cmp_gt_u64_e32 vcc, s[40:41], v[24:25]
	s_and_saveexec_b64 s[54:55], vcc
	s_cbranch_execz .LBB4_3468
; %bb.3461:                             ;   in Loop: Header=BB4_2791 Depth=2
	v_cmp_ne_u32_e32 vcc, 0, v2
	v_mov_b32_e32 v60, 0
	s_and_saveexec_b64 s[56:57], vcc
	s_cbranch_execz .LBB4_3467
; %bb.3462:                             ;   in Loop: Header=BB4_2791 Depth=2
	v_bfe_u32 v2, v2, 23, 8
	v_sub_u32_e32 v9, 0x79, v2
	v_cmp_gt_u32_e32 vcc, s72, v2
	v_add_u32_e32 v3, 0xffffff81, v2
	v_cndmask_b32_e32 v9, 0, v9, vcc
	v_cmp_eq_u32_e32 vcc, 0, v2
	v_mov_b32_e32 v2, 0xffffff82
	v_cndmask_b32_e32 v24, v3, v2, vcc
	v_mov_b32_e32 v2, 0x78
	v_or_b32_e32 v23, 0x800000, v36
	v_cndmask_b32_e32 v9, v9, v2, vcc
	v_cndmask_b32_e32 v36, v23, v36, vcc
	v_add_u32_e32 v2, 20, v9
	v_lshlrev_b64 v[2:3], v2, -1
	v_add_u32_e32 v23, 19, v9
	v_lshrrev_b64 v[60:61], v9, v[36:37]
	v_not_b32_e32 v3, v3
	v_not_b32_e32 v2, v2
	v_lshlrev_b64 v[50:51], v23, 1
	v_lshrrev_b32_e32 v23, 23, v60
	v_and_b32_e32 v3, 0, v3
	v_and_b32_e32 v2, v36, v2
	v_add3_u32 v24, v9, v24, v23
	v_bfe_u32 v9, v60, 20, 1
	v_add_u32_e32 v9, -1, v9
	v_cmp_eq_u64_e32 vcc, v[2:3], v[50:51]
	v_cndmask_b32_e32 v2, 0, v9, vcc
	v_add_u32_e32 v2, v2, v60
	v_and_b32_e32 v2, 0xfffff, v2
	v_add_co_u32_e32 v2, vcc, v2, v60
	v_add_u32_e32 v23, 6, v24
	v_addc_co_u32_e32 v3, vcc, 0, v61, vcc
	v_cmp_ne_u32_e32 vcc, 0, v23
                                        ; implicit-def: $vgpr9
	s_and_saveexec_b64 s[18:19], vcc
	s_xor_b64 s[18:19], exec, s[18:19]
; %bb.3463:                             ;   in Loop: Header=BB4_2791 Depth=2
	v_add_u32_e32 v9, 7, v24
	v_cmp_lt_u64_e32 vcc, s[44:45], v[2:3]
	v_cndmask_b32_e32 v9, v23, v9, vcc
	v_cndmask_b32_e64 v23, 0, 1, vcc
	v_lshrrev_b64 v[2:3], v23, v[2:3]
; %bb.3464:                             ;   in Loop: Header=BB4_2791 Depth=2
	s_andn2_saveexec_b64 s[18:19], s[18:19]
; %bb.3465:                             ;   in Loop: Header=BB4_2791 Depth=2
	v_bfe_u32 v9, v2, 23, 1
; %bb.3466:                             ;   in Loop: Header=BB4_2791 Depth=2
	s_or_b64 exec, exec, s[18:19]
	v_lshrrev_b64 v[2:3], 20, v[2:3]
	v_cmp_gt_i32_e32 vcc, 16, v9
	v_cndmask_b32_e32 v3, 0, v3, vcc
	v_cndmask_b32_e32 v2, 7, v2, vcc
	v_cmp_eq_u64_e64 s[18:19], 0, v[2:3]
	v_min_i32_e32 v3, 15, v9
	v_cmp_eq_u32_e32 vcc, 0, v9
	v_lshlrev_b32_e32 v3, 3, v3
	v_and_or_b32 v2, v2, 7, v3
	s_and_b64 s[18:19], vcc, s[18:19]
	v_cndmask_b32_e64 v2, v2, 0, s[18:19]
	v_or_b32_e32 v60, v2, v7
.LBB4_3467:                             ;   in Loop: Header=BB4_2791 Depth=2
	s_or_b64 exec, exec, s[56:57]
.LBB4_3468:                             ;   in Loop: Header=BB4_2791 Depth=2
	s_or_b64 exec, exec, s[54:55]
                                        ; implicit-def: $vgpr2
.LBB4_3469:                             ;   in Loop: Header=BB4_2791 Depth=2
	s_andn2_saveexec_b64 s[18:19], s[52:53]
; %bb.3470:                             ;   in Loop: Header=BB4_2791 Depth=2
	v_or_b32_sdwa v2, v2, s69 dst_sel:DWORD dst_unused:UNUSED_PAD src0_sel:BYTE_3 src1_sel:DWORD
	v_cmp_eq_u64_e32 vcc, 0, v[36:37]
	v_cndmask_b32_e32 v60, v2, v60, vcc
; %bb.3471:                             ;   in Loop: Header=BB4_2791 Depth=2
	s_or_b64 exec, exec, s[18:19]
	v_lshlrev_b32_e32 v6, 8, v6
	v_lshlrev_b32_e32 v2, 24, v22
	v_perm_b32 v3, v8, v62, s75
	v_or3_b32 v36, v3, v2, v6
	v_cmp_ne_u16_sdwa vcc, v62, v37 src0_sel:BYTE_0 src1_sel:DWORD
	v_mov_b32_e32 v3, 0
	v_mov_b32_e32 v2, 0
	s_and_saveexec_b64 s[18:19], vcc
	s_cbranch_execz .LBB4_3477
; %bb.3472:                             ;   in Loop: Header=BB4_2791 Depth=2
	v_cmp_ne_u16_sdwa vcc, v62, s71 src0_sel:BYTE_0 src1_sel:DWORD
	v_bfrev_b32_e32 v2, 1
	s_and_saveexec_b64 s[52:53], vcc
	s_cbranch_execz .LBB4_3476
; %bb.3473:                             ;   in Loop: Header=BB4_2791 Depth=2
	v_and_b32_e32 v7, 0x7f, v62
	v_cmp_ne_u32_e32 vcc, s69, v7
	v_mov_b32_e32 v2, 0x7f800001
	s_and_saveexec_b64 s[54:55], vcc
	s_cbranch_execz .LBB4_3475
; %bb.3474:                             ;   in Loop: Header=BB4_2791 Depth=2
	v_and_b32_e32 v2, 7, v62
	v_ffbh_u32_e32 v2, v2
	v_min_u32_e32 v2, 32, v2
	v_subrev_u32_e32 v9, 28, v2
	v_cmp_gt_u32_e32 vcc, 8, v7
	v_lshrrev_b32_e32 v8, 3, v7
	v_sub_u32_e32 v2, 29, v2
	v_cndmask_b32_e32 v7, 0, v9, vcc
	v_cndmask_b32_e32 v2, v8, v2, vcc
	v_lshlrev_b64 v[8:9], v7, v[36:37]
	v_lshlrev_b32_e32 v7, 20, v8
	v_lshlrev_b32_e32 v8, 24, v36
	v_and_b32_e32 v7, 0x700000, v7
	v_and_b32_e32 v8, 0x80000000, v8
	v_lshl_add_u32 v2, v2, 23, v55
	v_or3_b32 v2, v8, v2, v7
.LBB4_3475:                             ;   in Loop: Header=BB4_2791 Depth=2
	s_or_b64 exec, exec, s[54:55]
.LBB4_3476:                             ;   in Loop: Header=BB4_2791 Depth=2
	s_or_b64 exec, exec, s[52:53]
.LBB4_3477:                             ;   in Loop: Header=BB4_2791 Depth=2
	s_or_b64 exec, exec, s[18:19]
	v_cmp_ne_u16_sdwa vcc, v15, v37 src0_sel:BYTE_0 src1_sel:DWORD
	s_and_saveexec_b64 s[18:19], vcc
	s_cbranch_execz .LBB4_3483
; %bb.3478:                             ;   in Loop: Header=BB4_2791 Depth=2
	v_cmp_ne_u16_sdwa vcc, v15, s71 src0_sel:BYTE_0 src1_sel:DWORD
	v_bfrev_b32_e32 v3, 1
	s_and_saveexec_b64 s[52:53], vcc
	s_cbranch_execz .LBB4_3482
; %bb.3479:                             ;   in Loop: Header=BB4_2791 Depth=2
	v_and_b32_e32 v7, 0x7f, v15
	v_cmp_ne_u32_e32 vcc, s69, v7
	v_mov_b32_e32 v3, 0x7f800001
	s_and_saveexec_b64 s[54:55], vcc
	s_cbranch_execz .LBB4_3481
; %bb.3480:                             ;   in Loop: Header=BB4_2791 Depth=2
	v_and_b32_e32 v3, 7, v15
	v_ffbh_u32_e32 v3, v3
	v_min_u32_e32 v3, 32, v3
	v_subrev_u32_e32 v23, 28, v3
	v_cmp_gt_u32_e32 vcc, 8, v7
	v_mov_b32_e32 v8, v15
	v_mov_b32_e32 v9, v37
	v_lshrrev_b32_e32 v22, 3, v7
	v_sub_u32_e32 v3, 29, v3
	v_cndmask_b32_e32 v7, 0, v23, vcc
	v_cndmask_b32_e32 v3, v22, v3, vcc
	v_lshlrev_b64 v[22:23], v7, v[8:9]
	v_lshlrev_b32_e32 v7, 20, v22
	v_lshlrev_b32_e32 v8, 24, v8
	v_and_b32_e32 v7, 0x700000, v7
	v_and_b32_e32 v8, 0x80000000, v8
	v_lshl_add_u32 v3, v3, 23, v55
	v_or3_b32 v3, v8, v3, v7
.LBB4_3481:                             ;   in Loop: Header=BB4_2791 Depth=2
	s_or_b64 exec, exec, s[54:55]
.LBB4_3482:                             ;   in Loop: Header=BB4_2791 Depth=2
	s_or_b64 exec, exec, s[52:53]
.LBB4_3483:                             ;   in Loop: Header=BB4_2791 Depth=2
	s_or_b64 exec, exec, s[18:19]
	v_add_f32_e32 v8, v2, v3
	v_and_b32_sdwa v7, v8, s71 dst_sel:DWORD dst_unused:UNUSED_PAD src0_sel:BYTE_3 src1_sel:DWORD
	v_and_b32_e32 v22, 0x7f800000, v8
	v_mov_b32_e32 v23, v37
	v_and_b32_e32 v2, 0x7fffff, v8
	v_mov_b32_e32 v3, v37
	v_or_b32_e32 v61, 0x7e, v7
	v_cmp_ne_u64_e32 vcc, s[38:39], v[22:23]
	s_and_saveexec_b64 s[18:19], vcc
	s_xor_b64 s[52:53], exec, s[18:19]
	s_cbranch_execz .LBB4_3493
; %bb.3484:                             ;   in Loop: Header=BB4_2791 Depth=2
	v_and_b32_e32 v22, 0x7fffffff, v8
	v_mov_b32_e32 v23, v37
	v_cmp_gt_u64_e32 vcc, s[40:41], v[22:23]
	s_and_saveexec_b64 s[54:55], vcc
	s_cbranch_execz .LBB4_3492
; %bb.3485:                             ;   in Loop: Header=BB4_2791 Depth=2
	v_cmp_ne_u32_e32 vcc, 0, v8
	v_mov_b32_e32 v61, 0
	s_and_saveexec_b64 s[56:57], vcc
	s_cbranch_execz .LBB4_3491
; %bb.3486:                             ;   in Loop: Header=BB4_2791 Depth=2
	v_bfe_u32 v8, v8, 23, 8
	v_sub_u32_e32 v22, 0x79, v8
	v_cmp_gt_u32_e32 vcc, s72, v8
	v_add_u32_e32 v9, 0xffffff81, v8
	v_cndmask_b32_e32 v22, 0, v22, vcc
	v_cmp_eq_u32_e32 vcc, 0, v8
	v_mov_b32_e32 v8, 0xffffff82
	v_cndmask_b32_e32 v38, v9, v8, vcc
	v_mov_b32_e32 v8, 0x78
	v_cndmask_b32_e32 v22, v22, v8, vcc
	v_add_u32_e32 v8, 20, v22
	v_or_b32_e32 v23, 0x800000, v2
	v_lshlrev_b64 v[8:9], v8, -1
	v_cndmask_b32_e32 v2, v23, v2, vcc
	v_not_b32_e32 v8, v8
	v_and_b32_e32 v24, v2, v8
	v_add_u32_e32 v8, 19, v22
	v_lshrrev_b64 v[2:3], v22, v[2:3]
	v_not_b32_e32 v9, v9
	v_lshlrev_b64 v[50:51], v8, 1
	v_lshrrev_b32_e32 v8, 23, v2
	v_and_b32_e32 v25, 0, v9
	v_add3_u32 v22, v22, v38, v8
	v_bfe_u32 v8, v2, 20, 1
	v_add_u32_e32 v8, -1, v8
	v_cmp_eq_u64_e32 vcc, v[24:25], v[50:51]
	v_cndmask_b32_e32 v8, 0, v8, vcc
	v_add_u32_e32 v8, v8, v2
	v_and_b32_e32 v8, 0xfffff, v8
	v_add_co_u32_e32 v2, vcc, v8, v2
	v_add_u32_e32 v9, 6, v22
	v_addc_co_u32_e32 v3, vcc, 0, v3, vcc
	v_cmp_ne_u32_e32 vcc, 0, v9
                                        ; implicit-def: $vgpr8
	s_and_saveexec_b64 s[18:19], vcc
	s_xor_b64 s[18:19], exec, s[18:19]
; %bb.3487:                             ;   in Loop: Header=BB4_2791 Depth=2
	v_add_u32_e32 v8, 7, v22
	v_cmp_lt_u64_e32 vcc, s[44:45], v[2:3]
	v_cndmask_b32_e32 v8, v9, v8, vcc
	v_cndmask_b32_e64 v9, 0, 1, vcc
	v_lshrrev_b64 v[2:3], v9, v[2:3]
; %bb.3488:                             ;   in Loop: Header=BB4_2791 Depth=2
	s_andn2_saveexec_b64 s[18:19], s[18:19]
; %bb.3489:                             ;   in Loop: Header=BB4_2791 Depth=2
	v_bfe_u32 v8, v2, 23, 1
; %bb.3490:                             ;   in Loop: Header=BB4_2791 Depth=2
	s_or_b64 exec, exec, s[18:19]
	v_lshrrev_b64 v[2:3], 20, v[2:3]
	v_cmp_gt_i32_e32 vcc, 16, v8
	v_cndmask_b32_e32 v3, 0, v3, vcc
	v_cndmask_b32_e32 v2, 7, v2, vcc
	v_cmp_eq_u64_e64 s[18:19], 0, v[2:3]
	v_min_i32_e32 v3, 15, v8
	v_cmp_eq_u32_e32 vcc, 0, v8
	v_lshlrev_b32_e32 v3, 3, v3
	v_and_or_b32 v2, v2, 7, v3
	s_and_b64 s[18:19], vcc, s[18:19]
	v_cndmask_b32_e64 v2, v2, 0, s[18:19]
	v_or_b32_e32 v61, v2, v7
.LBB4_3491:                             ;   in Loop: Header=BB4_2791 Depth=2
	s_or_b64 exec, exec, s[56:57]
.LBB4_3492:                             ;   in Loop: Header=BB4_2791 Depth=2
	s_or_b64 exec, exec, s[54:55]
                                        ; implicit-def: $vgpr8
                                        ; implicit-def: $vgpr2_vgpr3
.LBB4_3493:                             ;   in Loop: Header=BB4_2791 Depth=2
	s_andn2_saveexec_b64 s[18:19], s[52:53]
; %bb.3494:                             ;   in Loop: Header=BB4_2791 Depth=2
	v_or_b32_sdwa v7, v8, s69 dst_sel:DWORD dst_unused:UNUSED_PAD src0_sel:BYTE_3 src1_sel:DWORD
	v_cmp_eq_u64_e32 vcc, 0, v[2:3]
	v_cndmask_b32_e32 v61, v7, v61, vcc
; %bb.3495:                             ;   in Loop: Header=BB4_2791 Depth=2
	s_or_b64 exec, exec, s[18:19]
	v_lshrrev_b16_e32 v2, 8, v6
	v_cmp_ne_u16_e32 vcc, 0, v2
	v_mov_b32_e32 v3, 0
	v_mov_b32_e32 v7, 0
	s_and_saveexec_b64 s[18:19], vcc
	s_cbranch_execz .LBB4_3501
; %bb.3496:                             ;   in Loop: Header=BB4_2791 Depth=2
	v_cmp_ne_u16_e32 vcc, s71, v2
	v_bfrev_b32_e32 v7, 1
	s_and_saveexec_b64 s[52:53], vcc
	s_cbranch_execz .LBB4_3500
; %bb.3497:                             ;   in Loop: Header=BB4_2791 Depth=2
	v_and_b32_e32 v8, 0x7f, v2
	v_cmp_ne_u32_e32 vcc, s69, v8
	v_mov_b32_e32 v7, 0x7f800001
	s_and_saveexec_b64 s[54:55], vcc
	s_cbranch_execz .LBB4_3499
; %bb.3498:                             ;   in Loop: Header=BB4_2791 Depth=2
	v_and_b32_e32 v7, 7, v2
	v_ffbh_u32_e32 v22, v7
	v_min_u32_e32 v24, 32, v22
	v_subrev_u32_e32 v22, 28, v24
	v_lshlrev_b64 v[22:23], v22, v[2:3]
	v_lshrrev_b32_e32 v9, 3, v8
	v_sub_u32_e32 v2, 29, v24
	v_and_b32_e32 v22, 7, v22
	v_cmp_gt_u32_e32 vcc, 8, v8
	v_cndmask_b32_e32 v2, v9, v2, vcc
	v_cndmask_b32_e32 v7, v7, v22, vcc
	v_lshlrev_b32_e32 v6, 16, v6
	v_lshlrev_b32_e32 v7, 20, v7
	v_and_b32_e32 v6, 0x80000000, v6
	v_lshl_add_u32 v2, v2, 23, v55
	v_or3_b32 v7, v6, v2, v7
.LBB4_3499:                             ;   in Loop: Header=BB4_2791 Depth=2
	s_or_b64 exec, exec, s[54:55]
.LBB4_3500:                             ;   in Loop: Header=BB4_2791 Depth=2
	s_or_b64 exec, exec, s[52:53]
.LBB4_3501:                             ;   in Loop: Header=BB4_2791 Depth=2
	s_or_b64 exec, exec, s[18:19]
	v_mov_b32_e32 v2, v15
	v_lshrrev_b16_e32 v24, 8, v2
	v_cmp_ne_u16_e32 vcc, 0, v24
	s_and_saveexec_b64 s[18:19], vcc
	s_cbranch_execz .LBB4_3507
; %bb.3502:                             ;   in Loop: Header=BB4_2791 Depth=2
	v_cmp_ne_u16_e32 vcc, s71, v24
	v_bfrev_b32_e32 v3, 1
	s_and_saveexec_b64 s[52:53], vcc
	s_cbranch_execz .LBB4_3506
; %bb.3503:                             ;   in Loop: Header=BB4_2791 Depth=2
	v_and_b32_e32 v6, 0x7f, v24
	v_cmp_ne_u32_e32 vcc, s69, v6
	v_mov_b32_e32 v3, 0x7f800001
	s_and_saveexec_b64 s[54:55], vcc
	s_cbranch_execz .LBB4_3505
; %bb.3504:                             ;   in Loop: Header=BB4_2791 Depth=2
	v_and_b32_e32 v3, 7, v24
	v_ffbh_u32_e32 v8, v3
	v_min_u32_e32 v23, 32, v8
	v_subrev_u32_e32 v8, 28, v23
	v_lshlrev_b64 v[8:9], v8, v[24:25]
	v_lshrrev_b32_e32 v22, 3, v6
	v_sub_u32_e32 v9, 29, v23
	v_and_b32_e32 v8, 7, v8
	v_cmp_gt_u32_e32 vcc, 8, v6
	v_cndmask_b32_e32 v6, v22, v9, vcc
	v_cndmask_b32_e32 v3, v3, v8, vcc
	v_lshlrev_b32_e32 v2, 16, v2
	v_lshlrev_b32_e32 v3, 20, v3
	v_and_b32_e32 v2, 0x80000000, v2
	v_lshl_add_u32 v6, v6, 23, v55
	v_or3_b32 v3, v2, v6, v3
.LBB4_3505:                             ;   in Loop: Header=BB4_2791 Depth=2
	s_or_b64 exec, exec, s[54:55]
.LBB4_3506:                             ;   in Loop: Header=BB4_2791 Depth=2
	s_or_b64 exec, exec, s[52:53]
.LBB4_3507:                             ;   in Loop: Header=BB4_2791 Depth=2
	s_or_b64 exec, exec, s[18:19]
	v_add_f32_e32 v7, v7, v3
	v_and_b32_sdwa v6, v7, s71 dst_sel:DWORD dst_unused:UNUSED_PAD src0_sel:BYTE_3 src1_sel:DWORD
	v_and_b32_e32 v8, 0x7f800000, v7
	v_mov_b32_e32 v9, v37
	v_and_b32_e32 v2, 0x7fffff, v7
	v_mov_b32_e32 v3, v37
	v_or_b32_e32 v24, 0x7e, v6
	v_cmp_ne_u64_e32 vcc, s[38:39], v[8:9]
	s_and_saveexec_b64 s[18:19], vcc
	s_xor_b64 s[52:53], exec, s[18:19]
	s_cbranch_execz .LBB4_3517
; %bb.3508:                             ;   in Loop: Header=BB4_2791 Depth=2
	v_and_b32_e32 v8, 0x7fffffff, v7
	v_mov_b32_e32 v9, v37
	v_cmp_gt_u64_e32 vcc, s[40:41], v[8:9]
	s_and_saveexec_b64 s[54:55], vcc
	s_cbranch_execz .LBB4_3516
; %bb.3509:                             ;   in Loop: Header=BB4_2791 Depth=2
	v_cmp_ne_u32_e32 vcc, 0, v7
	v_mov_b32_e32 v24, 0
	s_and_saveexec_b64 s[56:57], vcc
	s_cbranch_execz .LBB4_3515
; %bb.3510:                             ;   in Loop: Header=BB4_2791 Depth=2
	v_bfe_u32 v7, v7, 23, 8
	v_sub_u32_e32 v9, 0x79, v7
	v_cmp_gt_u32_e32 vcc, s72, v7
	v_add_u32_e32 v8, 0xffffff81, v7
	v_cndmask_b32_e32 v9, 0, v9, vcc
	v_cmp_eq_u32_e32 vcc, 0, v7
	v_mov_b32_e32 v7, 0xffffff82
	v_cndmask_b32_e32 v7, v8, v7, vcc
	v_mov_b32_e32 v8, 0x78
	v_cndmask_b32_e32 v38, v9, v8, vcc
	v_add_u32_e32 v8, 20, v38
	v_or_b32_e32 v22, 0x800000, v2
	v_lshlrev_b64 v[8:9], v8, -1
	v_cndmask_b32_e32 v2, v22, v2, vcc
	v_not_b32_e32 v8, v8
	v_and_b32_e32 v22, v2, v8
	v_add_u32_e32 v8, 19, v38
	v_lshrrev_b64 v[2:3], v38, v[2:3]
	v_not_b32_e32 v9, v9
	v_lshlrev_b64 v[24:25], v8, 1
	v_lshrrev_b32_e32 v8, 23, v2
	v_and_b32_e32 v23, 0, v9
	v_add3_u32 v9, v38, v7, v8
	v_bfe_u32 v7, v2, 20, 1
	v_add_u32_e32 v7, -1, v7
	v_cmp_eq_u64_e32 vcc, v[22:23], v[24:25]
	v_cndmask_b32_e32 v7, 0, v7, vcc
	v_add_u32_e32 v7, v7, v2
	v_and_b32_e32 v7, 0xfffff, v7
	v_add_co_u32_e32 v2, vcc, v7, v2
	v_add_u32_e32 v8, 6, v9
	v_addc_co_u32_e32 v3, vcc, 0, v3, vcc
	v_cmp_ne_u32_e32 vcc, 0, v8
                                        ; implicit-def: $vgpr7
	s_and_saveexec_b64 s[18:19], vcc
	s_xor_b64 s[18:19], exec, s[18:19]
; %bb.3511:                             ;   in Loop: Header=BB4_2791 Depth=2
	v_add_u32_e32 v7, 7, v9
	v_cmp_lt_u64_e32 vcc, s[44:45], v[2:3]
	v_cndmask_b32_e32 v7, v8, v7, vcc
	v_cndmask_b32_e64 v8, 0, 1, vcc
	v_lshrrev_b64 v[2:3], v8, v[2:3]
; %bb.3512:                             ;   in Loop: Header=BB4_2791 Depth=2
	s_andn2_saveexec_b64 s[18:19], s[18:19]
; %bb.3513:                             ;   in Loop: Header=BB4_2791 Depth=2
	v_bfe_u32 v7, v2, 23, 1
; %bb.3514:                             ;   in Loop: Header=BB4_2791 Depth=2
	s_or_b64 exec, exec, s[18:19]
	v_lshrrev_b64 v[2:3], 20, v[2:3]
	v_cmp_gt_i32_e32 vcc, 16, v7
	v_cndmask_b32_e32 v3, 0, v3, vcc
	v_cndmask_b32_e32 v2, 7, v2, vcc
	v_cmp_eq_u64_e64 s[18:19], 0, v[2:3]
	v_min_i32_e32 v3, 15, v7
	v_cmp_eq_u32_e32 vcc, 0, v7
	v_lshlrev_b32_e32 v3, 3, v3
	v_and_or_b32 v2, v2, 7, v3
	s_and_b64 s[18:19], vcc, s[18:19]
	v_cndmask_b32_e64 v2, v2, 0, s[18:19]
	v_or_b32_e32 v24, v2, v6
.LBB4_3515:                             ;   in Loop: Header=BB4_2791 Depth=2
	s_or_b64 exec, exec, s[56:57]
.LBB4_3516:                             ;   in Loop: Header=BB4_2791 Depth=2
	s_or_b64 exec, exec, s[54:55]
                                        ; implicit-def: $vgpr7
                                        ; implicit-def: $vgpr2_vgpr3
.LBB4_3517:                             ;   in Loop: Header=BB4_2791 Depth=2
	s_andn2_saveexec_b64 s[18:19], s[52:53]
; %bb.3518:                             ;   in Loop: Header=BB4_2791 Depth=2
	v_or_b32_sdwa v6, v7, s69 dst_sel:DWORD dst_unused:UNUSED_PAD src0_sel:BYTE_3 src1_sel:DWORD
	v_cmp_eq_u64_e32 vcc, 0, v[2:3]
	v_cndmask_b32_e32 v24, v6, v24, vcc
; %bb.3519:                             ;   in Loop: Header=BB4_2791 Depth=2
	s_or_b64 exec, exec, s[18:19]
	v_lshrrev_b32_e32 v2, 16, v36
	v_cmp_ne_u16_sdwa vcc, v2, v37 src0_sel:BYTE_0 src1_sel:DWORD
	v_mov_b32_e32 v3, 0
	v_mov_b32_e32 v6, 0
	s_and_saveexec_b64 s[18:19], vcc
	s_cbranch_execz .LBB4_3525
; %bb.3520:                             ;   in Loop: Header=BB4_2791 Depth=2
	v_cmp_ne_u16_sdwa vcc, v2, s71 src0_sel:BYTE_0 src1_sel:DWORD
	v_bfrev_b32_e32 v6, 1
	s_and_saveexec_b64 s[52:53], vcc
	s_cbranch_execz .LBB4_3524
; %bb.3521:                             ;   in Loop: Header=BB4_2791 Depth=2
	v_bfe_u32 v7, v36, 16, 7
	v_cmp_ne_u32_e32 vcc, s69, v7
	v_mov_b32_e32 v6, 0x7f800001
	s_and_saveexec_b64 s[54:55], vcc
	s_cbranch_execz .LBB4_3523
; %bb.3522:                             ;   in Loop: Header=BB4_2791 Depth=2
	v_and_b32_e32 v6, 7, v2
	v_ffbh_u32_e32 v8, v6
	v_min_u32_e32 v23, 32, v8
	v_subrev_u32_e32 v8, 28, v23
	v_lshlrev_b64 v[8:9], v8, v[2:3]
	v_lshrrev_b32_e32 v22, 3, v7
	v_sub_u32_e32 v9, 29, v23
	v_and_b32_e32 v8, 7, v8
	v_cmp_gt_u32_e32 vcc, 8, v7
	v_cndmask_b32_e32 v7, v22, v9, vcc
	v_cndmask_b32_e32 v6, v6, v8, vcc
	v_lshlrev_b32_e32 v2, 24, v2
	v_lshlrev_b32_e32 v6, 20, v6
	v_and_b32_e32 v2, 0x80000000, v2
	v_lshl_add_u32 v7, v7, 23, v55
	v_or3_b32 v6, v2, v7, v6
.LBB4_3523:                             ;   in Loop: Header=BB4_2791 Depth=2
	s_or_b64 exec, exec, s[54:55]
.LBB4_3524:                             ;   in Loop: Header=BB4_2791 Depth=2
	s_or_b64 exec, exec, s[52:53]
.LBB4_3525:                             ;   in Loop: Header=BB4_2791 Depth=2
	s_or_b64 exec, exec, s[18:19]
	v_lshrrev_b32_e32 v2, 16, v15
	v_cmp_ne_u16_sdwa vcc, v2, v37 src0_sel:BYTE_0 src1_sel:DWORD
	s_and_saveexec_b64 s[18:19], vcc
	s_cbranch_execz .LBB4_3531
; %bb.3526:                             ;   in Loop: Header=BB4_2791 Depth=2
	v_cmp_ne_u16_sdwa vcc, v2, s71 src0_sel:BYTE_0 src1_sel:DWORD
	v_bfrev_b32_e32 v3, 1
	s_and_saveexec_b64 s[52:53], vcc
	s_cbranch_execz .LBB4_3530
; %bb.3527:                             ;   in Loop: Header=BB4_2791 Depth=2
	v_bfe_u32 v7, v15, 16, 7
	v_cmp_ne_u32_e32 vcc, s69, v7
	v_mov_b32_e32 v3, 0x7f800001
	s_and_saveexec_b64 s[54:55], vcc
	s_cbranch_execz .LBB4_3529
; %bb.3528:                             ;   in Loop: Header=BB4_2791 Depth=2
	v_and_b32_e32 v8, 7, v2
	v_ffbh_u32_e32 v3, v8
	v_min_u32_e32 v22, 32, v3
	v_subrev_u32_e32 v3, 28, v22
	v_lshlrev_b64 v[2:3], v3, v[2:3]
	v_lshrrev_b32_e32 v9, 3, v7
	v_sub_u32_e32 v3, 29, v22
	v_and_b32_e32 v2, 7, v2
	v_cmp_gt_u32_e32 vcc, 8, v7
	v_cndmask_b32_e32 v3, v9, v3, vcc
	v_cndmask_b32_e32 v2, v8, v2, vcc
	v_lshlrev_b32_e32 v7, 8, v15
	v_lshlrev_b32_e32 v2, 20, v2
	v_and_b32_e32 v7, 0x80000000, v7
	v_lshl_add_u32 v3, v3, 23, v55
	v_or3_b32 v3, v7, v3, v2
.LBB4_3529:                             ;   in Loop: Header=BB4_2791 Depth=2
	s_or_b64 exec, exec, s[54:55]
.LBB4_3530:                             ;   in Loop: Header=BB4_2791 Depth=2
	s_or_b64 exec, exec, s[52:53]
.LBB4_3531:                             ;   in Loop: Header=BB4_2791 Depth=2
	s_or_b64 exec, exec, s[18:19]
	v_add_f32_e32 v7, v6, v3
	v_and_b32_sdwa v6, v7, s71 dst_sel:DWORD dst_unused:UNUSED_PAD src0_sel:BYTE_3 src1_sel:DWORD
	v_and_b32_e32 v8, 0x7f800000, v7
	v_mov_b32_e32 v9, v37
	v_and_b32_e32 v2, 0x7fffff, v7
	v_mov_b32_e32 v3, v37
	v_or_b32_e32 v38, 0x7e, v6
	v_cmp_ne_u64_e32 vcc, s[38:39], v[8:9]
	s_and_saveexec_b64 s[18:19], vcc
	s_xor_b64 s[52:53], exec, s[18:19]
	s_cbranch_execz .LBB4_3541
; %bb.3532:                             ;   in Loop: Header=BB4_2791 Depth=2
	v_and_b32_e32 v8, 0x7fffffff, v7
	v_mov_b32_e32 v9, v37
	v_cmp_gt_u64_e32 vcc, s[40:41], v[8:9]
	s_and_saveexec_b64 s[54:55], vcc
	s_cbranch_execz .LBB4_3540
; %bb.3533:                             ;   in Loop: Header=BB4_2791 Depth=2
	v_cmp_ne_u32_e32 vcc, 0, v7
	v_mov_b32_e32 v38, 0
	s_and_saveexec_b64 s[56:57], vcc
	s_cbranch_execz .LBB4_3539
; %bb.3534:                             ;   in Loop: Header=BB4_2791 Depth=2
	v_bfe_u32 v7, v7, 23, 8
	v_sub_u32_e32 v9, 0x79, v7
	v_cmp_gt_u32_e32 vcc, s72, v7
	v_add_u32_e32 v8, 0xffffff81, v7
	v_cndmask_b32_e32 v9, 0, v9, vcc
	v_cmp_eq_u32_e32 vcc, 0, v7
	v_mov_b32_e32 v7, 0xffffff82
	v_cndmask_b32_e32 v7, v8, v7, vcc
	v_mov_b32_e32 v8, 0x78
	v_cndmask_b32_e32 v25, v9, v8, vcc
	v_add_u32_e32 v8, 20, v25
	v_or_b32_e32 v22, 0x800000, v2
	v_lshlrev_b64 v[8:9], v8, -1
	v_cndmask_b32_e32 v2, v22, v2, vcc
	v_not_b32_e32 v8, v8
	v_and_b32_e32 v22, v2, v8
	v_add_u32_e32 v8, 19, v25
	v_lshrrev_b64 v[2:3], v25, v[2:3]
	v_not_b32_e32 v9, v9
	v_lshlrev_b64 v[50:51], v8, 1
	v_lshrrev_b32_e32 v8, 23, v2
	v_and_b32_e32 v23, 0, v9
	v_add3_u32 v9, v25, v7, v8
	v_bfe_u32 v7, v2, 20, 1
	v_add_u32_e32 v7, -1, v7
	v_cmp_eq_u64_e32 vcc, v[22:23], v[50:51]
	v_cndmask_b32_e32 v7, 0, v7, vcc
	v_add_u32_e32 v7, v7, v2
	v_and_b32_e32 v7, 0xfffff, v7
	v_add_co_u32_e32 v2, vcc, v7, v2
	v_add_u32_e32 v8, 6, v9
	v_addc_co_u32_e32 v3, vcc, 0, v3, vcc
	v_cmp_ne_u32_e32 vcc, 0, v8
                                        ; implicit-def: $vgpr7
	s_and_saveexec_b64 s[18:19], vcc
	s_xor_b64 s[18:19], exec, s[18:19]
; %bb.3535:                             ;   in Loop: Header=BB4_2791 Depth=2
	v_add_u32_e32 v7, 7, v9
	v_cmp_lt_u64_e32 vcc, s[44:45], v[2:3]
	v_cndmask_b32_e32 v7, v8, v7, vcc
	v_cndmask_b32_e64 v8, 0, 1, vcc
	v_lshrrev_b64 v[2:3], v8, v[2:3]
; %bb.3536:                             ;   in Loop: Header=BB4_2791 Depth=2
	s_andn2_saveexec_b64 s[18:19], s[18:19]
; %bb.3537:                             ;   in Loop: Header=BB4_2791 Depth=2
	v_bfe_u32 v7, v2, 23, 1
; %bb.3538:                             ;   in Loop: Header=BB4_2791 Depth=2
	s_or_b64 exec, exec, s[18:19]
	v_lshrrev_b64 v[2:3], 20, v[2:3]
	v_cmp_gt_i32_e32 vcc, 16, v7
	v_cndmask_b32_e32 v3, 0, v3, vcc
	v_cndmask_b32_e32 v2, 7, v2, vcc
	v_cmp_eq_u64_e64 s[18:19], 0, v[2:3]
	v_min_i32_e32 v3, 15, v7
	v_lshlrev_b32_e32 v3, 3, v3
	v_cmp_eq_u32_e32 vcc, 0, v7
	v_and_b32_e32 v3, 0xf8, v3
	v_and_or_b32 v2, v2, 7, v3
	s_and_b64 s[18:19], vcc, s[18:19]
	v_cndmask_b32_e64 v2, v2, 0, s[18:19]
	v_or_b32_e32 v38, v2, v6
.LBB4_3539:                             ;   in Loop: Header=BB4_2791 Depth=2
	s_or_b64 exec, exec, s[56:57]
.LBB4_3540:                             ;   in Loop: Header=BB4_2791 Depth=2
	s_or_b64 exec, exec, s[54:55]
                                        ; implicit-def: $vgpr7
                                        ; implicit-def: $vgpr2_vgpr3
.LBB4_3541:                             ;   in Loop: Header=BB4_2791 Depth=2
	s_andn2_saveexec_b64 s[18:19], s[52:53]
; %bb.3542:                             ;   in Loop: Header=BB4_2791 Depth=2
	v_or_b32_sdwa v6, v7, s69 dst_sel:DWORD dst_unused:UNUSED_PAD src0_sel:BYTE_3 src1_sel:DWORD
	v_cmp_eq_u64_e32 vcc, 0, v[2:3]
	v_cndmask_b32_e32 v38, v6, v38, vcc
; %bb.3543:                             ;   in Loop: Header=BB4_2791 Depth=2
	s_or_b64 exec, exec, s[18:19]
	v_cmp_lt_u32_e32 vcc, s43, v36
	v_mov_b32_e32 v3, 0
	v_mov_b32_e32 v6, 0
	s_and_saveexec_b64 s[18:19], vcc
	s_cbranch_execz .LBB4_3549
; %bb.3544:                             ;   in Loop: Header=BB4_2791 Depth=2
	v_lshrrev_b32_e32 v2, 24, v36
	v_cmp_ne_u32_sdwa vcc, v36, s71 src0_sel:BYTE_3 src1_sel:DWORD
	v_bfrev_b32_e32 v6, 1
	s_and_saveexec_b64 s[52:53], vcc
	s_cbranch_execz .LBB4_3548
; %bb.3545:                             ;   in Loop: Header=BB4_2791 Depth=2
	v_bfe_u32 v7, v36, 24, 7
	v_cmp_ne_u32_e32 vcc, s69, v7
	v_mov_b32_e32 v6, 0x7f800001
	s_and_saveexec_b64 s[54:55], vcc
	s_cbranch_execz .LBB4_3547
; %bb.3546:                             ;   in Loop: Header=BB4_2791 Depth=2
	v_and_b32_e32 v6, 7, v2
	v_ffbh_u32_e32 v8, v6
	v_min_u32_e32 v23, 32, v8
	v_subrev_u32_e32 v8, 28, v23
	v_lshlrev_b64 v[8:9], v8, v[2:3]
	v_lshrrev_b32_e32 v22, 3, v7
	v_sub_u32_e32 v2, 29, v23
	v_and_b32_e32 v8, 7, v8
	v_cmp_gt_u32_e32 vcc, 8, v7
	v_mov_b32_e32 v7, 24
	v_cndmask_b32_e32 v2, v22, v2, vcc
	v_cndmask_b32_e32 v6, v6, v8, vcc
	v_lshlrev_b32_sdwa v7, v7, v36 dst_sel:DWORD dst_unused:UNUSED_PAD src0_sel:DWORD src1_sel:BYTE_3
	v_lshlrev_b32_e32 v6, 20, v6
	v_and_b32_e32 v7, 0x80000000, v7
	v_lshl_add_u32 v2, v2, 23, v55
	v_or3_b32 v6, v7, v2, v6
.LBB4_3547:                             ;   in Loop: Header=BB4_2791 Depth=2
	s_or_b64 exec, exec, s[54:55]
.LBB4_3548:                             ;   in Loop: Header=BB4_2791 Depth=2
	s_or_b64 exec, exec, s[52:53]
.LBB4_3549:                             ;   in Loop: Header=BB4_2791 Depth=2
	s_or_b64 exec, exec, s[18:19]
	v_cmp_lt_u64_e32 vcc, s[42:43], v[14:15]
	s_and_saveexec_b64 s[18:19], vcc
	s_cbranch_execz .LBB4_3555
; %bb.3550:                             ;   in Loop: Header=BB4_2791 Depth=2
	v_lshrrev_b32_e32 v2, 24, v15
	v_cmp_ne_u32_e32 vcc, s71, v2
	v_bfrev_b32_e32 v3, 1
	s_and_saveexec_b64 s[52:53], vcc
	s_cbranch_execz .LBB4_3554
; %bb.3551:                             ;   in Loop: Header=BB4_2791 Depth=2
	v_bfe_u32 v7, v15, 24, 7
	v_cmp_ne_u32_e32 vcc, s69, v7
	v_mov_b32_e32 v3, 0x7f800001
	s_and_saveexec_b64 s[54:55], vcc
	s_cbranch_execz .LBB4_3553
; %bb.3552:                             ;   in Loop: Header=BB4_2791 Depth=2
	v_and_b32_e32 v3, 7, v2
	v_ffbh_u32_e32 v8, v3
	v_min_u32_e32 v15, 32, v8
	v_subrev_u32_e32 v8, 28, v15
	v_lshlrev_b64 v[8:9], v8, v[2:3]
	v_lshrrev_b32_e32 v14, 3, v7
	v_sub_u32_e32 v9, 29, v15
	v_and_b32_e32 v8, 7, v8
	v_cmp_gt_u32_e32 vcc, 8, v7
	v_cndmask_b32_e32 v7, v14, v9, vcc
	v_cndmask_b32_e32 v3, v3, v8, vcc
	v_lshlrev_b32_e32 v2, 24, v2
	v_lshlrev_b32_e32 v3, 20, v3
	v_and_b32_e32 v2, 0x80000000, v2
	v_lshl_add_u32 v7, v7, 23, v55
	v_or3_b32 v3, v2, v7, v3
.LBB4_3553:                             ;   in Loop: Header=BB4_2791 Depth=2
	s_or_b64 exec, exec, s[54:55]
.LBB4_3554:                             ;   in Loop: Header=BB4_2791 Depth=2
	s_or_b64 exec, exec, s[52:53]
.LBB4_3555:                             ;   in Loop: Header=BB4_2791 Depth=2
	s_or_b64 exec, exec, s[18:19]
	v_add_f32_e32 v2, v6, v3
	v_and_b32_sdwa v7, v2, s71 dst_sel:DWORD dst_unused:UNUSED_PAD src0_sel:BYTE_3 src1_sel:DWORD
	v_and_b32_e32 v8, 0x7f800000, v2
	v_mov_b32_e32 v9, v37
	v_and_b32_e32 v36, 0x7fffff, v2
	v_or_b32_e32 v6, 0x7e, v7
	v_cmp_ne_u64_e32 vcc, s[38:39], v[8:9]
	s_and_saveexec_b64 s[18:19], vcc
	s_xor_b64 s[52:53], exec, s[18:19]
	s_cbranch_execz .LBB4_3565
; %bb.3556:                             ;   in Loop: Header=BB4_2791 Depth=2
	v_and_b32_e32 v8, 0x7fffffff, v2
	v_mov_b32_e32 v9, v37
	v_cmp_gt_u64_e32 vcc, s[40:41], v[8:9]
	s_and_saveexec_b64 s[54:55], vcc
	s_cbranch_execz .LBB4_3564
; %bb.3557:                             ;   in Loop: Header=BB4_2791 Depth=2
	v_cmp_ne_u32_e32 vcc, 0, v2
	v_mov_b32_e32 v6, 0
	s_and_saveexec_b64 s[56:57], vcc
	s_cbranch_execz .LBB4_3563
; %bb.3558:                             ;   in Loop: Header=BB4_2791 Depth=2
	v_bfe_u32 v2, v2, 23, 8
	v_sub_u32_e32 v6, 0x79, v2
	v_cmp_gt_u32_e32 vcc, s72, v2
	v_add_u32_e32 v3, 0xffffff81, v2
	v_cndmask_b32_e32 v6, 0, v6, vcc
	v_cmp_eq_u32_e32 vcc, 0, v2
	v_mov_b32_e32 v2, 0xffffff82
	v_cndmask_b32_e32 v9, v3, v2, vcc
	v_mov_b32_e32 v2, 0x78
	v_or_b32_e32 v8, 0x800000, v36
	v_cndmask_b32_e32 v6, v6, v2, vcc
	v_cndmask_b32_e32 v36, v8, v36, vcc
	v_add_u32_e32 v2, 20, v6
	v_lshlrev_b64 v[2:3], v2, -1
	v_add_u32_e32 v8, 19, v6
	v_lshrrev_b64 v[22:23], v6, v[36:37]
	v_not_b32_e32 v3, v3
	v_not_b32_e32 v2, v2
	v_lshlrev_b64 v[14:15], v8, 1
	v_lshrrev_b32_e32 v8, 23, v22
	v_and_b32_e32 v3, 0, v3
	v_and_b32_e32 v2, v36, v2
	v_add3_u32 v9, v6, v9, v8
	v_bfe_u32 v6, v22, 20, 1
	v_add_u32_e32 v6, -1, v6
	v_cmp_eq_u64_e32 vcc, v[2:3], v[14:15]
	v_cndmask_b32_e32 v2, 0, v6, vcc
	v_add_u32_e32 v2, v2, v22
	v_and_b32_e32 v2, 0xfffff, v2
	v_add_co_u32_e32 v2, vcc, v2, v22
	v_add_u32_e32 v8, 6, v9
	v_addc_co_u32_e32 v3, vcc, 0, v23, vcc
	v_cmp_ne_u32_e32 vcc, 0, v8
                                        ; implicit-def: $vgpr6
	s_and_saveexec_b64 s[18:19], vcc
	s_xor_b64 s[18:19], exec, s[18:19]
; %bb.3559:                             ;   in Loop: Header=BB4_2791 Depth=2
	v_add_u32_e32 v6, 7, v9
	v_cmp_lt_u64_e32 vcc, s[44:45], v[2:3]
	v_cndmask_b32_e32 v6, v8, v6, vcc
	v_cndmask_b32_e64 v8, 0, 1, vcc
	v_lshrrev_b64 v[2:3], v8, v[2:3]
; %bb.3560:                             ;   in Loop: Header=BB4_2791 Depth=2
	s_andn2_saveexec_b64 s[18:19], s[18:19]
; %bb.3561:                             ;   in Loop: Header=BB4_2791 Depth=2
	v_bfe_u32 v6, v2, 23, 1
; %bb.3562:                             ;   in Loop: Header=BB4_2791 Depth=2
	s_or_b64 exec, exec, s[18:19]
	v_lshrrev_b64 v[2:3], 20, v[2:3]
	v_cmp_gt_i32_e32 vcc, 16, v6
	v_cndmask_b32_e32 v3, 0, v3, vcc
	v_cndmask_b32_e32 v2, 7, v2, vcc
	v_cmp_eq_u64_e64 s[18:19], 0, v[2:3]
	v_min_i32_e32 v3, 15, v6
	v_lshlrev_b32_e32 v3, 3, v3
	v_cmp_eq_u32_e32 vcc, 0, v6
	v_and_b32_e32 v3, 0xf8, v3
	v_and_or_b32 v2, v2, 7, v3
	s_and_b64 s[18:19], vcc, s[18:19]
	v_cndmask_b32_e64 v2, v2, 0, s[18:19]
	v_or_b32_e32 v6, v2, v7
.LBB4_3563:                             ;   in Loop: Header=BB4_2791 Depth=2
	s_or_b64 exec, exec, s[56:57]
.LBB4_3564:                             ;   in Loop: Header=BB4_2791 Depth=2
	s_or_b64 exec, exec, s[54:55]
                                        ; implicit-def: $vgpr2
.LBB4_3565:                             ;   in Loop: Header=BB4_2791 Depth=2
	s_andn2_saveexec_b64 s[18:19], s[52:53]
; %bb.3566:                             ;   in Loop: Header=BB4_2791 Depth=2
	v_or_b32_sdwa v2, v2, s69 dst_sel:DWORD dst_unused:UNUSED_PAD src0_sel:BYTE_3 src1_sel:DWORD
	v_cmp_eq_u64_e32 vcc, 0, v[36:37]
	v_cndmask_b32_e32 v6, v2, v6, vcc
; %bb.3567:                             ;   in Loop: Header=BB4_2791 Depth=2
	s_or_b64 exec, exec, s[18:19]
	v_lshlrev_b32_e32 v7, 8, v54
	v_cmp_ne_u16_sdwa vcc, v5, v37 src0_sel:BYTE_0 src1_sel:DWORD
	v_mov_b32_e32 v2, 0
	v_mov_b32_e32 v3, 0
	s_and_saveexec_b64 s[18:19], vcc
	s_cbranch_execz .LBB4_3573
; %bb.3568:                             ;   in Loop: Header=BB4_2791 Depth=2
	v_cmp_ne_u16_sdwa vcc, v5, s71 src0_sel:BYTE_0 src1_sel:DWORD
	v_bfrev_b32_e32 v3, 1
	s_and_saveexec_b64 s[52:53], vcc
	s_cbranch_execz .LBB4_3572
; %bb.3569:                             ;   in Loop: Header=BB4_2791 Depth=2
	v_and_b32_e32 v8, 0x7f, v5
	v_cmp_ne_u32_e32 vcc, s69, v8
	v_mov_b32_e32 v3, 0x7f800001
	s_and_saveexec_b64 s[54:55], vcc
	s_cbranch_execz .LBB4_3571
; %bb.3570:                             ;   in Loop: Header=BB4_2791 Depth=2
	v_and_b32_e32 v3, 7, v5
	v_ffbh_u32_e32 v3, v3
	v_min_u32_e32 v3, 32, v3
	v_subrev_u32_e32 v15, 28, v3
	v_cmp_gt_u32_e32 vcc, 8, v8
	v_lshrrev_b32_e32 v9, 3, v8
	v_perm_b32 v14, v7, v5, s73
	v_sub_u32_e32 v3, 29, v3
	v_cndmask_b32_e32 v8, 0, v15, vcc
	v_cndmask_b32_e32 v3, v9, v3, vcc
	v_lshlrev_b64 v[8:9], v8, v[14:15]
	v_lshlrev_b32_e32 v8, 20, v8
	v_lshlrev_b32_e32 v5, 24, v5
	v_and_b32_e32 v8, 0x700000, v8
	v_and_b32_e32 v5, 0x80000000, v5
	v_lshl_add_u32 v3, v3, 23, v55
	v_or3_b32 v3, v5, v3, v8
.LBB4_3571:                             ;   in Loop: Header=BB4_2791 Depth=2
	s_or_b64 exec, exec, s[54:55]
.LBB4_3572:                             ;   in Loop: Header=BB4_2791 Depth=2
	s_or_b64 exec, exec, s[52:53]
.LBB4_3573:                             ;   in Loop: Header=BB4_2791 Depth=2
	s_or_b64 exec, exec, s[18:19]
	v_cmp_ne_u16_sdwa vcc, v16, v37 src0_sel:BYTE_0 src1_sel:DWORD
	s_and_saveexec_b64 s[18:19], vcc
	s_cbranch_execz .LBB4_3579
; %bb.3574:                             ;   in Loop: Header=BB4_2791 Depth=2
	v_cmp_ne_u16_sdwa vcc, v16, s71 src0_sel:BYTE_0 src1_sel:DWORD
	v_bfrev_b32_e32 v2, 1
	s_and_saveexec_b64 s[52:53], vcc
	s_cbranch_execz .LBB4_3578
; %bb.3575:                             ;   in Loop: Header=BB4_2791 Depth=2
	v_and_b32_e32 v5, 0x7f, v16
	v_cmp_ne_u32_e32 vcc, s69, v5
	v_mov_b32_e32 v2, 0x7f800001
	s_and_saveexec_b64 s[54:55], vcc
	s_cbranch_execz .LBB4_3577
; %bb.3576:                             ;   in Loop: Header=BB4_2791 Depth=2
	v_and_b32_e32 v2, 7, v16
	v_ffbh_u32_e32 v2, v2
	v_min_u32_e32 v2, 32, v2
	v_subrev_u32_e32 v9, 28, v2
	v_cmp_gt_u32_e32 vcc, 8, v5
	v_lshrrev_b32_e32 v8, 3, v5
	v_sub_u32_e32 v2, 29, v2
	v_cndmask_b32_e32 v5, 0, v9, vcc
	v_cndmask_b32_e32 v2, v8, v2, vcc
	v_lshlrev_b64 v[8:9], v5, v[16:17]
	v_lshlrev_b32_e32 v5, 20, v8
	v_lshlrev_b32_e32 v8, 24, v16
	v_and_b32_e32 v5, 0x700000, v5
	v_and_b32_e32 v8, 0x80000000, v8
	v_lshl_add_u32 v2, v2, 23, v55
	v_or3_b32 v2, v8, v2, v5
.LBB4_3577:                             ;   in Loop: Header=BB4_2791 Depth=2
	s_or_b64 exec, exec, s[54:55]
.LBB4_3578:                             ;   in Loop: Header=BB4_2791 Depth=2
	s_or_b64 exec, exec, s[52:53]
.LBB4_3579:                             ;   in Loop: Header=BB4_2791 Depth=2
	s_or_b64 exec, exec, s[18:19]
	v_add_f32_e32 v2, v3, v2
	v_and_b32_sdwa v8, v2, s71 dst_sel:DWORD dst_unused:UNUSED_PAD src0_sel:BYTE_3 src1_sel:DWORD
	v_and_b32_e32 v14, 0x7f800000, v2
	v_mov_b32_e32 v15, v37
	v_and_b32_e32 v36, 0x7fffff, v2
	v_or_b32_e32 v5, 0x7e, v8
	v_cmp_ne_u64_e32 vcc, s[38:39], v[14:15]
	s_and_saveexec_b64 s[18:19], vcc
	s_xor_b64 s[52:53], exec, s[18:19]
	s_cbranch_execz .LBB4_3589
; %bb.3580:                             ;   in Loop: Header=BB4_2791 Depth=2
	v_and_b32_e32 v14, 0x7fffffff, v2
	v_mov_b32_e32 v15, v37
	v_cmp_gt_u64_e32 vcc, s[40:41], v[14:15]
	s_and_saveexec_b64 s[54:55], vcc
	s_cbranch_execz .LBB4_3588
; %bb.3581:                             ;   in Loop: Header=BB4_2791 Depth=2
	v_cmp_ne_u32_e32 vcc, 0, v2
	v_mov_b32_e32 v5, 0
	s_and_saveexec_b64 s[56:57], vcc
	s_cbranch_execz .LBB4_3587
; %bb.3582:                             ;   in Loop: Header=BB4_2791 Depth=2
	v_bfe_u32 v2, v2, 23, 8
	v_sub_u32_e32 v5, 0x79, v2
	v_cmp_gt_u32_e32 vcc, s72, v2
	v_add_u32_e32 v3, 0xffffff81, v2
	v_cndmask_b32_e32 v5, 0, v5, vcc
	v_cmp_eq_u32_e32 vcc, 0, v2
	v_mov_b32_e32 v2, 0xffffff82
	v_cndmask_b32_e32 v14, v3, v2, vcc
	v_mov_b32_e32 v2, 0x78
	v_or_b32_e32 v9, 0x800000, v36
	v_cndmask_b32_e32 v5, v5, v2, vcc
	v_cndmask_b32_e32 v36, v9, v36, vcc
	v_add_u32_e32 v2, 20, v5
	v_lshlrev_b64 v[2:3], v2, -1
	v_add_u32_e32 v9, 19, v5
	v_lshrrev_b64 v[50:51], v5, v[36:37]
	v_not_b32_e32 v3, v3
	v_not_b32_e32 v2, v2
	v_lshlrev_b64 v[22:23], v9, 1
	v_lshrrev_b32_e32 v9, 23, v50
	v_and_b32_e32 v3, 0, v3
	v_and_b32_e32 v2, v36, v2
	v_add3_u32 v14, v5, v14, v9
	v_bfe_u32 v5, v50, 20, 1
	v_add_u32_e32 v5, -1, v5
	v_cmp_eq_u64_e32 vcc, v[2:3], v[22:23]
	v_cndmask_b32_e32 v2, 0, v5, vcc
	v_add_u32_e32 v2, v2, v50
	v_and_b32_e32 v2, 0xfffff, v2
	v_add_co_u32_e32 v2, vcc, v2, v50
	v_add_u32_e32 v9, 6, v14
	v_addc_co_u32_e32 v3, vcc, 0, v51, vcc
	v_cmp_ne_u32_e32 vcc, 0, v9
                                        ; implicit-def: $vgpr5
	s_and_saveexec_b64 s[18:19], vcc
	s_xor_b64 s[18:19], exec, s[18:19]
; %bb.3583:                             ;   in Loop: Header=BB4_2791 Depth=2
	v_add_u32_e32 v5, 7, v14
	v_cmp_lt_u64_e32 vcc, s[44:45], v[2:3]
	v_cndmask_b32_e32 v5, v9, v5, vcc
	v_cndmask_b32_e64 v9, 0, 1, vcc
	v_lshrrev_b64 v[2:3], v9, v[2:3]
; %bb.3584:                             ;   in Loop: Header=BB4_2791 Depth=2
	s_andn2_saveexec_b64 s[18:19], s[18:19]
; %bb.3585:                             ;   in Loop: Header=BB4_2791 Depth=2
	v_bfe_u32 v5, v2, 23, 1
; %bb.3586:                             ;   in Loop: Header=BB4_2791 Depth=2
	s_or_b64 exec, exec, s[18:19]
	v_lshrrev_b64 v[2:3], 20, v[2:3]
	v_cmp_gt_i32_e32 vcc, 16, v5
	v_cndmask_b32_e32 v3, 0, v3, vcc
	v_cndmask_b32_e32 v2, 7, v2, vcc
	v_cmp_eq_u64_e64 s[18:19], 0, v[2:3]
	v_min_i32_e32 v3, 15, v5
	v_cmp_eq_u32_e32 vcc, 0, v5
	v_lshlrev_b32_e32 v3, 3, v3
	v_and_or_b32 v2, v2, 7, v3
	s_and_b64 s[18:19], vcc, s[18:19]
	v_cndmask_b32_e64 v2, v2, 0, s[18:19]
	v_or_b32_e32 v5, v2, v8
.LBB4_3587:                             ;   in Loop: Header=BB4_2791 Depth=2
	s_or_b64 exec, exec, s[56:57]
.LBB4_3588:                             ;   in Loop: Header=BB4_2791 Depth=2
	s_or_b64 exec, exec, s[54:55]
                                        ; implicit-def: $vgpr2
.LBB4_3589:                             ;   in Loop: Header=BB4_2791 Depth=2
	s_andn2_saveexec_b64 s[18:19], s[52:53]
; %bb.3590:                             ;   in Loop: Header=BB4_2791 Depth=2
	v_or_b32_sdwa v2, v2, s69 dst_sel:DWORD dst_unused:UNUSED_PAD src0_sel:BYTE_3 src1_sel:DWORD
	v_cmp_eq_u64_e32 vcc, 0, v[36:37]
	v_cndmask_b32_e32 v5, v2, v5, vcc
; %bb.3591:                             ;   in Loop: Header=BB4_2791 Depth=2
	s_or_b64 exec, exec, s[18:19]
	v_lshrrev_b16_e32 v2, 8, v7
	v_cmp_ne_u16_e32 vcc, 0, v2
	v_mov_b32_e32 v3, 0
	v_mov_b32_e32 v8, 0
	s_and_saveexec_b64 s[18:19], vcc
	s_cbranch_execz .LBB4_3597
; %bb.3592:                             ;   in Loop: Header=BB4_2791 Depth=2
	v_cmp_ne_u16_e32 vcc, s71, v2
	v_bfrev_b32_e32 v8, 1
	s_and_saveexec_b64 s[52:53], vcc
	s_cbranch_execz .LBB4_3596
; %bb.3593:                             ;   in Loop: Header=BB4_2791 Depth=2
	v_and_b32_e32 v9, 0x7f, v2
	v_cmp_ne_u32_e32 vcc, s69, v9
	v_mov_b32_e32 v8, 0x7f800001
	s_and_saveexec_b64 s[54:55], vcc
	s_cbranch_execz .LBB4_3595
; %bb.3594:                             ;   in Loop: Header=BB4_2791 Depth=2
	v_and_b32_e32 v8, 7, v2
	v_ffbh_u32_e32 v14, v8
	v_min_u32_e32 v23, 32, v14
	v_subrev_u32_e32 v14, 28, v23
	v_lshlrev_b64 v[14:15], v14, v[2:3]
	v_lshrrev_b32_e32 v22, 3, v9
	v_sub_u32_e32 v2, 29, v23
	v_and_b32_e32 v14, 7, v14
	v_cmp_gt_u32_e32 vcc, 8, v9
	v_cndmask_b32_e32 v2, v22, v2, vcc
	v_cndmask_b32_e32 v8, v8, v14, vcc
	v_lshlrev_b32_e32 v7, 16, v7
	v_lshlrev_b32_e32 v8, 20, v8
	v_and_b32_e32 v7, 0x80000000, v7
	v_lshl_add_u32 v2, v2, 23, v55
	v_or3_b32 v8, v7, v2, v8
.LBB4_3595:                             ;   in Loop: Header=BB4_2791 Depth=2
	s_or_b64 exec, exec, s[54:55]
.LBB4_3596:                             ;   in Loop: Header=BB4_2791 Depth=2
	s_or_b64 exec, exec, s[52:53]
.LBB4_3597:                             ;   in Loop: Header=BB4_2791 Depth=2
	s_or_b64 exec, exec, s[18:19]
	v_lshrrev_b16_e32 v2, 8, v16
	v_cmp_ne_u16_e32 vcc, 0, v2
	s_and_saveexec_b64 s[18:19], vcc
	s_cbranch_execz .LBB4_3603
; %bb.3598:                             ;   in Loop: Header=BB4_2791 Depth=2
	v_cmp_ne_u16_e32 vcc, s71, v2
	v_bfrev_b32_e32 v3, 1
	s_and_saveexec_b64 s[52:53], vcc
	s_cbranch_execz .LBB4_3602
; %bb.3599:                             ;   in Loop: Header=BB4_2791 Depth=2
	v_and_b32_e32 v7, 0x7f, v2
	v_cmp_ne_u32_e32 vcc, s69, v7
	v_mov_b32_e32 v3, 0x7f800001
	s_and_saveexec_b64 s[54:55], vcc
	s_cbranch_execz .LBB4_3601
; %bb.3600:                             ;   in Loop: Header=BB4_2791 Depth=2
	v_and_b32_e32 v9, 7, v2
	v_ffbh_u32_e32 v3, v9
	v_min_u32_e32 v15, 32, v3
	v_subrev_u32_e32 v3, 28, v15
	v_lshlrev_b64 v[2:3], v3, v[2:3]
	v_lshrrev_b32_e32 v14, 3, v7
	v_sub_u32_e32 v3, 29, v15
	v_and_b32_e32 v2, 7, v2
	v_cmp_gt_u32_e32 vcc, 8, v7
	v_cndmask_b32_e32 v3, v14, v3, vcc
	v_cndmask_b32_e32 v2, v9, v2, vcc
	v_lshlrev_b32_e32 v7, 16, v16
	v_lshlrev_b32_e32 v2, 20, v2
	v_and_b32_e32 v7, 0x80000000, v7
	v_lshl_add_u32 v3, v3, 23, v55
	v_or3_b32 v3, v7, v3, v2
.LBB4_3601:                             ;   in Loop: Header=BB4_2791 Depth=2
	s_or_b64 exec, exec, s[54:55]
.LBB4_3602:                             ;   in Loop: Header=BB4_2791 Depth=2
	s_or_b64 exec, exec, s[52:53]
.LBB4_3603:                             ;   in Loop: Header=BB4_2791 Depth=2
	s_or_b64 exec, exec, s[18:19]
	v_add_f32_e32 v2, v8, v3
	v_and_b32_sdwa v8, v2, s71 dst_sel:DWORD dst_unused:UNUSED_PAD src0_sel:BYTE_3 src1_sel:DWORD
	v_and_b32_e32 v14, 0x7f800000, v2
	v_mov_b32_e32 v15, v37
	v_and_b32_e32 v36, 0x7fffff, v2
	v_or_b32_e32 v7, 0x7e, v8
	v_cmp_ne_u64_e32 vcc, s[38:39], v[14:15]
	s_and_saveexec_b64 s[18:19], vcc
	s_xor_b64 s[52:53], exec, s[18:19]
	s_cbranch_execz .LBB4_3613
; %bb.3604:                             ;   in Loop: Header=BB4_2791 Depth=2
	v_and_b32_e32 v14, 0x7fffffff, v2
	v_mov_b32_e32 v15, v37
	v_cmp_gt_u64_e32 vcc, s[40:41], v[14:15]
	s_and_saveexec_b64 s[54:55], vcc
	s_cbranch_execz .LBB4_3612
; %bb.3605:                             ;   in Loop: Header=BB4_2791 Depth=2
	v_cmp_ne_u32_e32 vcc, 0, v2
	v_mov_b32_e32 v7, 0
	s_and_saveexec_b64 s[56:57], vcc
	s_cbranch_execz .LBB4_3611
; %bb.3606:                             ;   in Loop: Header=BB4_2791 Depth=2
	v_bfe_u32 v2, v2, 23, 8
	v_sub_u32_e32 v7, 0x79, v2
	v_cmp_gt_u32_e32 vcc, s72, v2
	v_add_u32_e32 v3, 0xffffff81, v2
	v_cndmask_b32_e32 v7, 0, v7, vcc
	v_cmp_eq_u32_e32 vcc, 0, v2
	v_mov_b32_e32 v2, 0xffffff82
	v_cndmask_b32_e32 v14, v3, v2, vcc
	v_mov_b32_e32 v2, 0x78
	v_or_b32_e32 v9, 0x800000, v36
	v_cndmask_b32_e32 v7, v7, v2, vcc
	v_cndmask_b32_e32 v36, v9, v36, vcc
	v_add_u32_e32 v2, 20, v7
	v_lshlrev_b64 v[2:3], v2, -1
	v_add_u32_e32 v9, 19, v7
	v_lshrrev_b64 v[50:51], v7, v[36:37]
	v_not_b32_e32 v3, v3
	v_not_b32_e32 v2, v2
	v_lshlrev_b64 v[22:23], v9, 1
	v_lshrrev_b32_e32 v9, 23, v50
	v_and_b32_e32 v3, 0, v3
	v_and_b32_e32 v2, v36, v2
	v_add3_u32 v14, v7, v14, v9
	v_bfe_u32 v7, v50, 20, 1
	v_add_u32_e32 v7, -1, v7
	v_cmp_eq_u64_e32 vcc, v[2:3], v[22:23]
	v_cndmask_b32_e32 v2, 0, v7, vcc
	v_add_u32_e32 v2, v2, v50
	v_and_b32_e32 v2, 0xfffff, v2
	v_add_co_u32_e32 v2, vcc, v2, v50
	v_add_u32_e32 v9, 6, v14
	v_addc_co_u32_e32 v3, vcc, 0, v51, vcc
	v_cmp_ne_u32_e32 vcc, 0, v9
                                        ; implicit-def: $vgpr7
	s_and_saveexec_b64 s[18:19], vcc
	s_xor_b64 s[18:19], exec, s[18:19]
; %bb.3607:                             ;   in Loop: Header=BB4_2791 Depth=2
	v_add_u32_e32 v7, 7, v14
	v_cmp_lt_u64_e32 vcc, s[44:45], v[2:3]
	v_cndmask_b32_e32 v7, v9, v7, vcc
	v_cndmask_b32_e64 v9, 0, 1, vcc
	v_lshrrev_b64 v[2:3], v9, v[2:3]
; %bb.3608:                             ;   in Loop: Header=BB4_2791 Depth=2
	s_andn2_saveexec_b64 s[18:19], s[18:19]
; %bb.3609:                             ;   in Loop: Header=BB4_2791 Depth=2
	v_bfe_u32 v7, v2, 23, 1
; %bb.3610:                             ;   in Loop: Header=BB4_2791 Depth=2
	s_or_b64 exec, exec, s[18:19]
	v_lshrrev_b64 v[2:3], 20, v[2:3]
	v_cmp_gt_i32_e32 vcc, 16, v7
	v_cndmask_b32_e32 v3, 0, v3, vcc
	v_cndmask_b32_e32 v2, 7, v2, vcc
	v_cmp_eq_u64_e64 s[18:19], 0, v[2:3]
	v_min_i32_e32 v3, 15, v7
	v_cmp_eq_u32_e32 vcc, 0, v7
	v_lshlrev_b32_e32 v3, 3, v3
	v_and_or_b32 v2, v2, 7, v3
	s_and_b64 s[18:19], vcc, s[18:19]
	v_cndmask_b32_e64 v2, v2, 0, s[18:19]
	v_or_b32_e32 v7, v2, v8
.LBB4_3611:                             ;   in Loop: Header=BB4_2791 Depth=2
	s_or_b64 exec, exec, s[56:57]
.LBB4_3612:                             ;   in Loop: Header=BB4_2791 Depth=2
	s_or_b64 exec, exec, s[54:55]
                                        ; implicit-def: $vgpr2
.LBB4_3613:                             ;   in Loop: Header=BB4_2791 Depth=2
	s_andn2_saveexec_b64 s[18:19], s[52:53]
; %bb.3614:                             ;   in Loop: Header=BB4_2791 Depth=2
	v_or_b32_sdwa v2, v2, s69 dst_sel:DWORD dst_unused:UNUSED_PAD src0_sel:BYTE_3 src1_sel:DWORD
	v_cmp_eq_u64_e32 vcc, 0, v[36:37]
	v_cndmask_b32_e32 v7, v2, v7, vcc
; %bb.3615:                             ;   in Loop: Header=BB4_2791 Depth=2
	s_or_b64 exec, exec, s[18:19]
	v_cmp_ne_u16_sdwa vcc, v58, v37 src0_sel:BYTE_0 src1_sel:DWORD
	v_mov_b32_e32 v3, 0
	v_mov_b32_e32 v8, 0
	s_and_saveexec_b64 s[18:19], vcc
	s_cbranch_execz .LBB4_3621
; %bb.3616:                             ;   in Loop: Header=BB4_2791 Depth=2
	v_cmp_ne_u16_sdwa vcc, v58, s71 src0_sel:BYTE_0 src1_sel:DWORD
	v_bfrev_b32_e32 v8, 1
	s_and_saveexec_b64 s[52:53], vcc
	s_cbranch_execz .LBB4_3620
; %bb.3617:                             ;   in Loop: Header=BB4_2791 Depth=2
	v_and_b32_e32 v2, 0x7f, v58
	v_cmp_ne_u32_e32 vcc, s69, v2
	v_mov_b32_e32 v8, 0x7f800001
	s_and_saveexec_b64 s[54:55], vcc
	s_cbranch_execz .LBB4_3619
; %bb.3618:                             ;   in Loop: Header=BB4_2791 Depth=2
	v_and_b32_e32 v14, 7, v58
	v_ffbh_u32_e32 v8, v14
	v_min_u32_e32 v22, 32, v8
	v_subrev_u32_e32 v8, 28, v22
	v_lshlrev_b64 v[8:9], v8, v[58:59]
	v_lshrrev_b32_e32 v15, 3, v2
	v_sub_u32_e32 v9, 29, v22
	v_and_b32_e32 v8, 7, v8
	v_cmp_gt_u32_e32 vcc, 8, v2
	v_cndmask_b32_e32 v2, v15, v9, vcc
	v_cndmask_b32_e32 v8, v14, v8, vcc
	v_lshlrev_b32_e32 v9, 24, v58
	v_lshlrev_b32_e32 v8, 20, v8
	v_and_b32_e32 v9, 0x80000000, v9
	v_lshl_add_u32 v2, v2, 23, v55
	v_or3_b32 v8, v9, v2, v8
.LBB4_3619:                             ;   in Loop: Header=BB4_2791 Depth=2
	s_or_b64 exec, exec, s[54:55]
.LBB4_3620:                             ;   in Loop: Header=BB4_2791 Depth=2
	s_or_b64 exec, exec, s[52:53]
.LBB4_3621:                             ;   in Loop: Header=BB4_2791 Depth=2
	s_or_b64 exec, exec, s[18:19]
	v_lshrrev_b32_e32 v2, 16, v16
	v_cmp_ne_u16_sdwa vcc, v2, v37 src0_sel:BYTE_0 src1_sel:DWORD
	s_and_saveexec_b64 s[18:19], vcc
	s_cbranch_execz .LBB4_3627
; %bb.3622:                             ;   in Loop: Header=BB4_2791 Depth=2
	v_cmp_ne_u16_sdwa vcc, v2, s71 src0_sel:BYTE_0 src1_sel:DWORD
	v_bfrev_b32_e32 v3, 1
	s_and_saveexec_b64 s[52:53], vcc
	s_cbranch_execz .LBB4_3626
; %bb.3623:                             ;   in Loop: Header=BB4_2791 Depth=2
	v_bfe_u32 v9, v16, 16, 7
	v_cmp_ne_u32_e32 vcc, s69, v9
	v_mov_b32_e32 v3, 0x7f800001
	s_and_saveexec_b64 s[54:55], vcc
	s_cbranch_execz .LBB4_3625
; %bb.3624:                             ;   in Loop: Header=BB4_2791 Depth=2
	v_and_b32_e32 v14, 7, v2
	v_ffbh_u32_e32 v3, v14
	v_min_u32_e32 v22, 32, v3
	v_subrev_u32_e32 v3, 28, v22
	v_lshlrev_b64 v[2:3], v3, v[2:3]
	v_lshrrev_b32_e32 v15, 3, v9
	v_sub_u32_e32 v3, 29, v22
	v_and_b32_e32 v2, 7, v2
	v_cmp_gt_u32_e32 vcc, 8, v9
	v_cndmask_b32_e32 v3, v15, v3, vcc
	v_cndmask_b32_e32 v2, v14, v2, vcc
	v_lshlrev_b32_e32 v9, 8, v16
	v_lshlrev_b32_e32 v2, 20, v2
	v_and_b32_e32 v9, 0x80000000, v9
	v_lshl_add_u32 v3, v3, 23, v55
	v_or3_b32 v3, v9, v3, v2
.LBB4_3625:                             ;   in Loop: Header=BB4_2791 Depth=2
	s_or_b64 exec, exec, s[54:55]
.LBB4_3626:                             ;   in Loop: Header=BB4_2791 Depth=2
	s_or_b64 exec, exec, s[52:53]
.LBB4_3627:                             ;   in Loop: Header=BB4_2791 Depth=2
	s_or_b64 exec, exec, s[18:19]
	v_add_f32_e32 v2, v8, v3
	v_and_b32_sdwa v9, v2, s71 dst_sel:DWORD dst_unused:UNUSED_PAD src0_sel:BYTE_3 src1_sel:DWORD
	v_and_b32_e32 v14, 0x7f800000, v2
	v_mov_b32_e32 v15, v37
	v_and_b32_e32 v36, 0x7fffff, v2
	v_or_b32_e32 v8, 0x7e, v9
	v_cmp_ne_u64_e32 vcc, s[38:39], v[14:15]
	s_and_saveexec_b64 s[18:19], vcc
	s_xor_b64 s[52:53], exec, s[18:19]
	s_cbranch_execz .LBB4_3637
; %bb.3628:                             ;   in Loop: Header=BB4_2791 Depth=2
	v_and_b32_e32 v14, 0x7fffffff, v2
	v_mov_b32_e32 v15, v37
	v_cmp_gt_u64_e32 vcc, s[40:41], v[14:15]
	s_and_saveexec_b64 s[54:55], vcc
	s_cbranch_execz .LBB4_3636
; %bb.3629:                             ;   in Loop: Header=BB4_2791 Depth=2
	v_cmp_ne_u32_e32 vcc, 0, v2
	v_mov_b32_e32 v8, 0
	s_and_saveexec_b64 s[56:57], vcc
	s_cbranch_execz .LBB4_3635
; %bb.3630:                             ;   in Loop: Header=BB4_2791 Depth=2
	v_bfe_u32 v2, v2, 23, 8
	v_sub_u32_e32 v8, 0x79, v2
	v_cmp_gt_u32_e32 vcc, s72, v2
	v_add_u32_e32 v3, 0xffffff81, v2
	v_cndmask_b32_e32 v8, 0, v8, vcc
	v_cmp_eq_u32_e32 vcc, 0, v2
	v_mov_b32_e32 v2, 0xffffff82
	v_cndmask_b32_e32 v15, v3, v2, vcc
	v_mov_b32_e32 v2, 0x78
	v_or_b32_e32 v14, 0x800000, v36
	v_cndmask_b32_e32 v8, v8, v2, vcc
	v_cndmask_b32_e32 v36, v14, v36, vcc
	v_add_u32_e32 v2, 20, v8
	v_lshlrev_b64 v[2:3], v2, -1
	v_add_u32_e32 v14, 19, v8
	v_lshrrev_b64 v[50:51], v8, v[36:37]
	v_not_b32_e32 v3, v3
	v_not_b32_e32 v2, v2
	v_lshlrev_b64 v[22:23], v14, 1
	v_lshrrev_b32_e32 v14, 23, v50
	v_and_b32_e32 v3, 0, v3
	v_and_b32_e32 v2, v36, v2
	v_add3_u32 v15, v8, v15, v14
	v_bfe_u32 v8, v50, 20, 1
	v_add_u32_e32 v8, -1, v8
	v_cmp_eq_u64_e32 vcc, v[2:3], v[22:23]
	v_cndmask_b32_e32 v2, 0, v8, vcc
	v_add_u32_e32 v2, v2, v50
	v_and_b32_e32 v2, 0xfffff, v2
	v_add_co_u32_e32 v2, vcc, v2, v50
	v_add_u32_e32 v14, 6, v15
	v_addc_co_u32_e32 v3, vcc, 0, v51, vcc
	v_cmp_ne_u32_e32 vcc, 0, v14
                                        ; implicit-def: $vgpr8
	s_and_saveexec_b64 s[18:19], vcc
	s_xor_b64 s[18:19], exec, s[18:19]
; %bb.3631:                             ;   in Loop: Header=BB4_2791 Depth=2
	v_add_u32_e32 v8, 7, v15
	v_cmp_lt_u64_e32 vcc, s[44:45], v[2:3]
	v_cndmask_b32_e32 v8, v14, v8, vcc
	v_cndmask_b32_e64 v14, 0, 1, vcc
	v_lshrrev_b64 v[2:3], v14, v[2:3]
; %bb.3632:                             ;   in Loop: Header=BB4_2791 Depth=2
	s_andn2_saveexec_b64 s[18:19], s[18:19]
; %bb.3633:                             ;   in Loop: Header=BB4_2791 Depth=2
	v_bfe_u32 v8, v2, 23, 1
; %bb.3634:                             ;   in Loop: Header=BB4_2791 Depth=2
	s_or_b64 exec, exec, s[18:19]
	v_lshrrev_b64 v[2:3], 20, v[2:3]
	v_cmp_gt_i32_e32 vcc, 16, v8
	v_cndmask_b32_e32 v3, 0, v3, vcc
	v_cndmask_b32_e32 v2, 7, v2, vcc
	v_cmp_eq_u64_e64 s[18:19], 0, v[2:3]
	v_min_i32_e32 v3, 15, v8
	v_cmp_eq_u32_e32 vcc, 0, v8
	v_lshlrev_b32_e32 v3, 3, v3
	v_and_or_b32 v2, v2, 7, v3
	s_and_b64 s[18:19], vcc, s[18:19]
	v_cndmask_b32_e64 v2, v2, 0, s[18:19]
	v_or_b32_e32 v8, v2, v9
.LBB4_3635:                             ;   in Loop: Header=BB4_2791 Depth=2
	s_or_b64 exec, exec, s[56:57]
.LBB4_3636:                             ;   in Loop: Header=BB4_2791 Depth=2
	s_or_b64 exec, exec, s[54:55]
                                        ; implicit-def: $vgpr2
.LBB4_3637:                             ;   in Loop: Header=BB4_2791 Depth=2
	s_andn2_saveexec_b64 s[18:19], s[52:53]
; %bb.3638:                             ;   in Loop: Header=BB4_2791 Depth=2
	v_or_b32_sdwa v2, v2, s69 dst_sel:DWORD dst_unused:UNUSED_PAD src0_sel:BYTE_3 src1_sel:DWORD
	v_cmp_eq_u64_e32 vcc, 0, v[36:37]
	v_cndmask_b32_e32 v8, v2, v8, vcc
; %bb.3639:                             ;   in Loop: Header=BB4_2791 Depth=2
	s_or_b64 exec, exec, s[18:19]
	v_lshlrev_b32_e32 v2, 8, v4
	v_and_b32_e32 v2, 0xff00, v2
	v_cmp_ne_u32_e32 vcc, 0, v2
	v_mov_b32_e32 v3, 0
	v_mov_b32_e32 v4, 0
	s_and_saveexec_b64 s[18:19], vcc
	s_cbranch_execz .LBB4_3645
; %bb.3640:                             ;   in Loop: Header=BB4_2791 Depth=2
	v_cmp_ne_u32_e32 vcc, s74, v2
	v_bfrev_b32_e32 v4, 1
	s_and_saveexec_b64 s[52:53], vcc
	s_cbranch_execz .LBB4_3644
; %bb.3641:                             ;   in Loop: Header=BB4_2791 Depth=2
	v_bfe_u32 v9, v2, 8, 7
	v_cmp_ne_u32_e32 vcc, s69, v9
	v_mov_b32_e32 v4, 0x7f800001
	s_and_saveexec_b64 s[54:55], vcc
	s_cbranch_execz .LBB4_3643
; %bb.3642:                             ;   in Loop: Header=BB4_2791 Depth=2
	v_lshrrev_b32_e32 v4, 8, v2
	v_and_b32_e32 v22, 7, v4
	v_ffbh_u32_e32 v14, v22
	v_min_u32_e32 v25, 32, v14
	v_subrev_u32_e32 v14, 28, v25
	v_lshlrev_b64 v[14:15], v14, v[4:5]
	v_lshrrev_b32_e32 v23, 3, v9
	v_sub_u32_e32 v4, 29, v25
	v_and_b32_e32 v14, 7, v14
	v_cmp_gt_u32_e32 vcc, 8, v9
	v_cndmask_b32_e32 v4, v23, v4, vcc
	v_cndmask_b32_e32 v9, v22, v14, vcc
	v_lshlrev_b32_e32 v2, 16, v2
	v_lshlrev_b32_e32 v9, 20, v9
	v_and_b32_e32 v2, 0x80000000, v2
	v_lshl_add_u32 v4, v4, 23, v55
	v_or3_b32 v4, v2, v4, v9
.LBB4_3643:                             ;   in Loop: Header=BB4_2791 Depth=2
	s_or_b64 exec, exec, s[54:55]
.LBB4_3644:                             ;   in Loop: Header=BB4_2791 Depth=2
	s_or_b64 exec, exec, s[52:53]
.LBB4_3645:                             ;   in Loop: Header=BB4_2791 Depth=2
	s_or_b64 exec, exec, s[18:19]
	v_cmp_lt_u32_e32 vcc, s43, v16
	s_and_saveexec_b64 s[18:19], vcc
	s_cbranch_execz .LBB4_3651
; %bb.3646:                             ;   in Loop: Header=BB4_2791 Depth=2
	v_lshrrev_b32_e32 v2, 24, v16
	v_cmp_ne_u32_e32 vcc, s71, v2
	v_bfrev_b32_e32 v3, 1
	s_and_saveexec_b64 s[52:53], vcc
	s_cbranch_execz .LBB4_3650
; %bb.3647:                             ;   in Loop: Header=BB4_2791 Depth=2
	v_bfe_u32 v9, v16, 24, 7
	v_cmp_ne_u32_e32 vcc, s69, v9
	v_mov_b32_e32 v3, 0x7f800001
	s_and_saveexec_b64 s[54:55], vcc
	s_cbranch_execz .LBB4_3649
; %bb.3648:                             ;   in Loop: Header=BB4_2791 Depth=2
	v_and_b32_e32 v3, 7, v2
	v_ffbh_u32_e32 v14, v3
	v_min_u32_e32 v23, 32, v14
	v_subrev_u32_e32 v14, 28, v23
	v_lshlrev_b64 v[14:15], v14, v[2:3]
	v_lshrrev_b32_e32 v22, 3, v9
	v_sub_u32_e32 v15, 29, v23
	v_and_b32_e32 v14, 7, v14
	v_cmp_gt_u32_e32 vcc, 8, v9
	v_cndmask_b32_e32 v9, v22, v15, vcc
	v_cndmask_b32_e32 v3, v3, v14, vcc
	v_lshlrev_b32_e32 v2, 24, v2
	v_lshlrev_b32_e32 v3, 20, v3
	v_and_b32_e32 v2, 0x80000000, v2
	v_lshl_add_u32 v9, v9, 23, v55
	v_or3_b32 v3, v2, v9, v3
.LBB4_3649:                             ;   in Loop: Header=BB4_2791 Depth=2
	s_or_b64 exec, exec, s[54:55]
.LBB4_3650:                             ;   in Loop: Header=BB4_2791 Depth=2
	s_or_b64 exec, exec, s[52:53]
.LBB4_3651:                             ;   in Loop: Header=BB4_2791 Depth=2
	s_or_b64 exec, exec, s[18:19]
	v_add_f32_e32 v2, v4, v3
	v_and_b32_sdwa v9, v2, s71 dst_sel:DWORD dst_unused:UNUSED_PAD src0_sel:BYTE_3 src1_sel:DWORD
	v_and_b32_e32 v14, 0x7f800000, v2
	v_mov_b32_e32 v15, v37
	v_and_b32_e32 v36, 0x7fffff, v2
	v_or_b32_e32 v4, 0x7e, v9
	v_cmp_ne_u64_e32 vcc, s[38:39], v[14:15]
	s_and_saveexec_b64 s[18:19], vcc
	s_xor_b64 s[52:53], exec, s[18:19]
	s_cbranch_execz .LBB4_3661
; %bb.3652:                             ;   in Loop: Header=BB4_2791 Depth=2
	v_and_b32_e32 v14, 0x7fffffff, v2
	v_mov_b32_e32 v15, v37
	v_cmp_gt_u64_e32 vcc, s[40:41], v[14:15]
	s_and_saveexec_b64 s[54:55], vcc
	s_cbranch_execz .LBB4_3660
; %bb.3653:                             ;   in Loop: Header=BB4_2791 Depth=2
	v_cmp_ne_u32_e32 vcc, 0, v2
	v_mov_b32_e32 v4, 0
	s_and_saveexec_b64 s[56:57], vcc
	s_cbranch_execz .LBB4_3659
; %bb.3654:                             ;   in Loop: Header=BB4_2791 Depth=2
	v_bfe_u32 v2, v2, 23, 8
	v_sub_u32_e32 v4, 0x79, v2
	v_cmp_gt_u32_e32 vcc, s72, v2
	v_add_u32_e32 v3, 0xffffff81, v2
	v_cndmask_b32_e32 v4, 0, v4, vcc
	v_cmp_eq_u32_e32 vcc, 0, v2
	v_mov_b32_e32 v2, 0xffffff82
	v_cndmask_b32_e32 v15, v3, v2, vcc
	v_mov_b32_e32 v2, 0x78
	v_or_b32_e32 v14, 0x800000, v36
	v_cndmask_b32_e32 v4, v4, v2, vcc
	v_cndmask_b32_e32 v36, v14, v36, vcc
	v_add_u32_e32 v2, 20, v4
	v_lshlrev_b64 v[2:3], v2, -1
	v_add_u32_e32 v14, 19, v4
	v_lshrrev_b64 v[50:51], v4, v[36:37]
	v_not_b32_e32 v3, v3
	v_not_b32_e32 v2, v2
	v_lshlrev_b64 v[22:23], v14, 1
	v_lshrrev_b32_e32 v14, 23, v50
	v_and_b32_e32 v3, 0, v3
	v_and_b32_e32 v2, v36, v2
	v_add3_u32 v15, v4, v15, v14
	v_bfe_u32 v4, v50, 20, 1
	v_add_u32_e32 v4, -1, v4
	v_cmp_eq_u64_e32 vcc, v[2:3], v[22:23]
	v_cndmask_b32_e32 v2, 0, v4, vcc
	v_add_u32_e32 v2, v2, v50
	v_and_b32_e32 v2, 0xfffff, v2
	v_add_co_u32_e32 v2, vcc, v2, v50
	v_add_u32_e32 v14, 6, v15
	v_addc_co_u32_e32 v3, vcc, 0, v51, vcc
	v_cmp_ne_u32_e32 vcc, 0, v14
                                        ; implicit-def: $vgpr4
	s_and_saveexec_b64 s[18:19], vcc
	s_xor_b64 s[18:19], exec, s[18:19]
; %bb.3655:                             ;   in Loop: Header=BB4_2791 Depth=2
	v_add_u32_e32 v4, 7, v15
	v_cmp_lt_u64_e32 vcc, s[44:45], v[2:3]
	v_cndmask_b32_e32 v4, v14, v4, vcc
	v_cndmask_b32_e64 v14, 0, 1, vcc
	v_lshrrev_b64 v[2:3], v14, v[2:3]
; %bb.3656:                             ;   in Loop: Header=BB4_2791 Depth=2
	s_andn2_saveexec_b64 s[18:19], s[18:19]
; %bb.3657:                             ;   in Loop: Header=BB4_2791 Depth=2
	v_bfe_u32 v4, v2, 23, 1
; %bb.3658:                             ;   in Loop: Header=BB4_2791 Depth=2
	s_or_b64 exec, exec, s[18:19]
	v_lshrrev_b64 v[2:3], 20, v[2:3]
	v_cmp_gt_i32_e32 vcc, 16, v4
	v_cndmask_b32_e32 v3, 0, v3, vcc
	v_cndmask_b32_e32 v2, 7, v2, vcc
	v_cmp_eq_u64_e64 s[18:19], 0, v[2:3]
	v_min_i32_e32 v3, 15, v4
	v_cmp_eq_u32_e32 vcc, 0, v4
	v_lshlrev_b32_e32 v3, 3, v3
	v_and_or_b32 v2, v2, 7, v3
	s_and_b64 s[18:19], vcc, s[18:19]
	v_cndmask_b32_e64 v2, v2, 0, s[18:19]
	v_or_b32_e32 v4, v2, v9
.LBB4_3659:                             ;   in Loop: Header=BB4_2791 Depth=2
	s_or_b64 exec, exec, s[56:57]
.LBB4_3660:                             ;   in Loop: Header=BB4_2791 Depth=2
	s_or_b64 exec, exec, s[54:55]
                                        ; implicit-def: $vgpr2
.LBB4_3661:                             ;   in Loop: Header=BB4_2791 Depth=2
	s_andn2_saveexec_b64 s[18:19], s[52:53]
; %bb.3662:                             ;   in Loop: Header=BB4_2791 Depth=2
	v_or_b32_sdwa v2, v2, s69 dst_sel:DWORD dst_unused:UNUSED_PAD src0_sel:BYTE_3 src1_sel:DWORD
	v_cmp_eq_u64_e32 vcc, 0, v[36:37]
	v_cndmask_b32_e32 v4, v2, v4, vcc
; %bb.3663:                             ;   in Loop: Header=BB4_2791 Depth=2
	s_or_b64 exec, exec, s[18:19]
	v_lshlrev_b32_e32 v14, 8, v33
	v_lshlrev_b32_e32 v2, 24, v18
	v_perm_b32 v3, v20, v31, s75
	v_or3_b32 v36, v3, v2, v14
	v_cmp_ne_u16_sdwa vcc, v31, v37 src0_sel:BYTE_0 src1_sel:DWORD
	v_mov_b32_e32 v3, 0
	v_mov_b32_e32 v2, 0
	s_and_saveexec_b64 s[18:19], vcc
	s_cbranch_execz .LBB4_3669
; %bb.3664:                             ;   in Loop: Header=BB4_2791 Depth=2
	v_cmp_ne_u16_sdwa vcc, v31, s71 src0_sel:BYTE_0 src1_sel:DWORD
	v_bfrev_b32_e32 v2, 1
	s_and_saveexec_b64 s[52:53], vcc
	s_cbranch_execz .LBB4_3668
; %bb.3665:                             ;   in Loop: Header=BB4_2791 Depth=2
	v_and_b32_e32 v9, 0x7f, v31
	v_cmp_ne_u32_e32 vcc, s69, v9
	v_mov_b32_e32 v2, 0x7f800001
	s_and_saveexec_b64 s[54:55], vcc
	s_cbranch_execz .LBB4_3667
; %bb.3666:                             ;   in Loop: Header=BB4_2791 Depth=2
	v_and_b32_e32 v2, 7, v31
	v_ffbh_u32_e32 v2, v2
	v_min_u32_e32 v2, 32, v2
	v_subrev_u32_e32 v18, 28, v2
	v_cmp_gt_u32_e32 vcc, 8, v9
	v_lshrrev_b32_e32 v15, 3, v9
	v_cndmask_b32_e32 v9, 0, v18, vcc
	v_sub_u32_e32 v2, 29, v2
	v_lshlrev_b64 v[22:23], v9, v[36:37]
	v_cndmask_b32_e32 v2, v15, v2, vcc
	v_lshlrev_b32_e32 v9, 20, v22
	v_lshlrev_b32_e32 v15, 24, v36
	v_and_b32_e32 v9, 0x700000, v9
	v_and_b32_e32 v15, 0x80000000, v15
	v_lshl_add_u32 v2, v2, 23, v55
	v_or3_b32 v2, v15, v2, v9
.LBB4_3667:                             ;   in Loop: Header=BB4_2791 Depth=2
	s_or_b64 exec, exec, s[54:55]
.LBB4_3668:                             ;   in Loop: Header=BB4_2791 Depth=2
	s_or_b64 exec, exec, s[52:53]
.LBB4_3669:                             ;   in Loop: Header=BB4_2791 Depth=2
	s_or_b64 exec, exec, s[18:19]
	v_cmp_ne_u16_sdwa vcc, v17, v37 src0_sel:BYTE_0 src1_sel:DWORD
	s_and_saveexec_b64 s[18:19], vcc
	s_cbranch_execz .LBB4_3675
; %bb.3670:                             ;   in Loop: Header=BB4_2791 Depth=2
	v_cmp_ne_u16_sdwa vcc, v17, s71 src0_sel:BYTE_0 src1_sel:DWORD
	v_bfrev_b32_e32 v3, 1
	s_and_saveexec_b64 s[52:53], vcc
	s_cbranch_execz .LBB4_3674
; %bb.3671:                             ;   in Loop: Header=BB4_2791 Depth=2
	v_and_b32_e32 v9, 0x7f, v17
	v_cmp_ne_u32_e32 vcc, s69, v9
	v_mov_b32_e32 v3, 0x7f800001
	s_and_saveexec_b64 s[54:55], vcc
	s_cbranch_execz .LBB4_3673
; %bb.3672:                             ;   in Loop: Header=BB4_2791 Depth=2
	v_and_b32_e32 v3, 7, v17
	v_ffbh_u32_e32 v3, v3
	v_min_u32_e32 v3, 32, v3
	v_subrev_u32_e32 v18, 28, v3
	v_cmp_gt_u32_e32 vcc, 8, v9
	v_mov_b32_e32 v22, v17
	v_mov_b32_e32 v23, v37
	v_lshrrev_b32_e32 v15, 3, v9
	v_cndmask_b32_e32 v9, 0, v18, vcc
	v_sub_u32_e32 v3, 29, v3
	v_lshlrev_b64 v[50:51], v9, v[22:23]
	v_cndmask_b32_e32 v3, v15, v3, vcc
	v_lshlrev_b32_e32 v9, 20, v50
	v_lshlrev_b32_e32 v15, 24, v22
	v_and_b32_e32 v9, 0x700000, v9
	v_and_b32_e32 v15, 0x80000000, v15
	v_lshl_add_u32 v3, v3, 23, v55
	v_or3_b32 v3, v15, v3, v9
.LBB4_3673:                             ;   in Loop: Header=BB4_2791 Depth=2
	s_or_b64 exec, exec, s[54:55]
.LBB4_3674:                             ;   in Loop: Header=BB4_2791 Depth=2
	s_or_b64 exec, exec, s[52:53]
.LBB4_3675:                             ;   in Loop: Header=BB4_2791 Depth=2
	s_or_b64 exec, exec, s[18:19]
	v_add_f32_e32 v18, v2, v3
	v_and_b32_sdwa v15, v18, s71 dst_sel:DWORD dst_unused:UNUSED_PAD src0_sel:BYTE_3 src1_sel:DWORD
	v_and_b32_e32 v22, 0x7f800000, v18
	v_mov_b32_e32 v23, v37
	v_and_b32_e32 v2, 0x7fffff, v18
	v_mov_b32_e32 v3, v37
	v_or_b32_e32 v9, 0x7e, v15
	v_cmp_ne_u64_e32 vcc, s[38:39], v[22:23]
	s_and_saveexec_b64 s[18:19], vcc
	s_xor_b64 s[52:53], exec, s[18:19]
	s_cbranch_execz .LBB4_3685
; %bb.3676:                             ;   in Loop: Header=BB4_2791 Depth=2
	v_and_b32_e32 v22, 0x7fffffff, v18
	v_mov_b32_e32 v23, v37
	v_cmp_gt_u64_e32 vcc, s[40:41], v[22:23]
	s_and_saveexec_b64 s[54:55], vcc
	s_cbranch_execz .LBB4_3684
; %bb.3677:                             ;   in Loop: Header=BB4_2791 Depth=2
	v_cmp_ne_u32_e32 vcc, 0, v18
	v_mov_b32_e32 v9, 0
	s_and_saveexec_b64 s[56:57], vcc
	s_cbranch_execz .LBB4_3683
; %bb.3678:                             ;   in Loop: Header=BB4_2791 Depth=2
	v_bfe_u32 v9, v18, 23, 8
	v_sub_u32_e32 v20, 0x79, v9
	v_cmp_gt_u32_e32 vcc, s72, v9
	v_add_u32_e32 v18, 0xffffff81, v9
	v_cndmask_b32_e32 v20, 0, v20, vcc
	v_cmp_eq_u32_e32 vcc, 0, v9
	v_mov_b32_e32 v9, 0xffffff82
	v_cndmask_b32_e32 v9, v18, v9, vcc
	v_mov_b32_e32 v18, 0x78
	v_cndmask_b32_e32 v18, v20, v18, vcc
	v_or_b32_e32 v22, 0x800000, v2
	v_add_u32_e32 v20, 20, v18
	v_cndmask_b32_e32 v2, v22, v2, vcc
	v_lshlrev_b64 v[22:23], v20, -1
	v_not_b32_e32 v20, v23
	v_not_b32_e32 v22, v22
	v_and_b32_e32 v23, 0, v20
	v_and_b32_e32 v22, v2, v22
	v_add_u32_e32 v20, 19, v18
	v_lshrrev_b64 v[2:3], v18, v[2:3]
	v_lshlrev_b64 v[50:51], v20, 1
	v_lshrrev_b32_e32 v20, 23, v2
	v_add3_u32 v20, v18, v9, v20
	v_bfe_u32 v9, v2, 20, 1
	v_add_u32_e32 v9, -1, v9
	v_cmp_eq_u64_e32 vcc, v[22:23], v[50:51]
	v_cndmask_b32_e32 v9, 0, v9, vcc
	v_add_u32_e32 v9, v9, v2
	v_and_b32_e32 v9, 0xfffff, v9
	v_add_co_u32_e32 v2, vcc, v9, v2
	v_add_u32_e32 v18, 6, v20
	v_addc_co_u32_e32 v3, vcc, 0, v3, vcc
	v_cmp_ne_u32_e32 vcc, 0, v18
                                        ; implicit-def: $vgpr9
	s_and_saveexec_b64 s[18:19], vcc
	s_xor_b64 s[18:19], exec, s[18:19]
; %bb.3679:                             ;   in Loop: Header=BB4_2791 Depth=2
	v_add_u32_e32 v9, 7, v20
	v_cmp_lt_u64_e32 vcc, s[44:45], v[2:3]
	v_cndmask_b32_e32 v9, v18, v9, vcc
	v_cndmask_b32_e64 v18, 0, 1, vcc
	v_lshrrev_b64 v[2:3], v18, v[2:3]
; %bb.3680:                             ;   in Loop: Header=BB4_2791 Depth=2
	s_andn2_saveexec_b64 s[18:19], s[18:19]
; %bb.3681:                             ;   in Loop: Header=BB4_2791 Depth=2
	v_bfe_u32 v9, v2, 23, 1
; %bb.3682:                             ;   in Loop: Header=BB4_2791 Depth=2
	s_or_b64 exec, exec, s[18:19]
	v_lshrrev_b64 v[2:3], 20, v[2:3]
	v_cmp_gt_i32_e32 vcc, 16, v9
	v_cndmask_b32_e32 v3, 0, v3, vcc
	v_cndmask_b32_e32 v2, 7, v2, vcc
	v_cmp_eq_u64_e64 s[18:19], 0, v[2:3]
	v_min_i32_e32 v3, 15, v9
	v_cmp_eq_u32_e32 vcc, 0, v9
	v_lshlrev_b32_e32 v3, 3, v3
	v_and_or_b32 v2, v2, 7, v3
	s_and_b64 s[18:19], vcc, s[18:19]
	v_cndmask_b32_e64 v2, v2, 0, s[18:19]
	v_or_b32_e32 v9, v2, v15
.LBB4_3683:                             ;   in Loop: Header=BB4_2791 Depth=2
	s_or_b64 exec, exec, s[56:57]
.LBB4_3684:                             ;   in Loop: Header=BB4_2791 Depth=2
	s_or_b64 exec, exec, s[54:55]
                                        ; implicit-def: $vgpr18
                                        ; implicit-def: $vgpr2_vgpr3
.LBB4_3685:                             ;   in Loop: Header=BB4_2791 Depth=2
	s_andn2_saveexec_b64 s[18:19], s[52:53]
; %bb.3686:                             ;   in Loop: Header=BB4_2791 Depth=2
	v_or_b32_sdwa v15, v18, s69 dst_sel:DWORD dst_unused:UNUSED_PAD src0_sel:BYTE_3 src1_sel:DWORD
	v_cmp_eq_u64_e32 vcc, 0, v[2:3]
	v_cndmask_b32_e32 v9, v15, v9, vcc
; %bb.3687:                             ;   in Loop: Header=BB4_2791 Depth=2
	s_or_b64 exec, exec, s[18:19]
	v_lshrrev_b16_e32 v2, 8, v14
	v_cmp_ne_u16_e32 vcc, 0, v2
	v_mov_b32_e32 v3, 0
	v_mov_b32_e32 v15, 0
	s_and_saveexec_b64 s[18:19], vcc
	s_cbranch_execz .LBB4_3693
; %bb.3688:                             ;   in Loop: Header=BB4_2791 Depth=2
	v_cmp_ne_u16_e32 vcc, s71, v2
	v_bfrev_b32_e32 v15, 1
	s_and_saveexec_b64 s[52:53], vcc
	s_cbranch_execz .LBB4_3692
; %bb.3689:                             ;   in Loop: Header=BB4_2791 Depth=2
	v_and_b32_e32 v18, 0x7f, v2
	v_cmp_ne_u32_e32 vcc, s69, v18
	v_mov_b32_e32 v15, 0x7f800001
	s_and_saveexec_b64 s[54:55], vcc
	s_cbranch_execz .LBB4_3691
; %bb.3690:                             ;   in Loop: Header=BB4_2791 Depth=2
	v_and_b32_e32 v15, 7, v2
	v_ffbh_u32_e32 v22, v15
	v_min_u32_e32 v25, 32, v22
	v_subrev_u32_e32 v22, 28, v25
	v_lshlrev_b64 v[22:23], v22, v[2:3]
	v_lshrrev_b32_e32 v20, 3, v18
	v_sub_u32_e32 v2, 29, v25
	v_and_b32_e32 v22, 7, v22
	v_cmp_gt_u32_e32 vcc, 8, v18
	v_cndmask_b32_e32 v2, v20, v2, vcc
	v_cndmask_b32_e32 v15, v15, v22, vcc
	v_lshlrev_b32_e32 v14, 16, v14
	v_lshlrev_b32_e32 v15, 20, v15
	v_and_b32_e32 v14, 0x80000000, v14
	v_lshl_add_u32 v2, v2, 23, v55
	v_or3_b32 v15, v14, v2, v15
.LBB4_3691:                             ;   in Loop: Header=BB4_2791 Depth=2
	s_or_b64 exec, exec, s[54:55]
.LBB4_3692:                             ;   in Loop: Header=BB4_2791 Depth=2
	s_or_b64 exec, exec, s[52:53]
.LBB4_3693:                             ;   in Loop: Header=BB4_2791 Depth=2
	s_or_b64 exec, exec, s[18:19]
	v_mov_b32_e32 v2, v17
	v_lshrrev_b16_e32 v14, 8, v2
	v_cmp_ne_u16_e32 vcc, 0, v14
	s_and_saveexec_b64 s[18:19], vcc
	s_cbranch_execz .LBB4_3699
; %bb.3694:                             ;   in Loop: Header=BB4_2791 Depth=2
	v_cmp_ne_u16_e32 vcc, s71, v14
	v_bfrev_b32_e32 v3, 1
	s_and_saveexec_b64 s[52:53], vcc
	s_cbranch_execz .LBB4_3698
; %bb.3695:                             ;   in Loop: Header=BB4_2791 Depth=2
	v_and_b32_e32 v18, 0x7f, v14
	v_cmp_ne_u32_e32 vcc, s69, v18
	v_mov_b32_e32 v3, 0x7f800001
	s_and_saveexec_b64 s[54:55], vcc
	s_cbranch_execz .LBB4_3697
; %bb.3696:                             ;   in Loop: Header=BB4_2791 Depth=2
	v_and_b32_e32 v3, 7, v14
	v_ffbh_u32_e32 v22, v3
	v_min_u32_e32 v25, 32, v22
	v_subrev_u32_e32 v22, 28, v25
	v_lshlrev_b64 v[22:23], v22, v[14:15]
	v_lshrrev_b32_e32 v20, 3, v18
	v_sub_u32_e32 v14, 29, v25
	v_and_b32_e32 v22, 7, v22
	v_cmp_gt_u32_e32 vcc, 8, v18
	v_cndmask_b32_e32 v14, v20, v14, vcc
	v_cndmask_b32_e32 v3, v3, v22, vcc
	v_lshlrev_b32_e32 v2, 16, v2
	v_lshlrev_b32_e32 v3, 20, v3
	v_and_b32_e32 v2, 0x80000000, v2
	v_lshl_add_u32 v14, v14, 23, v55
	v_or3_b32 v3, v2, v14, v3
.LBB4_3697:                             ;   in Loop: Header=BB4_2791 Depth=2
	s_or_b64 exec, exec, s[54:55]
.LBB4_3698:                             ;   in Loop: Header=BB4_2791 Depth=2
	s_or_b64 exec, exec, s[52:53]
.LBB4_3699:                             ;   in Loop: Header=BB4_2791 Depth=2
	s_or_b64 exec, exec, s[18:19]
	v_add_f32_e32 v18, v15, v3
	v_and_b32_sdwa v14, v18, s71 dst_sel:DWORD dst_unused:UNUSED_PAD src0_sel:BYTE_3 src1_sel:DWORD
	v_and_b32_e32 v22, 0x7f800000, v18
	v_mov_b32_e32 v23, v37
	v_and_b32_e32 v2, 0x7fffff, v18
	v_mov_b32_e32 v3, v37
	v_or_b32_e32 v15, 0x7e, v14
	v_cmp_ne_u64_e32 vcc, s[38:39], v[22:23]
	s_and_saveexec_b64 s[18:19], vcc
	s_xor_b64 s[52:53], exec, s[18:19]
	s_cbranch_execz .LBB4_3709
; %bb.3700:                             ;   in Loop: Header=BB4_2791 Depth=2
	v_and_b32_e32 v22, 0x7fffffff, v18
	v_mov_b32_e32 v23, v37
	v_cmp_gt_u64_e32 vcc, s[40:41], v[22:23]
	s_and_saveexec_b64 s[54:55], vcc
	s_cbranch_execz .LBB4_3708
; %bb.3701:                             ;   in Loop: Header=BB4_2791 Depth=2
	v_cmp_ne_u32_e32 vcc, 0, v18
	v_mov_b32_e32 v15, 0
	s_and_saveexec_b64 s[56:57], vcc
	s_cbranch_execz .LBB4_3707
; %bb.3702:                             ;   in Loop: Header=BB4_2791 Depth=2
	v_bfe_u32 v15, v18, 23, 8
	v_sub_u32_e32 v20, 0x79, v15
	v_cmp_gt_u32_e32 vcc, s72, v15
	v_add_u32_e32 v18, 0xffffff81, v15
	v_cndmask_b32_e32 v20, 0, v20, vcc
	v_cmp_eq_u32_e32 vcc, 0, v15
	v_mov_b32_e32 v15, 0xffffff82
	v_cndmask_b32_e32 v15, v18, v15, vcc
	v_mov_b32_e32 v18, 0x78
	v_cndmask_b32_e32 v18, v20, v18, vcc
	v_or_b32_e32 v22, 0x800000, v2
	v_add_u32_e32 v20, 20, v18
	v_cndmask_b32_e32 v2, v22, v2, vcc
	v_lshlrev_b64 v[22:23], v20, -1
	v_not_b32_e32 v20, v23
	v_not_b32_e32 v22, v22
	v_and_b32_e32 v23, 0, v20
	v_and_b32_e32 v22, v2, v22
	v_add_u32_e32 v20, 19, v18
	v_lshrrev_b64 v[2:3], v18, v[2:3]
	v_lshlrev_b64 v[50:51], v20, 1
	v_lshrrev_b32_e32 v20, 23, v2
	v_add3_u32 v20, v18, v15, v20
	v_bfe_u32 v15, v2, 20, 1
	v_add_u32_e32 v15, -1, v15
	v_cmp_eq_u64_e32 vcc, v[22:23], v[50:51]
	v_cndmask_b32_e32 v15, 0, v15, vcc
	v_add_u32_e32 v15, v15, v2
	v_and_b32_e32 v15, 0xfffff, v15
	v_add_co_u32_e32 v2, vcc, v15, v2
	v_add_u32_e32 v18, 6, v20
	v_addc_co_u32_e32 v3, vcc, 0, v3, vcc
	v_cmp_ne_u32_e32 vcc, 0, v18
                                        ; implicit-def: $vgpr15
	s_and_saveexec_b64 s[18:19], vcc
	s_xor_b64 s[18:19], exec, s[18:19]
; %bb.3703:                             ;   in Loop: Header=BB4_2791 Depth=2
	v_add_u32_e32 v15, 7, v20
	v_cmp_lt_u64_e32 vcc, s[44:45], v[2:3]
	v_cndmask_b32_e32 v15, v18, v15, vcc
	v_cndmask_b32_e64 v18, 0, 1, vcc
	v_lshrrev_b64 v[2:3], v18, v[2:3]
; %bb.3704:                             ;   in Loop: Header=BB4_2791 Depth=2
	s_andn2_saveexec_b64 s[18:19], s[18:19]
; %bb.3705:                             ;   in Loop: Header=BB4_2791 Depth=2
	v_bfe_u32 v15, v2, 23, 1
; %bb.3706:                             ;   in Loop: Header=BB4_2791 Depth=2
	s_or_b64 exec, exec, s[18:19]
	v_lshrrev_b64 v[2:3], 20, v[2:3]
	v_cmp_gt_i32_e32 vcc, 16, v15
	v_cndmask_b32_e32 v3, 0, v3, vcc
	v_cndmask_b32_e32 v2, 7, v2, vcc
	v_cmp_eq_u64_e64 s[18:19], 0, v[2:3]
	v_min_i32_e32 v3, 15, v15
	v_cmp_eq_u32_e32 vcc, 0, v15
	v_lshlrev_b32_e32 v3, 3, v3
	v_and_or_b32 v2, v2, 7, v3
	s_and_b64 s[18:19], vcc, s[18:19]
	v_cndmask_b32_e64 v2, v2, 0, s[18:19]
	v_or_b32_e32 v15, v2, v14
.LBB4_3707:                             ;   in Loop: Header=BB4_2791 Depth=2
	s_or_b64 exec, exec, s[56:57]
.LBB4_3708:                             ;   in Loop: Header=BB4_2791 Depth=2
	s_or_b64 exec, exec, s[54:55]
                                        ; implicit-def: $vgpr18
                                        ; implicit-def: $vgpr2_vgpr3
.LBB4_3709:                             ;   in Loop: Header=BB4_2791 Depth=2
	s_andn2_saveexec_b64 s[18:19], s[52:53]
; %bb.3710:                             ;   in Loop: Header=BB4_2791 Depth=2
	v_or_b32_sdwa v14, v18, s69 dst_sel:DWORD dst_unused:UNUSED_PAD src0_sel:BYTE_3 src1_sel:DWORD
	v_cmp_eq_u64_e32 vcc, 0, v[2:3]
	v_cndmask_b32_e32 v15, v14, v15, vcc
; %bb.3711:                             ;   in Loop: Header=BB4_2791 Depth=2
	s_or_b64 exec, exec, s[18:19]
	v_lshrrev_b32_e32 v2, 16, v36
	v_cmp_ne_u16_sdwa vcc, v2, v37 src0_sel:BYTE_0 src1_sel:DWORD
	v_mov_b32_e32 v3, 0
	v_mov_b32_e32 v14, 0
	s_and_saveexec_b64 s[18:19], vcc
	s_cbranch_execz .LBB4_3717
; %bb.3712:                             ;   in Loop: Header=BB4_2791 Depth=2
	v_cmp_ne_u16_sdwa vcc, v2, s71 src0_sel:BYTE_0 src1_sel:DWORD
	v_bfrev_b32_e32 v14, 1
	s_and_saveexec_b64 s[52:53], vcc
	s_cbranch_execz .LBB4_3716
; %bb.3713:                             ;   in Loop: Header=BB4_2791 Depth=2
	v_bfe_u32 v18, v36, 16, 7
	v_cmp_ne_u32_e32 vcc, s69, v18
	v_mov_b32_e32 v14, 0x7f800001
	s_and_saveexec_b64 s[54:55], vcc
	s_cbranch_execz .LBB4_3715
; %bb.3714:                             ;   in Loop: Header=BB4_2791 Depth=2
	v_and_b32_e32 v14, 7, v2
	v_ffbh_u32_e32 v22, v14
	v_min_u32_e32 v25, 32, v22
	v_subrev_u32_e32 v22, 28, v25
	v_lshlrev_b64 v[22:23], v22, v[2:3]
	v_lshrrev_b32_e32 v20, 3, v18
	v_sub_u32_e32 v23, 29, v25
	v_and_b32_e32 v22, 7, v22
	v_cmp_gt_u32_e32 vcc, 8, v18
	v_cndmask_b32_e32 v18, v20, v23, vcc
	v_cndmask_b32_e32 v14, v14, v22, vcc
	v_lshlrev_b32_e32 v2, 24, v2
	v_lshlrev_b32_e32 v14, 20, v14
	v_and_b32_e32 v2, 0x80000000, v2
	v_lshl_add_u32 v18, v18, 23, v55
	v_or3_b32 v14, v2, v18, v14
.LBB4_3715:                             ;   in Loop: Header=BB4_2791 Depth=2
	s_or_b64 exec, exec, s[54:55]
.LBB4_3716:                             ;   in Loop: Header=BB4_2791 Depth=2
	s_or_b64 exec, exec, s[52:53]
.LBB4_3717:                             ;   in Loop: Header=BB4_2791 Depth=2
	s_or_b64 exec, exec, s[18:19]
	v_lshrrev_b32_e32 v2, 16, v17
	v_cmp_ne_u16_sdwa vcc, v2, v37 src0_sel:BYTE_0 src1_sel:DWORD
	s_and_saveexec_b64 s[18:19], vcc
	s_cbranch_execz .LBB4_3723
; %bb.3718:                             ;   in Loop: Header=BB4_2791 Depth=2
	v_cmp_ne_u16_sdwa vcc, v2, s71 src0_sel:BYTE_0 src1_sel:DWORD
	v_bfrev_b32_e32 v3, 1
	s_and_saveexec_b64 s[52:53], vcc
	s_cbranch_execz .LBB4_3722
; %bb.3719:                             ;   in Loop: Header=BB4_2791 Depth=2
	v_bfe_u32 v18, v17, 16, 7
	v_cmp_ne_u32_e32 vcc, s69, v18
	v_mov_b32_e32 v3, 0x7f800001
	s_and_saveexec_b64 s[54:55], vcc
	s_cbranch_execz .LBB4_3721
; %bb.3720:                             ;   in Loop: Header=BB4_2791 Depth=2
	v_and_b32_e32 v20, 7, v2
	v_ffbh_u32_e32 v3, v20
	v_min_u32_e32 v23, 32, v3
	v_subrev_u32_e32 v3, 28, v23
	v_lshlrev_b64 v[2:3], v3, v[2:3]
	v_lshrrev_b32_e32 v22, 3, v18
	v_sub_u32_e32 v3, 29, v23
	v_and_b32_e32 v2, 7, v2
	v_cmp_gt_u32_e32 vcc, 8, v18
	v_cndmask_b32_e32 v3, v22, v3, vcc
	v_cndmask_b32_e32 v2, v20, v2, vcc
	v_lshlrev_b32_e32 v18, 8, v17
	v_lshlrev_b32_e32 v2, 20, v2
	v_and_b32_e32 v18, 0x80000000, v18
	v_lshl_add_u32 v3, v3, 23, v55
	v_or3_b32 v3, v18, v3, v2
.LBB4_3721:                             ;   in Loop: Header=BB4_2791 Depth=2
	s_or_b64 exec, exec, s[54:55]
.LBB4_3722:                             ;   in Loop: Header=BB4_2791 Depth=2
	s_or_b64 exec, exec, s[52:53]
.LBB4_3723:                             ;   in Loop: Header=BB4_2791 Depth=2
	s_or_b64 exec, exec, s[18:19]
	v_add_f32_e32 v20, v14, v3
	v_and_b32_sdwa v14, v20, s71 dst_sel:DWORD dst_unused:UNUSED_PAD src0_sel:BYTE_3 src1_sel:DWORD
	v_and_b32_e32 v22, 0x7f800000, v20
	v_mov_b32_e32 v23, v37
	v_and_b32_e32 v2, 0x7fffff, v20
	v_mov_b32_e32 v3, v37
	v_or_b32_e32 v18, 0x7e, v14
	v_cmp_ne_u64_e32 vcc, s[38:39], v[22:23]
	s_and_saveexec_b64 s[18:19], vcc
	s_xor_b64 s[52:53], exec, s[18:19]
	s_cbranch_execz .LBB4_3733
; %bb.3724:                             ;   in Loop: Header=BB4_2791 Depth=2
	v_and_b32_e32 v22, 0x7fffffff, v20
	v_mov_b32_e32 v23, v37
	v_cmp_gt_u64_e32 vcc, s[40:41], v[22:23]
	s_and_saveexec_b64 s[54:55], vcc
	s_cbranch_execz .LBB4_3732
; %bb.3725:                             ;   in Loop: Header=BB4_2791 Depth=2
	v_cmp_ne_u32_e32 vcc, 0, v20
	v_mov_b32_e32 v18, 0
	s_and_saveexec_b64 s[56:57], vcc
	s_cbranch_execz .LBB4_3731
; %bb.3726:                             ;   in Loop: Header=BB4_2791 Depth=2
	v_bfe_u32 v18, v20, 23, 8
	v_sub_u32_e32 v22, 0x79, v18
	v_cmp_gt_u32_e32 vcc, s72, v18
	v_add_u32_e32 v20, 0xffffff81, v18
	v_cndmask_b32_e32 v22, 0, v22, vcc
	v_cmp_eq_u32_e32 vcc, 0, v18
	v_mov_b32_e32 v18, 0xffffff82
	v_cndmask_b32_e32 v18, v20, v18, vcc
	v_mov_b32_e32 v20, 0x78
	v_cndmask_b32_e32 v20, v22, v20, vcc
	v_or_b32_e32 v23, 0x800000, v2
	v_add_u32_e32 v22, 20, v20
	v_cndmask_b32_e32 v2, v23, v2, vcc
	v_lshlrev_b64 v[22:23], v22, -1
	v_not_b32_e32 v22, v22
	v_and_b32_e32 v50, v2, v22
	v_add_u32_e32 v22, 19, v20
	v_lshrrev_b64 v[2:3], v20, v[2:3]
	v_not_b32_e32 v23, v23
	v_lshlrev_b64 v[54:55], v22, 1
	v_lshrrev_b32_e32 v22, 23, v2
	v_and_b32_e32 v51, 0, v23
	v_add3_u32 v22, v20, v18, v22
	v_bfe_u32 v18, v2, 20, 1
	v_add_u32_e32 v18, -1, v18
	v_cmp_eq_u64_e32 vcc, v[50:51], v[54:55]
	v_cndmask_b32_e32 v18, 0, v18, vcc
	v_add_u32_e32 v18, v18, v2
	v_and_b32_e32 v18, 0xfffff, v18
	v_add_co_u32_e32 v2, vcc, v18, v2
	v_add_u32_e32 v20, 6, v22
	v_addc_co_u32_e32 v3, vcc, 0, v3, vcc
	v_cmp_ne_u32_e32 vcc, 0, v20
                                        ; implicit-def: $vgpr18
	s_and_saveexec_b64 s[18:19], vcc
	s_xor_b64 s[18:19], exec, s[18:19]
; %bb.3727:                             ;   in Loop: Header=BB4_2791 Depth=2
	v_add_u32_e32 v18, 7, v22
	v_cmp_lt_u64_e32 vcc, s[44:45], v[2:3]
	v_cndmask_b32_e32 v18, v20, v18, vcc
	v_cndmask_b32_e64 v20, 0, 1, vcc
	v_lshrrev_b64 v[2:3], v20, v[2:3]
; %bb.3728:                             ;   in Loop: Header=BB4_2791 Depth=2
	s_andn2_saveexec_b64 s[18:19], s[18:19]
; %bb.3729:                             ;   in Loop: Header=BB4_2791 Depth=2
	v_bfe_u32 v18, v2, 23, 1
; %bb.3730:                             ;   in Loop: Header=BB4_2791 Depth=2
	s_or_b64 exec, exec, s[18:19]
	v_lshrrev_b64 v[2:3], 20, v[2:3]
	v_cmp_gt_i32_e32 vcc, 16, v18
	v_cndmask_b32_e32 v3, 0, v3, vcc
	v_cndmask_b32_e32 v2, 7, v2, vcc
	v_cmp_eq_u64_e64 s[18:19], 0, v[2:3]
	v_min_i32_e32 v3, 15, v18
	v_lshlrev_b32_e32 v3, 3, v3
	v_cmp_eq_u32_e32 vcc, 0, v18
	v_and_b32_e32 v3, 0xf8, v3
	v_and_or_b32 v2, v2, 7, v3
	s_and_b64 s[18:19], vcc, s[18:19]
	v_cndmask_b32_e64 v2, v2, 0, s[18:19]
	v_or_b32_e32 v18, v2, v14
	v_bfrev_b32_e32 v55, 60
.LBB4_3731:                             ;   in Loop: Header=BB4_2791 Depth=2
	s_or_b64 exec, exec, s[56:57]
.LBB4_3732:                             ;   in Loop: Header=BB4_2791 Depth=2
	s_or_b64 exec, exec, s[54:55]
                                        ; implicit-def: $vgpr20
                                        ; implicit-def: $vgpr2_vgpr3
.LBB4_3733:                             ;   in Loop: Header=BB4_2791 Depth=2
	s_andn2_saveexec_b64 s[18:19], s[52:53]
; %bb.3734:                             ;   in Loop: Header=BB4_2791 Depth=2
	v_or_b32_sdwa v14, v20, s69 dst_sel:DWORD dst_unused:UNUSED_PAD src0_sel:BYTE_3 src1_sel:DWORD
	v_cmp_eq_u64_e32 vcc, 0, v[2:3]
	v_cndmask_b32_e32 v18, v14, v18, vcc
; %bb.3735:                             ;   in Loop: Header=BB4_2791 Depth=2
	s_or_b64 exec, exec, s[18:19]
	v_cmp_lt_u32_e32 vcc, s43, v36
	v_mov_b32_e32 v3, 0
	v_mov_b32_e32 v14, 0
	s_and_saveexec_b64 s[18:19], vcc
	s_cbranch_execz .LBB4_3741
; %bb.3736:                             ;   in Loop: Header=BB4_2791 Depth=2
	v_lshrrev_b32_e32 v2, 24, v36
	v_cmp_ne_u32_sdwa vcc, v36, s71 src0_sel:BYTE_3 src1_sel:DWORD
	v_bfrev_b32_e32 v14, 1
	s_and_saveexec_b64 s[52:53], vcc
	s_cbranch_execz .LBB4_3740
; %bb.3737:                             ;   in Loop: Header=BB4_2791 Depth=2
	v_bfe_u32 v20, v36, 24, 7
	v_cmp_ne_u32_e32 vcc, s69, v20
	v_mov_b32_e32 v14, 0x7f800001
	s_and_saveexec_b64 s[54:55], vcc
	s_cbranch_execz .LBB4_3739
; %bb.3738:                             ;   in Loop: Header=BB4_2791 Depth=2
	v_and_b32_e32 v14, 7, v2
	v_ffbh_u32_e32 v22, v14
	v_min_u32_e32 v31, 32, v22
	v_subrev_u32_e32 v22, 28, v31
	v_lshlrev_b64 v[22:23], v22, v[2:3]
	v_lshrrev_b32_e32 v25, 3, v20
	v_sub_u32_e32 v2, 29, v31
	v_and_b32_e32 v22, 7, v22
	v_cmp_gt_u32_e32 vcc, 8, v20
	v_mov_b32_e32 v20, 24
	v_cndmask_b32_e32 v2, v25, v2, vcc
	v_cndmask_b32_e32 v14, v14, v22, vcc
	v_lshlrev_b32_sdwa v20, v20, v36 dst_sel:DWORD dst_unused:UNUSED_PAD src0_sel:DWORD src1_sel:BYTE_3
	v_lshlrev_b32_e32 v14, 20, v14
	v_and_b32_e32 v20, 0x80000000, v20
	v_lshl_add_u32 v2, v2, 23, v55
	v_or3_b32 v14, v20, v2, v14
.LBB4_3739:                             ;   in Loop: Header=BB4_2791 Depth=2
	s_or_b64 exec, exec, s[54:55]
.LBB4_3740:                             ;   in Loop: Header=BB4_2791 Depth=2
	s_or_b64 exec, exec, s[52:53]
.LBB4_3741:                             ;   in Loop: Header=BB4_2791 Depth=2
	s_or_b64 exec, exec, s[18:19]
	v_cmp_lt_u64_e32 vcc, s[42:43], v[16:17]
	s_and_saveexec_b64 s[18:19], vcc
	s_cbranch_execz .LBB4_3747
; %bb.3742:                             ;   in Loop: Header=BB4_2791 Depth=2
	v_lshrrev_b32_e32 v2, 24, v17
	v_cmp_ne_u32_e32 vcc, s71, v2
	v_bfrev_b32_e32 v3, 1
	s_and_saveexec_b64 s[52:53], vcc
	s_cbranch_execz .LBB4_3746
; %bb.3743:                             ;   in Loop: Header=BB4_2791 Depth=2
	v_bfe_u32 v16, v17, 24, 7
	v_cmp_ne_u32_e32 vcc, s69, v16
	v_mov_b32_e32 v3, 0x7f800001
	s_and_saveexec_b64 s[54:55], vcc
	s_cbranch_execz .LBB4_3745
; %bb.3744:                             ;   in Loop: Header=BB4_2791 Depth=2
	v_and_b32_e32 v3, 7, v2
	v_ffbh_u32_e32 v20, v3
	v_min_u32_e32 v20, 32, v20
	v_subrev_u32_e32 v22, 28, v20
	v_lshlrev_b64 v[22:23], v22, v[2:3]
	v_lshrrev_b32_e32 v17, 3, v16
	v_sub_u32_e32 v20, 29, v20
	v_and_b32_e32 v22, 7, v22
	v_cmp_gt_u32_e32 vcc, 8, v16
	v_cndmask_b32_e32 v16, v17, v20, vcc
	v_cndmask_b32_e32 v3, v3, v22, vcc
	v_lshlrev_b32_e32 v2, 24, v2
	v_lshlrev_b32_e32 v3, 20, v3
	v_and_b32_e32 v2, 0x80000000, v2
	v_lshl_add_u32 v16, v16, 23, v55
	v_or3_b32 v3, v2, v16, v3
.LBB4_3745:                             ;   in Loop: Header=BB4_2791 Depth=2
	s_or_b64 exec, exec, s[54:55]
.LBB4_3746:                             ;   in Loop: Header=BB4_2791 Depth=2
	s_or_b64 exec, exec, s[52:53]
.LBB4_3747:                             ;   in Loop: Header=BB4_2791 Depth=2
	s_or_b64 exec, exec, s[18:19]
	v_add_f32_e32 v2, v14, v3
	v_and_b32_sdwa v14, v2, s71 dst_sel:DWORD dst_unused:UNUSED_PAD src0_sel:BYTE_3 src1_sel:DWORD
	v_and_b32_e32 v22, 0x7f800000, v2
	v_mov_b32_e32 v23, v37
	v_and_b32_e32 v36, 0x7fffff, v2
	v_or_b32_e32 v16, 0x7e, v14
	v_cmp_ne_u64_e32 vcc, s[38:39], v[22:23]
	s_and_saveexec_b64 s[18:19], vcc
	s_xor_b64 s[52:53], exec, s[18:19]
	s_cbranch_execz .LBB4_3757
; %bb.3748:                             ;   in Loop: Header=BB4_2791 Depth=2
	v_and_b32_e32 v22, 0x7fffffff, v2
	v_mov_b32_e32 v23, v37
	v_cmp_gt_u64_e32 vcc, s[40:41], v[22:23]
	s_and_saveexec_b64 s[54:55], vcc
	s_cbranch_execz .LBB4_3756
; %bb.3749:                             ;   in Loop: Header=BB4_2791 Depth=2
	v_cmp_ne_u32_e32 vcc, 0, v2
	v_mov_b32_e32 v16, 0
	s_and_saveexec_b64 s[56:57], vcc
	s_cbranch_execz .LBB4_3755
; %bb.3750:                             ;   in Loop: Header=BB4_2791 Depth=2
	v_bfe_u32 v2, v2, 23, 8
	v_sub_u32_e32 v16, 0x79, v2
	v_cmp_gt_u32_e32 vcc, s72, v2
	v_add_u32_e32 v3, 0xffffff81, v2
	v_cndmask_b32_e32 v16, 0, v16, vcc
	v_cmp_eq_u32_e32 vcc, 0, v2
	v_mov_b32_e32 v2, 0xffffff82
	v_cndmask_b32_e32 v20, v3, v2, vcc
	v_mov_b32_e32 v2, 0x78
	v_or_b32_e32 v17, 0x800000, v36
	v_cndmask_b32_e32 v16, v16, v2, vcc
	v_cndmask_b32_e32 v36, v17, v36, vcc
	v_add_u32_e32 v2, 20, v16
	v_lshlrev_b64 v[2:3], v2, -1
	v_add_u32_e32 v17, 19, v16
	v_lshrrev_b64 v[50:51], v16, v[36:37]
	v_not_b32_e32 v3, v3
	v_not_b32_e32 v2, v2
	v_lshlrev_b64 v[22:23], v17, 1
	v_lshrrev_b32_e32 v17, 23, v50
	v_and_b32_e32 v3, 0, v3
	v_and_b32_e32 v2, v36, v2
	v_add3_u32 v20, v16, v20, v17
	v_bfe_u32 v16, v50, 20, 1
	v_add_u32_e32 v16, -1, v16
	v_cmp_eq_u64_e32 vcc, v[2:3], v[22:23]
	v_cndmask_b32_e32 v2, 0, v16, vcc
	v_add_u32_e32 v2, v2, v50
	v_and_b32_e32 v2, 0xfffff, v2
	v_add_co_u32_e32 v2, vcc, v2, v50
	v_add_u32_e32 v17, 6, v20
	v_addc_co_u32_e32 v3, vcc, 0, v51, vcc
	v_cmp_ne_u32_e32 vcc, 0, v17
                                        ; implicit-def: $vgpr16
	s_and_saveexec_b64 s[18:19], vcc
	s_xor_b64 s[18:19], exec, s[18:19]
; %bb.3751:                             ;   in Loop: Header=BB4_2791 Depth=2
	v_add_u32_e32 v16, 7, v20
	v_cmp_lt_u64_e32 vcc, s[44:45], v[2:3]
	v_cndmask_b32_e32 v16, v17, v16, vcc
	v_cndmask_b32_e64 v17, 0, 1, vcc
	v_lshrrev_b64 v[2:3], v17, v[2:3]
; %bb.3752:                             ;   in Loop: Header=BB4_2791 Depth=2
	s_andn2_saveexec_b64 s[18:19], s[18:19]
; %bb.3753:                             ;   in Loop: Header=BB4_2791 Depth=2
	v_bfe_u32 v16, v2, 23, 1
; %bb.3754:                             ;   in Loop: Header=BB4_2791 Depth=2
	s_or_b64 exec, exec, s[18:19]
	v_lshrrev_b64 v[2:3], 20, v[2:3]
	v_cmp_gt_i32_e32 vcc, 16, v16
	v_cndmask_b32_e32 v3, 0, v3, vcc
	v_cndmask_b32_e32 v2, 7, v2, vcc
	v_cmp_eq_u64_e64 s[18:19], 0, v[2:3]
	v_min_i32_e32 v3, 15, v16
	v_lshlrev_b32_e32 v3, 3, v3
	v_cmp_eq_u32_e32 vcc, 0, v16
	v_and_b32_e32 v3, 0xf8, v3
	v_and_or_b32 v2, v2, 7, v3
	s_and_b64 s[18:19], vcc, s[18:19]
	v_cndmask_b32_e64 v2, v2, 0, s[18:19]
	v_or_b32_e32 v16, v2, v14
.LBB4_3755:                             ;   in Loop: Header=BB4_2791 Depth=2
	s_or_b64 exec, exec, s[56:57]
.LBB4_3756:                             ;   in Loop: Header=BB4_2791 Depth=2
	s_or_b64 exec, exec, s[54:55]
                                        ; implicit-def: $vgpr2
.LBB4_3757:                             ;   in Loop: Header=BB4_2791 Depth=2
	s_andn2_saveexec_b64 s[18:19], s[52:53]
; %bb.3758:                             ;   in Loop: Header=BB4_2791 Depth=2
	v_or_b32_sdwa v2, v2, s69 dst_sel:DWORD dst_unused:UNUSED_PAD src0_sel:BYTE_3 src1_sel:DWORD
	v_cmp_eq_u64_e32 vcc, 0, v[36:37]
	v_cndmask_b32_e32 v16, v2, v16, vcc
; %bb.3759:                             ;   in Loop: Header=BB4_2791 Depth=2
	s_or_b64 exec, exec, s[18:19]
	v_lshlrev_b32_e32 v14, 8, v35
	v_cmp_ne_u16_sdwa vcc, v52, v37 src0_sel:BYTE_0 src1_sel:DWORD
	v_mov_b32_e32 v2, 0
	v_mov_b32_e32 v3, 0
	s_and_saveexec_b64 s[18:19], vcc
	s_cbranch_execz .LBB4_3765
; %bb.3760:                             ;   in Loop: Header=BB4_2791 Depth=2
	v_cmp_ne_u16_sdwa vcc, v52, s71 src0_sel:BYTE_0 src1_sel:DWORD
	v_bfrev_b32_e32 v3, 1
	s_and_saveexec_b64 s[52:53], vcc
	s_cbranch_execz .LBB4_3764
; %bb.3761:                             ;   in Loop: Header=BB4_2791 Depth=2
	v_and_b32_e32 v17, 0x7f, v52
	v_cmp_ne_u32_e32 vcc, s69, v17
	v_mov_b32_e32 v3, 0x7f800001
	s_and_saveexec_b64 s[54:55], vcc
	s_cbranch_execz .LBB4_3763
; %bb.3762:                             ;   in Loop: Header=BB4_2791 Depth=2
	v_and_b32_e32 v3, 7, v52
	v_ffbh_u32_e32 v3, v3
	v_min_u32_e32 v3, 32, v3
	v_subrev_u32_e32 v23, 28, v3
	v_cmp_gt_u32_e32 vcc, 8, v17
	v_lshrrev_b32_e32 v22, 3, v17
	v_perm_b32 v20, v14, v52, s73
	v_sub_u32_e32 v3, 29, v3
	v_cndmask_b32_e32 v17, 0, v23, vcc
	v_cndmask_b32_e32 v3, v22, v3, vcc
	v_lshlrev_b64 v[22:23], v17, v[20:21]
	v_lshlrev_b32_e32 v17, 20, v22
	v_lshlrev_b32_e32 v20, 24, v52
	v_and_b32_e32 v17, 0x700000, v17
	v_and_b32_e32 v20, 0x80000000, v20
	v_lshl_add_u32 v3, v3, 23, v55
	v_or3_b32 v3, v20, v3, v17
.LBB4_3763:                             ;   in Loop: Header=BB4_2791 Depth=2
	s_or_b64 exec, exec, s[54:55]
.LBB4_3764:                             ;   in Loop: Header=BB4_2791 Depth=2
	s_or_b64 exec, exec, s[52:53]
.LBB4_3765:                             ;   in Loop: Header=BB4_2791 Depth=2
	s_or_b64 exec, exec, s[18:19]
	s_waitcnt vmcnt(1)
	v_cmp_ne_u16_sdwa vcc, v10, v37 src0_sel:BYTE_0 src1_sel:DWORD
	s_and_saveexec_b64 s[18:19], vcc
	s_cbranch_execz .LBB4_3771
; %bb.3766:                             ;   in Loop: Header=BB4_2791 Depth=2
	v_cmp_ne_u16_sdwa vcc, v10, s71 src0_sel:BYTE_0 src1_sel:DWORD
	v_bfrev_b32_e32 v2, 1
	s_and_saveexec_b64 s[52:53], vcc
	s_cbranch_execz .LBB4_3770
; %bb.3767:                             ;   in Loop: Header=BB4_2791 Depth=2
	v_and_b32_e32 v17, 0x7f, v10
	v_cmp_ne_u32_e32 vcc, s69, v17
	v_mov_b32_e32 v2, 0x7f800001
	s_and_saveexec_b64 s[54:55], vcc
	s_cbranch_execz .LBB4_3769
; %bb.3768:                             ;   in Loop: Header=BB4_2791 Depth=2
	v_and_b32_e32 v2, 7, v10
	v_ffbh_u32_e32 v2, v2
	v_min_u32_e32 v2, 32, v2
	v_subrev_u32_e32 v22, 28, v2
	v_cmp_gt_u32_e32 vcc, 8, v17
	v_lshrrev_b32_e32 v20, 3, v17
	v_cndmask_b32_e32 v17, 0, v22, vcc
	v_sub_u32_e32 v2, 29, v2
	v_lshlrev_b64 v[22:23], v17, v[10:11]
	v_cndmask_b32_e32 v2, v20, v2, vcc
	v_lshlrev_b32_e32 v17, 20, v22
	v_lshlrev_b32_e32 v20, 24, v10
	v_and_b32_e32 v17, 0x700000, v17
	v_and_b32_e32 v20, 0x80000000, v20
	v_lshl_add_u32 v2, v2, 23, v55
	v_or3_b32 v2, v20, v2, v17
.LBB4_3769:                             ;   in Loop: Header=BB4_2791 Depth=2
	s_or_b64 exec, exec, s[54:55]
.LBB4_3770:                             ;   in Loop: Header=BB4_2791 Depth=2
	s_or_b64 exec, exec, s[52:53]
.LBB4_3771:                             ;   in Loop: Header=BB4_2791 Depth=2
	s_or_b64 exec, exec, s[18:19]
	v_add_f32_e32 v2, v3, v2
	v_and_b32_sdwa v20, v2, s71 dst_sel:DWORD dst_unused:UNUSED_PAD src0_sel:BYTE_3 src1_sel:DWORD
	v_and_b32_e32 v22, 0x7f800000, v2
	v_mov_b32_e32 v23, v37
	v_and_b32_e32 v36, 0x7fffff, v2
	v_or_b32_e32 v17, 0x7e, v20
	v_cmp_ne_u64_e32 vcc, s[38:39], v[22:23]
	s_and_saveexec_b64 s[18:19], vcc
	s_xor_b64 s[52:53], exec, s[18:19]
	s_cbranch_execz .LBB4_3781
; %bb.3772:                             ;   in Loop: Header=BB4_2791 Depth=2
	v_and_b32_e32 v22, 0x7fffffff, v2
	v_mov_b32_e32 v23, v37
	v_cmp_gt_u64_e32 vcc, s[40:41], v[22:23]
	s_and_saveexec_b64 s[54:55], vcc
	s_cbranch_execz .LBB4_3780
; %bb.3773:                             ;   in Loop: Header=BB4_2791 Depth=2
	v_cmp_ne_u32_e32 vcc, 0, v2
	v_mov_b32_e32 v17, 0
	s_and_saveexec_b64 s[56:57], vcc
	s_cbranch_execz .LBB4_3779
; %bb.3774:                             ;   in Loop: Header=BB4_2791 Depth=2
	v_bfe_u32 v2, v2, 23, 8
	v_sub_u32_e32 v17, 0x79, v2
	v_cmp_gt_u32_e32 vcc, s72, v2
	v_add_u32_e32 v3, 0xffffff81, v2
	v_cndmask_b32_e32 v17, 0, v17, vcc
	v_cmp_eq_u32_e32 vcc, 0, v2
	v_mov_b32_e32 v2, 0xffffff82
	v_cndmask_b32_e32 v23, v3, v2, vcc
	v_mov_b32_e32 v2, 0x78
	v_or_b32_e32 v22, 0x800000, v36
	v_cndmask_b32_e32 v17, v17, v2, vcc
	v_cndmask_b32_e32 v36, v22, v36, vcc
	v_add_u32_e32 v2, 20, v17
	v_lshlrev_b64 v[2:3], v2, -1
	v_add_u32_e32 v22, 19, v17
	v_lshrrev_b64 v[54:55], v17, v[36:37]
	v_not_b32_e32 v3, v3
	v_not_b32_e32 v2, v2
	v_lshlrev_b64 v[50:51], v22, 1
	v_lshrrev_b32_e32 v22, 23, v54
	v_and_b32_e32 v3, 0, v3
	v_and_b32_e32 v2, v36, v2
	v_add3_u32 v23, v17, v23, v22
	v_bfe_u32 v17, v54, 20, 1
	v_add_u32_e32 v17, -1, v17
	v_cmp_eq_u64_e32 vcc, v[2:3], v[50:51]
	v_cndmask_b32_e32 v2, 0, v17, vcc
	v_add_u32_e32 v2, v2, v54
	v_and_b32_e32 v2, 0xfffff, v2
	v_add_co_u32_e32 v2, vcc, v2, v54
	v_add_u32_e32 v22, 6, v23
	v_addc_co_u32_e32 v3, vcc, 0, v55, vcc
	v_cmp_ne_u32_e32 vcc, 0, v22
                                        ; implicit-def: $vgpr17
	s_and_saveexec_b64 s[18:19], vcc
	s_xor_b64 s[18:19], exec, s[18:19]
; %bb.3775:                             ;   in Loop: Header=BB4_2791 Depth=2
	v_add_u32_e32 v17, 7, v23
	v_cmp_lt_u64_e32 vcc, s[44:45], v[2:3]
	v_cndmask_b32_e32 v17, v22, v17, vcc
	v_cndmask_b32_e64 v22, 0, 1, vcc
	v_lshrrev_b64 v[2:3], v22, v[2:3]
; %bb.3776:                             ;   in Loop: Header=BB4_2791 Depth=2
	s_andn2_saveexec_b64 s[18:19], s[18:19]
; %bb.3777:                             ;   in Loop: Header=BB4_2791 Depth=2
	v_bfe_u32 v17, v2, 23, 1
; %bb.3778:                             ;   in Loop: Header=BB4_2791 Depth=2
	s_or_b64 exec, exec, s[18:19]
	v_lshrrev_b64 v[2:3], 20, v[2:3]
	v_cmp_gt_i32_e32 vcc, 16, v17
	v_cndmask_b32_e32 v3, 0, v3, vcc
	v_cndmask_b32_e32 v2, 7, v2, vcc
	v_cmp_eq_u64_e64 s[18:19], 0, v[2:3]
	v_min_i32_e32 v3, 15, v17
	v_cmp_eq_u32_e32 vcc, 0, v17
	v_lshlrev_b32_e32 v3, 3, v3
	v_and_or_b32 v2, v2, 7, v3
	s_and_b64 s[18:19], vcc, s[18:19]
	v_cndmask_b32_e64 v2, v2, 0, s[18:19]
	v_or_b32_e32 v17, v2, v20
	v_bfrev_b32_e32 v55, 60
.LBB4_3779:                             ;   in Loop: Header=BB4_2791 Depth=2
	s_or_b64 exec, exec, s[56:57]
.LBB4_3780:                             ;   in Loop: Header=BB4_2791 Depth=2
	s_or_b64 exec, exec, s[54:55]
                                        ; implicit-def: $vgpr2
.LBB4_3781:                             ;   in Loop: Header=BB4_2791 Depth=2
	s_andn2_saveexec_b64 s[18:19], s[52:53]
; %bb.3782:                             ;   in Loop: Header=BB4_2791 Depth=2
	v_or_b32_sdwa v2, v2, s69 dst_sel:DWORD dst_unused:UNUSED_PAD src0_sel:BYTE_3 src1_sel:DWORD
	v_cmp_eq_u64_e32 vcc, 0, v[36:37]
	v_cndmask_b32_e32 v17, v2, v17, vcc
; %bb.3783:                             ;   in Loop: Header=BB4_2791 Depth=2
	s_or_b64 exec, exec, s[18:19]
	v_lshrrev_b16_e32 v2, 8, v14
	v_cmp_ne_u16_e32 vcc, 0, v2
	v_mov_b32_e32 v3, 0
	v_mov_b32_e32 v20, 0
	s_and_saveexec_b64 s[18:19], vcc
	s_cbranch_execz .LBB4_3789
; %bb.3784:                             ;   in Loop: Header=BB4_2791 Depth=2
	v_cmp_ne_u16_e32 vcc, s71, v2
	v_bfrev_b32_e32 v20, 1
	s_and_saveexec_b64 s[52:53], vcc
	s_cbranch_execz .LBB4_3788
; %bb.3785:                             ;   in Loop: Header=BB4_2791 Depth=2
	v_and_b32_e32 v22, 0x7f, v2
	v_cmp_ne_u32_e32 vcc, s69, v22
	v_mov_b32_e32 v20, 0x7f800001
	s_and_saveexec_b64 s[54:55], vcc
	s_cbranch_execz .LBB4_3787
; %bb.3786:                             ;   in Loop: Header=BB4_2791 Depth=2
	v_and_b32_e32 v20, 7, v2
	v_ffbh_u32_e32 v25, v20
	v_min_u32_e32 v25, 32, v25
	v_subrev_u32_e32 v31, 28, v25
	v_lshlrev_b64 v[50:51], v31, v[2:3]
	v_lshrrev_b32_e32 v23, 3, v22
	v_sub_u32_e32 v2, 29, v25
	v_and_b32_e32 v25, 7, v50
	v_cmp_gt_u32_e32 vcc, 8, v22
	v_cndmask_b32_e32 v2, v23, v2, vcc
	v_cndmask_b32_e32 v20, v20, v25, vcc
	v_lshlrev_b32_e32 v14, 16, v14
	v_lshlrev_b32_e32 v20, 20, v20
	v_and_b32_e32 v14, 0x80000000, v14
	v_lshl_add_u32 v2, v2, 23, v55
	v_or3_b32 v20, v14, v2, v20
.LBB4_3787:                             ;   in Loop: Header=BB4_2791 Depth=2
	s_or_b64 exec, exec, s[54:55]
.LBB4_3788:                             ;   in Loop: Header=BB4_2791 Depth=2
	s_or_b64 exec, exec, s[52:53]
.LBB4_3789:                             ;   in Loop: Header=BB4_2791 Depth=2
	s_or_b64 exec, exec, s[18:19]
	v_lshrrev_b16_e32 v2, 8, v10
	v_cmp_ne_u16_e32 vcc, 0, v2
	s_and_saveexec_b64 s[18:19], vcc
	s_cbranch_execz .LBB4_3795
; %bb.3790:                             ;   in Loop: Header=BB4_2791 Depth=2
	v_cmp_ne_u16_e32 vcc, s71, v2
	v_bfrev_b32_e32 v3, 1
	s_and_saveexec_b64 s[52:53], vcc
	s_cbranch_execz .LBB4_3794
; %bb.3791:                             ;   in Loop: Header=BB4_2791 Depth=2
	v_and_b32_e32 v14, 0x7f, v2
	v_cmp_ne_u32_e32 vcc, s69, v14
	v_mov_b32_e32 v3, 0x7f800001
	s_and_saveexec_b64 s[54:55], vcc
	s_cbranch_execz .LBB4_3793
; %bb.3792:                             ;   in Loop: Header=BB4_2791 Depth=2
	v_and_b32_e32 v22, 7, v2
	v_ffbh_u32_e32 v3, v22
	v_min_u32_e32 v25, 32, v3
	v_subrev_u32_e32 v3, 28, v25
	v_lshlrev_b64 v[2:3], v3, v[2:3]
	v_lshrrev_b32_e32 v23, 3, v14
	v_sub_u32_e32 v3, 29, v25
	v_and_b32_e32 v2, 7, v2
	v_cmp_gt_u32_e32 vcc, 8, v14
	v_cndmask_b32_e32 v3, v23, v3, vcc
	v_cndmask_b32_e32 v2, v22, v2, vcc
	v_lshlrev_b32_e32 v14, 16, v10
	v_lshlrev_b32_e32 v2, 20, v2
	v_and_b32_e32 v14, 0x80000000, v14
	v_lshl_add_u32 v3, v3, 23, v55
	v_or3_b32 v3, v14, v3, v2
.LBB4_3793:                             ;   in Loop: Header=BB4_2791 Depth=2
	s_or_b64 exec, exec, s[54:55]
.LBB4_3794:                             ;   in Loop: Header=BB4_2791 Depth=2
	s_or_b64 exec, exec, s[52:53]
.LBB4_3795:                             ;   in Loop: Header=BB4_2791 Depth=2
	s_or_b64 exec, exec, s[18:19]
	v_add_f32_e32 v2, v20, v3
	v_and_b32_sdwa v14, v2, s71 dst_sel:DWORD dst_unused:UNUSED_PAD src0_sel:BYTE_3 src1_sel:DWORD
	v_and_b32_e32 v22, 0x7f800000, v2
	v_mov_b32_e32 v23, v37
	v_and_b32_e32 v36, 0x7fffff, v2
	v_or_b32_e32 v20, 0x7e, v14
	v_cmp_ne_u64_e32 vcc, s[38:39], v[22:23]
	s_and_saveexec_b64 s[18:19], vcc
	s_xor_b64 s[52:53], exec, s[18:19]
	s_cbranch_execz .LBB4_3805
; %bb.3796:                             ;   in Loop: Header=BB4_2791 Depth=2
	v_and_b32_e32 v22, 0x7fffffff, v2
	v_mov_b32_e32 v23, v37
	v_cmp_gt_u64_e32 vcc, s[40:41], v[22:23]
	s_and_saveexec_b64 s[54:55], vcc
	s_cbranch_execz .LBB4_3804
; %bb.3797:                             ;   in Loop: Header=BB4_2791 Depth=2
	v_cmp_ne_u32_e32 vcc, 0, v2
	v_mov_b32_e32 v20, 0
	s_and_saveexec_b64 s[56:57], vcc
	s_cbranch_execz .LBB4_3803
; %bb.3798:                             ;   in Loop: Header=BB4_2791 Depth=2
	v_bfe_u32 v2, v2, 23, 8
	v_sub_u32_e32 v20, 0x79, v2
	v_cmp_gt_u32_e32 vcc, s72, v2
	v_add_u32_e32 v3, 0xffffff81, v2
	v_cndmask_b32_e32 v20, 0, v20, vcc
	v_cmp_eq_u32_e32 vcc, 0, v2
	v_mov_b32_e32 v2, 0xffffff82
	v_cndmask_b32_e32 v23, v3, v2, vcc
	v_mov_b32_e32 v2, 0x78
	v_or_b32_e32 v22, 0x800000, v36
	v_cndmask_b32_e32 v20, v20, v2, vcc
	v_cndmask_b32_e32 v36, v22, v36, vcc
	v_add_u32_e32 v2, 20, v20
	v_lshlrev_b64 v[2:3], v2, -1
	v_add_u32_e32 v22, 19, v20
	v_lshrrev_b64 v[54:55], v20, v[36:37]
	v_not_b32_e32 v3, v3
	v_not_b32_e32 v2, v2
	v_lshlrev_b64 v[50:51], v22, 1
	v_lshrrev_b32_e32 v22, 23, v54
	v_and_b32_e32 v3, 0, v3
	v_and_b32_e32 v2, v36, v2
	v_add3_u32 v23, v20, v23, v22
	v_bfe_u32 v20, v54, 20, 1
	v_add_u32_e32 v20, -1, v20
	v_cmp_eq_u64_e32 vcc, v[2:3], v[50:51]
	v_cndmask_b32_e32 v2, 0, v20, vcc
	v_add_u32_e32 v2, v2, v54
	v_and_b32_e32 v2, 0xfffff, v2
	v_add_co_u32_e32 v2, vcc, v2, v54
	v_add_u32_e32 v22, 6, v23
	v_addc_co_u32_e32 v3, vcc, 0, v55, vcc
	v_cmp_ne_u32_e32 vcc, 0, v22
                                        ; implicit-def: $vgpr20
	s_and_saveexec_b64 s[18:19], vcc
	s_xor_b64 s[18:19], exec, s[18:19]
; %bb.3799:                             ;   in Loop: Header=BB4_2791 Depth=2
	v_add_u32_e32 v20, 7, v23
	v_cmp_lt_u64_e32 vcc, s[44:45], v[2:3]
	v_cndmask_b32_e32 v20, v22, v20, vcc
	v_cndmask_b32_e64 v22, 0, 1, vcc
	v_lshrrev_b64 v[2:3], v22, v[2:3]
; %bb.3800:                             ;   in Loop: Header=BB4_2791 Depth=2
	s_andn2_saveexec_b64 s[18:19], s[18:19]
; %bb.3801:                             ;   in Loop: Header=BB4_2791 Depth=2
	v_bfe_u32 v20, v2, 23, 1
; %bb.3802:                             ;   in Loop: Header=BB4_2791 Depth=2
	s_or_b64 exec, exec, s[18:19]
	v_lshrrev_b64 v[2:3], 20, v[2:3]
	v_cmp_gt_i32_e32 vcc, 16, v20
	v_cndmask_b32_e32 v3, 0, v3, vcc
	v_cndmask_b32_e32 v2, 7, v2, vcc
	v_cmp_eq_u64_e64 s[18:19], 0, v[2:3]
	v_min_i32_e32 v3, 15, v20
	v_cmp_eq_u32_e32 vcc, 0, v20
	v_lshlrev_b32_e32 v3, 3, v3
	v_and_or_b32 v2, v2, 7, v3
	s_and_b64 s[18:19], vcc, s[18:19]
	v_cndmask_b32_e64 v2, v2, 0, s[18:19]
	v_or_b32_e32 v20, v2, v14
	v_bfrev_b32_e32 v55, 60
.LBB4_3803:                             ;   in Loop: Header=BB4_2791 Depth=2
	s_or_b64 exec, exec, s[56:57]
.LBB4_3804:                             ;   in Loop: Header=BB4_2791 Depth=2
	s_or_b64 exec, exec, s[54:55]
                                        ; implicit-def: $vgpr2
.LBB4_3805:                             ;   in Loop: Header=BB4_2791 Depth=2
	s_andn2_saveexec_b64 s[18:19], s[52:53]
; %bb.3806:                             ;   in Loop: Header=BB4_2791 Depth=2
	v_or_b32_sdwa v2, v2, s69 dst_sel:DWORD dst_unused:UNUSED_PAD src0_sel:BYTE_3 src1_sel:DWORD
	v_cmp_eq_u64_e32 vcc, 0, v[36:37]
	v_cndmask_b32_e32 v20, v2, v20, vcc
; %bb.3807:                             ;   in Loop: Header=BB4_2791 Depth=2
	s_or_b64 exec, exec, s[18:19]
	v_cmp_ne_u16_sdwa vcc, v56, v37 src0_sel:BYTE_0 src1_sel:DWORD
	v_mov_b32_e32 v3, 0
	v_mov_b32_e32 v14, 0
	s_and_saveexec_b64 s[18:19], vcc
	s_cbranch_execz .LBB4_3813
; %bb.3808:                             ;   in Loop: Header=BB4_2791 Depth=2
	v_cmp_ne_u16_sdwa vcc, v56, s71 src0_sel:BYTE_0 src1_sel:DWORD
	v_bfrev_b32_e32 v14, 1
	s_and_saveexec_b64 s[52:53], vcc
	s_cbranch_execz .LBB4_3812
; %bb.3809:                             ;   in Loop: Header=BB4_2791 Depth=2
	v_and_b32_e32 v2, 0x7f, v56
	v_cmp_ne_u32_e32 vcc, s69, v2
	v_mov_b32_e32 v14, 0x7f800001
	s_and_saveexec_b64 s[54:55], vcc
	s_cbranch_execz .LBB4_3811
; %bb.3810:                             ;   in Loop: Header=BB4_2791 Depth=2
	v_and_b32_e32 v14, 7, v56
	v_ffbh_u32_e32 v22, v14
	v_min_u32_e32 v31, 32, v22
	v_subrev_u32_e32 v22, 28, v31
	v_lshlrev_b64 v[22:23], v22, v[56:57]
	v_lshrrev_b32_e32 v25, 3, v2
	v_sub_u32_e32 v23, 29, v31
	v_and_b32_e32 v22, 7, v22
	v_cmp_gt_u32_e32 vcc, 8, v2
	v_cndmask_b32_e32 v2, v25, v23, vcc
	v_cndmask_b32_e32 v14, v14, v22, vcc
	v_lshlrev_b32_e32 v22, 24, v56
	v_lshlrev_b32_e32 v14, 20, v14
	v_and_b32_e32 v22, 0x80000000, v22
	v_lshl_add_u32 v2, v2, 23, v55
	v_or3_b32 v14, v22, v2, v14
.LBB4_3811:                             ;   in Loop: Header=BB4_2791 Depth=2
	s_or_b64 exec, exec, s[54:55]
.LBB4_3812:                             ;   in Loop: Header=BB4_2791 Depth=2
	s_or_b64 exec, exec, s[52:53]
.LBB4_3813:                             ;   in Loop: Header=BB4_2791 Depth=2
	s_or_b64 exec, exec, s[18:19]
	v_lshrrev_b32_e32 v2, 16, v10
	v_cmp_ne_u16_sdwa vcc, v2, v37 src0_sel:BYTE_0 src1_sel:DWORD
	s_and_saveexec_b64 s[18:19], vcc
	s_cbranch_execz .LBB4_3819
; %bb.3814:                             ;   in Loop: Header=BB4_2791 Depth=2
	v_cmp_ne_u16_sdwa vcc, v2, s71 src0_sel:BYTE_0 src1_sel:DWORD
	v_bfrev_b32_e32 v3, 1
	s_and_saveexec_b64 s[52:53], vcc
	s_cbranch_execz .LBB4_3818
; %bb.3815:                             ;   in Loop: Header=BB4_2791 Depth=2
	v_bfe_u32 v22, v10, 16, 7
	v_cmp_ne_u32_e32 vcc, s69, v22
	v_mov_b32_e32 v3, 0x7f800001
	s_and_saveexec_b64 s[54:55], vcc
	s_cbranch_execz .LBB4_3817
; %bb.3816:                             ;   in Loop: Header=BB4_2791 Depth=2
	v_and_b32_e32 v23, 7, v2
	v_ffbh_u32_e32 v3, v23
	v_min_u32_e32 v31, 32, v3
	v_subrev_u32_e32 v3, 28, v31
	v_lshlrev_b64 v[2:3], v3, v[2:3]
	v_lshrrev_b32_e32 v25, 3, v22
	v_sub_u32_e32 v3, 29, v31
	v_and_b32_e32 v2, 7, v2
	v_cmp_gt_u32_e32 vcc, 8, v22
	v_cndmask_b32_e32 v3, v25, v3, vcc
	v_cndmask_b32_e32 v2, v23, v2, vcc
	v_lshlrev_b32_e32 v22, 8, v10
	v_lshlrev_b32_e32 v2, 20, v2
	v_and_b32_e32 v22, 0x80000000, v22
	v_lshl_add_u32 v3, v3, 23, v55
	v_or3_b32 v3, v22, v3, v2
.LBB4_3817:                             ;   in Loop: Header=BB4_2791 Depth=2
	s_or_b64 exec, exec, s[54:55]
.LBB4_3818:                             ;   in Loop: Header=BB4_2791 Depth=2
	s_or_b64 exec, exec, s[52:53]
.LBB4_3819:                             ;   in Loop: Header=BB4_2791 Depth=2
	s_or_b64 exec, exec, s[18:19]
	v_add_f32_e32 v2, v14, v3
	v_and_b32_sdwa v14, v2, s71 dst_sel:DWORD dst_unused:UNUSED_PAD src0_sel:BYTE_3 src1_sel:DWORD
	v_and_b32_e32 v50, 0x7f800000, v2
	v_mov_b32_e32 v51, v37
	v_and_b32_e32 v36, 0x7fffff, v2
	v_or_b32_e32 v22, 0x7e, v14
	v_cmp_ne_u64_e32 vcc, s[38:39], v[50:51]
	s_and_saveexec_b64 s[18:19], vcc
	s_xor_b64 s[52:53], exec, s[18:19]
	s_cbranch_execz .LBB4_3829
; %bb.3820:                             ;   in Loop: Header=BB4_2791 Depth=2
	v_and_b32_e32 v50, 0x7fffffff, v2
	v_mov_b32_e32 v51, v37
	v_cmp_gt_u64_e32 vcc, s[40:41], v[50:51]
	s_and_saveexec_b64 s[54:55], vcc
	s_cbranch_execz .LBB4_3828
; %bb.3821:                             ;   in Loop: Header=BB4_2791 Depth=2
	v_cmp_ne_u32_e32 vcc, 0, v2
	v_mov_b32_e32 v22, 0
	s_and_saveexec_b64 s[56:57], vcc
	s_cbranch_execz .LBB4_3827
; %bb.3822:                             ;   in Loop: Header=BB4_2791 Depth=2
	v_bfe_u32 v2, v2, 23, 8
	v_sub_u32_e32 v22, 0x79, v2
	v_cmp_gt_u32_e32 vcc, s72, v2
	v_add_u32_e32 v3, 0xffffff81, v2
	v_cndmask_b32_e32 v22, 0, v22, vcc
	v_cmp_eq_u32_e32 vcc, 0, v2
	v_mov_b32_e32 v2, 0xffffff82
	v_cndmask_b32_e32 v25, v3, v2, vcc
	v_mov_b32_e32 v2, 0x78
	v_or_b32_e32 v23, 0x800000, v36
	v_cndmask_b32_e32 v22, v22, v2, vcc
	v_cndmask_b32_e32 v36, v23, v36, vcc
	v_add_u32_e32 v2, 20, v22
	v_lshlrev_b64 v[2:3], v2, -1
	v_add_u32_e32 v23, 19, v22
	v_lshrrev_b64 v[54:55], v22, v[36:37]
	v_not_b32_e32 v3, v3
	v_not_b32_e32 v2, v2
	v_lshlrev_b64 v[50:51], v23, 1
	v_lshrrev_b32_e32 v23, 23, v54
	v_and_b32_e32 v3, 0, v3
	v_and_b32_e32 v2, v36, v2
	v_add3_u32 v31, v22, v25, v23
	v_bfe_u32 v22, v54, 20, 1
	v_add_u32_e32 v22, -1, v22
	v_cmp_eq_u64_e32 vcc, v[2:3], v[50:51]
	v_cndmask_b32_e32 v2, 0, v22, vcc
	v_add_u32_e32 v2, v2, v54
	v_and_b32_e32 v2, 0xfffff, v2
	v_add_co_u32_e32 v2, vcc, v2, v54
	v_add_u32_e32 v23, 6, v31
	v_addc_co_u32_e32 v3, vcc, 0, v55, vcc
	v_cmp_ne_u32_e32 vcc, 0, v23
                                        ; implicit-def: $vgpr22
	s_and_saveexec_b64 s[18:19], vcc
	s_xor_b64 s[18:19], exec, s[18:19]
; %bb.3823:                             ;   in Loop: Header=BB4_2791 Depth=2
	v_add_u32_e32 v22, 7, v31
	v_cmp_lt_u64_e32 vcc, s[44:45], v[2:3]
	v_cndmask_b32_e32 v22, v23, v22, vcc
	v_cndmask_b32_e64 v23, 0, 1, vcc
	v_lshrrev_b64 v[2:3], v23, v[2:3]
; %bb.3824:                             ;   in Loop: Header=BB4_2791 Depth=2
	s_andn2_saveexec_b64 s[18:19], s[18:19]
; %bb.3825:                             ;   in Loop: Header=BB4_2791 Depth=2
	v_bfe_u32 v22, v2, 23, 1
; %bb.3826:                             ;   in Loop: Header=BB4_2791 Depth=2
	s_or_b64 exec, exec, s[18:19]
	v_lshrrev_b64 v[2:3], 20, v[2:3]
	v_cmp_gt_i32_e32 vcc, 16, v22
	v_cndmask_b32_e32 v3, 0, v3, vcc
	v_cndmask_b32_e32 v2, 7, v2, vcc
	v_cmp_eq_u64_e64 s[18:19], 0, v[2:3]
	v_min_i32_e32 v3, 15, v22
	v_cmp_eq_u32_e32 vcc, 0, v22
	v_lshlrev_b32_e32 v3, 3, v3
	v_and_or_b32 v2, v2, 7, v3
	s_and_b64 s[18:19], vcc, s[18:19]
	v_cndmask_b32_e64 v2, v2, 0, s[18:19]
	v_or_b32_e32 v22, v2, v14
	v_bfrev_b32_e32 v55, 60
.LBB4_3827:                             ;   in Loop: Header=BB4_2791 Depth=2
	s_or_b64 exec, exec, s[56:57]
.LBB4_3828:                             ;   in Loop: Header=BB4_2791 Depth=2
	s_or_b64 exec, exec, s[54:55]
                                        ; implicit-def: $vgpr2
.LBB4_3829:                             ;   in Loop: Header=BB4_2791 Depth=2
	s_andn2_saveexec_b64 s[18:19], s[52:53]
; %bb.3830:                             ;   in Loop: Header=BB4_2791 Depth=2
	v_or_b32_sdwa v2, v2, s69 dst_sel:DWORD dst_unused:UNUSED_PAD src0_sel:BYTE_3 src1_sel:DWORD
	v_cmp_eq_u64_e32 vcc, 0, v[36:37]
	v_cndmask_b32_e32 v22, v2, v22, vcc
; %bb.3831:                             ;   in Loop: Header=BB4_2791 Depth=2
	s_or_b64 exec, exec, s[18:19]
	v_lshlrev_b32_e32 v2, 8, v30
	v_and_b32_e32 v2, 0xff00, v2
	v_cmp_ne_u32_e32 vcc, 0, v2
	v_mov_b32_e32 v3, 0
	v_mov_b32_e32 v14, 0
	s_and_saveexec_b64 s[18:19], vcc
	s_cbranch_execz .LBB4_3837
; %bb.3832:                             ;   in Loop: Header=BB4_2791 Depth=2
	v_cmp_ne_u32_e32 vcc, s74, v2
	v_bfrev_b32_e32 v14, 1
	s_and_saveexec_b64 s[52:53], vcc
	s_cbranch_execz .LBB4_3836
; %bb.3833:                             ;   in Loop: Header=BB4_2791 Depth=2
	v_bfe_u32 v23, v2, 8, 7
	v_cmp_ne_u32_e32 vcc, s69, v23
	v_mov_b32_e32 v14, 0x7f800001
	s_and_saveexec_b64 s[54:55], vcc
	s_cbranch_execz .LBB4_3835
; %bb.3834:                             ;   in Loop: Header=BB4_2791 Depth=2
	v_lshrrev_b32_e32 v14, 8, v2
	v_and_b32_e32 v25, 7, v14
	v_ffbh_u32_e32 v30, v25
	v_min_u32_e32 v35, 32, v30
	v_subrev_u32_e32 v30, 28, v35
	v_lshlrev_b64 v[30:31], v30, v[14:15]
	v_lshrrev_b32_e32 v33, 3, v23
	v_sub_u32_e32 v14, 29, v35
	v_and_b32_e32 v30, 7, v30
	v_cmp_gt_u32_e32 vcc, 8, v23
	v_cndmask_b32_e32 v14, v33, v14, vcc
	v_cndmask_b32_e32 v23, v25, v30, vcc
	v_lshlrev_b32_e32 v2, 16, v2
	v_lshlrev_b32_e32 v23, 20, v23
	v_and_b32_e32 v2, 0x80000000, v2
	v_lshl_add_u32 v14, v14, 23, v55
	v_or3_b32 v14, v2, v14, v23
.LBB4_3835:                             ;   in Loop: Header=BB4_2791 Depth=2
	s_or_b64 exec, exec, s[54:55]
.LBB4_3836:                             ;   in Loop: Header=BB4_2791 Depth=2
	s_or_b64 exec, exec, s[52:53]
.LBB4_3837:                             ;   in Loop: Header=BB4_2791 Depth=2
	s_or_b64 exec, exec, s[18:19]
	v_cmp_lt_u32_e32 vcc, s43, v10
	s_and_saveexec_b64 s[18:19], vcc
	s_cbranch_execz .LBB4_3843
; %bb.3838:                             ;   in Loop: Header=BB4_2791 Depth=2
	v_lshrrev_b32_e32 v2, 24, v10
	v_cmp_ne_u32_e32 vcc, s71, v2
	v_bfrev_b32_e32 v3, 1
	s_and_saveexec_b64 s[52:53], vcc
	s_cbranch_execz .LBB4_3842
; %bb.3839:                             ;   in Loop: Header=BB4_2791 Depth=2
	v_bfe_u32 v23, v10, 24, 7
	v_cmp_ne_u32_e32 vcc, s69, v23
	v_mov_b32_e32 v3, 0x7f800001
	s_and_saveexec_b64 s[54:55], vcc
	s_cbranch_execz .LBB4_3841
; %bb.3840:                             ;   in Loop: Header=BB4_2791 Depth=2
	v_and_b32_e32 v3, 7, v2
	v_ffbh_u32_e32 v30, v3
	v_min_u32_e32 v33, 32, v30
	v_subrev_u32_e32 v30, 28, v33
	v_lshlrev_b64 v[30:31], v30, v[2:3]
	v_lshrrev_b32_e32 v25, 3, v23
	v_sub_u32_e32 v31, 29, v33
	v_and_b32_e32 v30, 7, v30
	v_cmp_gt_u32_e32 vcc, 8, v23
	v_cndmask_b32_e32 v23, v25, v31, vcc
	v_cndmask_b32_e32 v3, v3, v30, vcc
	v_lshlrev_b32_e32 v2, 24, v2
	v_lshlrev_b32_e32 v3, 20, v3
	v_and_b32_e32 v2, 0x80000000, v2
	v_lshl_add_u32 v23, v23, 23, v55
	v_or3_b32 v3, v2, v23, v3
.LBB4_3841:                             ;   in Loop: Header=BB4_2791 Depth=2
	s_or_b64 exec, exec, s[54:55]
.LBB4_3842:                             ;   in Loop: Header=BB4_2791 Depth=2
	s_or_b64 exec, exec, s[52:53]
.LBB4_3843:                             ;   in Loop: Header=BB4_2791 Depth=2
	s_or_b64 exec, exec, s[18:19]
	v_add_f32_e32 v2, v14, v3
	v_and_b32_sdwa v14, v2, s71 dst_sel:DWORD dst_unused:UNUSED_PAD src0_sel:BYTE_3 src1_sel:DWORD
	v_and_b32_e32 v30, 0x7f800000, v2
	v_mov_b32_e32 v31, v37
	v_and_b32_e32 v36, 0x7fffff, v2
	v_or_b32_e32 v23, 0x7e, v14
	v_cmp_ne_u64_e32 vcc, s[38:39], v[30:31]
	s_and_saveexec_b64 s[18:19], vcc
	s_xor_b64 s[52:53], exec, s[18:19]
	s_cbranch_execz .LBB4_3853
; %bb.3844:                             ;   in Loop: Header=BB4_2791 Depth=2
	v_and_b32_e32 v30, 0x7fffffff, v2
	v_mov_b32_e32 v31, v37
	v_cmp_gt_u64_e32 vcc, s[40:41], v[30:31]
	s_and_saveexec_b64 s[54:55], vcc
	s_cbranch_execz .LBB4_3852
; %bb.3845:                             ;   in Loop: Header=BB4_2791 Depth=2
	v_cmp_ne_u32_e32 vcc, 0, v2
	v_mov_b32_e32 v23, 0
	s_and_saveexec_b64 s[56:57], vcc
	s_cbranch_execz .LBB4_3851
; %bb.3846:                             ;   in Loop: Header=BB4_2791 Depth=2
	v_bfe_u32 v2, v2, 23, 8
	v_sub_u32_e32 v23, 0x79, v2
	v_cmp_gt_u32_e32 vcc, s72, v2
	v_add_u32_e32 v3, 0xffffff81, v2
	v_cndmask_b32_e32 v23, 0, v23, vcc
	v_cmp_eq_u32_e32 vcc, 0, v2
	v_mov_b32_e32 v2, 0xffffff82
	v_cndmask_b32_e32 v30, v3, v2, vcc
	v_mov_b32_e32 v2, 0x78
	v_or_b32_e32 v25, 0x800000, v36
	v_cndmask_b32_e32 v23, v23, v2, vcc
	v_cndmask_b32_e32 v36, v25, v36, vcc
	v_add_u32_e32 v2, 20, v23
	v_lshlrev_b64 v[2:3], v2, -1
	v_add_u32_e32 v25, 19, v23
	v_lshrrev_b64 v[54:55], v23, v[36:37]
	v_not_b32_e32 v3, v3
	v_not_b32_e32 v2, v2
	v_lshlrev_b64 v[50:51], v25, 1
	v_lshrrev_b32_e32 v25, 23, v54
	v_and_b32_e32 v3, 0, v3
	v_and_b32_e32 v2, v36, v2
	v_add3_u32 v31, v23, v30, v25
	v_bfe_u32 v23, v54, 20, 1
	v_add_u32_e32 v23, -1, v23
	v_cmp_eq_u64_e32 vcc, v[2:3], v[50:51]
	v_cndmask_b32_e32 v2, 0, v23, vcc
	v_add_u32_e32 v2, v2, v54
	v_and_b32_e32 v2, 0xfffff, v2
	v_add_co_u32_e32 v2, vcc, v2, v54
	v_add_u32_e32 v30, 6, v31
	v_addc_co_u32_e32 v3, vcc, 0, v55, vcc
	v_cmp_ne_u32_e32 vcc, 0, v30
                                        ; implicit-def: $vgpr23
	s_and_saveexec_b64 s[18:19], vcc
	s_xor_b64 s[18:19], exec, s[18:19]
; %bb.3847:                             ;   in Loop: Header=BB4_2791 Depth=2
	v_cmp_lt_u64_e32 vcc, s[44:45], v[2:3]
	v_add_u32_e32 v23, 7, v31
	v_cndmask_b32_e64 v25, 0, 1, vcc
	v_cndmask_b32_e32 v23, v30, v23, vcc
	v_lshrrev_b64 v[2:3], v25, v[2:3]
; %bb.3848:                             ;   in Loop: Header=BB4_2791 Depth=2
	s_andn2_saveexec_b64 s[18:19], s[18:19]
; %bb.3849:                             ;   in Loop: Header=BB4_2791 Depth=2
	v_bfe_u32 v23, v2, 23, 1
; %bb.3850:                             ;   in Loop: Header=BB4_2791 Depth=2
	s_or_b64 exec, exec, s[18:19]
	v_lshrrev_b64 v[2:3], 20, v[2:3]
	v_cmp_gt_i32_e32 vcc, 16, v23
	v_cndmask_b32_e32 v3, 0, v3, vcc
	v_cndmask_b32_e32 v2, 7, v2, vcc
	v_cmp_eq_u64_e64 s[18:19], 0, v[2:3]
	v_min_i32_e32 v3, 15, v23
	v_cmp_eq_u32_e32 vcc, 0, v23
	v_lshlrev_b32_e32 v3, 3, v3
	v_and_or_b32 v2, v2, 7, v3
	s_and_b64 s[18:19], vcc, s[18:19]
	v_cndmask_b32_e64 v2, v2, 0, s[18:19]
	v_or_b32_e32 v23, v2, v14
	v_bfrev_b32_e32 v55, 60
.LBB4_3851:                             ;   in Loop: Header=BB4_2791 Depth=2
	s_or_b64 exec, exec, s[56:57]
.LBB4_3852:                             ;   in Loop: Header=BB4_2791 Depth=2
	s_or_b64 exec, exec, s[54:55]
                                        ; implicit-def: $vgpr2
.LBB4_3853:                             ;   in Loop: Header=BB4_2791 Depth=2
	s_andn2_saveexec_b64 s[18:19], s[52:53]
; %bb.3854:                             ;   in Loop: Header=BB4_2791 Depth=2
	v_or_b32_sdwa v2, v2, s69 dst_sel:DWORD dst_unused:UNUSED_PAD src0_sel:BYTE_3 src1_sel:DWORD
	v_cmp_eq_u64_e32 vcc, 0, v[36:37]
	v_cndmask_b32_e32 v23, v2, v23, vcc
; %bb.3855:                             ;   in Loop: Header=BB4_2791 Depth=2
	s_or_b64 exec, exec, s[18:19]
	v_lshlrev_b32_e32 v14, 8, v21
	v_lshlrev_b32_e32 v2, 24, v32
	v_perm_b32 v3, v34, v48, s75
	v_or3_b32 v36, v3, v2, v14
	v_cmp_ne_u16_sdwa vcc, v48, v37 src0_sel:BYTE_0 src1_sel:DWORD
	v_mov_b32_e32 v3, 0
	v_mov_b32_e32 v2, 0
	s_and_saveexec_b64 s[18:19], vcc
	s_cbranch_execz .LBB4_3861
; %bb.3856:                             ;   in Loop: Header=BB4_2791 Depth=2
	v_cmp_ne_u16_sdwa vcc, v48, s71 src0_sel:BYTE_0 src1_sel:DWORD
	v_bfrev_b32_e32 v2, 1
	s_and_saveexec_b64 s[52:53], vcc
	s_cbranch_execz .LBB4_3860
; %bb.3857:                             ;   in Loop: Header=BB4_2791 Depth=2
	v_and_b32_e32 v21, 0x7f, v48
	v_cmp_ne_u32_e32 vcc, s69, v21
	v_mov_b32_e32 v2, 0x7f800001
	s_and_saveexec_b64 s[54:55], vcc
	s_cbranch_execz .LBB4_3859
; %bb.3858:                             ;   in Loop: Header=BB4_2791 Depth=2
	v_and_b32_e32 v2, 7, v48
	v_ffbh_u32_e32 v2, v2
	v_min_u32_e32 v2, 32, v2
	v_subrev_u32_e32 v30, 28, v2
	v_cmp_gt_u32_e32 vcc, 8, v21
	v_lshrrev_b32_e32 v25, 3, v21
	v_cndmask_b32_e32 v21, 0, v30, vcc
	v_sub_u32_e32 v2, 29, v2
	v_lshlrev_b64 v[30:31], v21, v[36:37]
	v_cndmask_b32_e32 v2, v25, v2, vcc
	v_lshlrev_b32_e32 v21, 20, v30
	v_lshlrev_b32_e32 v25, 24, v36
	v_and_b32_e32 v21, 0x700000, v21
	v_and_b32_e32 v25, 0x80000000, v25
	v_lshl_add_u32 v2, v2, 23, v55
	v_or3_b32 v2, v25, v2, v21
.LBB4_3859:                             ;   in Loop: Header=BB4_2791 Depth=2
	s_or_b64 exec, exec, s[54:55]
.LBB4_3860:                             ;   in Loop: Header=BB4_2791 Depth=2
	s_or_b64 exec, exec, s[52:53]
.LBB4_3861:                             ;   in Loop: Header=BB4_2791 Depth=2
	s_or_b64 exec, exec, s[18:19]
	v_cmp_ne_u16_sdwa vcc, v11, v37 src0_sel:BYTE_0 src1_sel:DWORD
	s_and_saveexec_b64 s[18:19], vcc
	s_cbranch_execz .LBB4_3867
; %bb.3862:                             ;   in Loop: Header=BB4_2791 Depth=2
	v_cmp_ne_u16_sdwa vcc, v11, s71 src0_sel:BYTE_0 src1_sel:DWORD
	v_bfrev_b32_e32 v3, 1
	s_and_saveexec_b64 s[52:53], vcc
	s_cbranch_execz .LBB4_3866
; %bb.3863:                             ;   in Loop: Header=BB4_2791 Depth=2
	v_and_b32_e32 v21, 0x7f, v11
	v_cmp_ne_u32_e32 vcc, s69, v21
	v_mov_b32_e32 v3, 0x7f800001
	s_and_saveexec_b64 s[54:55], vcc
	s_cbranch_execz .LBB4_3865
; %bb.3864:                             ;   in Loop: Header=BB4_2791 Depth=2
	v_and_b32_e32 v3, 7, v11
	v_ffbh_u32_e32 v3, v3
	v_min_u32_e32 v3, 32, v3
	v_subrev_u32_e32 v32, 28, v3
	v_cmp_gt_u32_e32 vcc, 8, v21
	v_mov_b32_e32 v30, v11
	v_mov_b32_e32 v31, v37
	v_lshrrev_b32_e32 v25, 3, v21
	v_cndmask_b32_e32 v21, 0, v32, vcc
	v_sub_u32_e32 v3, 29, v3
	v_lshlrev_b64 v[32:33], v21, v[30:31]
	v_cndmask_b32_e32 v3, v25, v3, vcc
	v_lshlrev_b32_e32 v21, 20, v32
	v_lshlrev_b32_e32 v25, 24, v30
	v_and_b32_e32 v21, 0x700000, v21
	v_and_b32_e32 v25, 0x80000000, v25
	v_lshl_add_u32 v3, v3, 23, v55
	v_or3_b32 v3, v25, v3, v21
.LBB4_3865:                             ;   in Loop: Header=BB4_2791 Depth=2
	s_or_b64 exec, exec, s[54:55]
.LBB4_3866:                             ;   in Loop: Header=BB4_2791 Depth=2
	s_or_b64 exec, exec, s[52:53]
.LBB4_3867:                             ;   in Loop: Header=BB4_2791 Depth=2
	s_or_b64 exec, exec, s[18:19]
	v_add_f32_e32 v31, v2, v3
	v_and_b32_sdwa v30, v31, s71 dst_sel:DWORD dst_unused:UNUSED_PAD src0_sel:BYTE_3 src1_sel:DWORD
	v_and_b32_e32 v32, 0x7f800000, v31
	v_mov_b32_e32 v33, v37
	v_and_b32_e32 v2, 0x7fffff, v31
	v_mov_b32_e32 v3, v37
	v_or_b32_e32 v21, 0x7e, v30
	v_cmp_ne_u64_e32 vcc, s[38:39], v[32:33]
	s_and_saveexec_b64 s[18:19], vcc
	s_xor_b64 s[52:53], exec, s[18:19]
	s_cbranch_execz .LBB4_3877
; %bb.3868:                             ;   in Loop: Header=BB4_2791 Depth=2
	v_and_b32_e32 v32, 0x7fffffff, v31
	v_mov_b32_e32 v33, v37
	v_cmp_gt_u64_e32 vcc, s[40:41], v[32:33]
	s_and_saveexec_b64 s[54:55], vcc
	s_cbranch_execz .LBB4_3876
; %bb.3869:                             ;   in Loop: Header=BB4_2791 Depth=2
	v_cmp_ne_u32_e32 vcc, 0, v31
	v_mov_b32_e32 v21, 0
	s_and_saveexec_b64 s[56:57], vcc
	s_cbranch_execz .LBB4_3875
; %bb.3870:                             ;   in Loop: Header=BB4_2791 Depth=2
	v_bfe_u32 v21, v31, 23, 8
	v_sub_u32_e32 v31, 0x79, v21
	v_cmp_gt_u32_e32 vcc, s72, v21
	v_add_u32_e32 v25, 0xffffff81, v21
	v_cndmask_b32_e32 v31, 0, v31, vcc
	v_cmp_eq_u32_e32 vcc, 0, v21
	v_mov_b32_e32 v21, 0xffffff82
	v_cndmask_b32_e32 v21, v25, v21, vcc
	v_mov_b32_e32 v25, 0x78
	v_cndmask_b32_e32 v25, v31, v25, vcc
	v_or_b32_e32 v32, 0x800000, v2
	v_add_u32_e32 v31, 20, v25
	v_cndmask_b32_e32 v2, v32, v2, vcc
	v_lshlrev_b64 v[32:33], v31, -1
	v_not_b32_e32 v31, v33
	v_not_b32_e32 v32, v32
	v_and_b32_e32 v35, 0, v31
	v_and_b32_e32 v34, v2, v32
	v_add_u32_e32 v31, 19, v25
	v_lshrrev_b64 v[2:3], v25, v[2:3]
	v_lshlrev_b64 v[50:51], v31, 1
	v_lshrrev_b32_e32 v31, 23, v2
	v_add3_u32 v32, v25, v21, v31
	v_bfe_u32 v21, v2, 20, 1
	v_add_u32_e32 v21, -1, v21
	v_cmp_eq_u64_e32 vcc, v[34:35], v[50:51]
	v_cndmask_b32_e32 v21, 0, v21, vcc
	v_add_u32_e32 v21, v21, v2
	v_and_b32_e32 v21, 0xfffff, v21
	v_add_co_u32_e32 v2, vcc, v21, v2
	v_add_u32_e32 v31, 6, v32
	v_addc_co_u32_e32 v3, vcc, 0, v3, vcc
	v_cmp_ne_u32_e32 vcc, 0, v31
                                        ; implicit-def: $vgpr21
	s_and_saveexec_b64 s[18:19], vcc
	s_xor_b64 s[18:19], exec, s[18:19]
; %bb.3871:                             ;   in Loop: Header=BB4_2791 Depth=2
	v_cmp_lt_u64_e32 vcc, s[44:45], v[2:3]
	v_add_u32_e32 v21, 7, v32
	v_cndmask_b32_e64 v25, 0, 1, vcc
	v_cndmask_b32_e32 v21, v31, v21, vcc
	v_lshrrev_b64 v[2:3], v25, v[2:3]
; %bb.3872:                             ;   in Loop: Header=BB4_2791 Depth=2
	s_andn2_saveexec_b64 s[18:19], s[18:19]
; %bb.3873:                             ;   in Loop: Header=BB4_2791 Depth=2
	v_bfe_u32 v21, v2, 23, 1
; %bb.3874:                             ;   in Loop: Header=BB4_2791 Depth=2
	s_or_b64 exec, exec, s[18:19]
	v_lshrrev_b64 v[2:3], 20, v[2:3]
	v_cmp_gt_i32_e32 vcc, 16, v21
	v_cndmask_b32_e32 v3, 0, v3, vcc
	v_cndmask_b32_e32 v2, 7, v2, vcc
	v_cmp_eq_u64_e64 s[18:19], 0, v[2:3]
	v_min_i32_e32 v3, 15, v21
	v_cmp_eq_u32_e32 vcc, 0, v21
	v_lshlrev_b32_e32 v3, 3, v3
	v_and_or_b32 v2, v2, 7, v3
	s_and_b64 s[18:19], vcc, s[18:19]
	v_cndmask_b32_e64 v2, v2, 0, s[18:19]
	v_or_b32_e32 v21, v2, v30
.LBB4_3875:                             ;   in Loop: Header=BB4_2791 Depth=2
	s_or_b64 exec, exec, s[56:57]
.LBB4_3876:                             ;   in Loop: Header=BB4_2791 Depth=2
	s_or_b64 exec, exec, s[54:55]
                                        ; implicit-def: $vgpr31
                                        ; implicit-def: $vgpr2_vgpr3
.LBB4_3877:                             ;   in Loop: Header=BB4_2791 Depth=2
	s_andn2_saveexec_b64 s[18:19], s[52:53]
; %bb.3878:                             ;   in Loop: Header=BB4_2791 Depth=2
	v_or_b32_sdwa v25, v31, s69 dst_sel:DWORD dst_unused:UNUSED_PAD src0_sel:BYTE_3 src1_sel:DWORD
	v_cmp_eq_u64_e32 vcc, 0, v[2:3]
	v_cndmask_b32_e32 v21, v25, v21, vcc
; %bb.3879:                             ;   in Loop: Header=BB4_2791 Depth=2
	s_or_b64 exec, exec, s[18:19]
	v_lshrrev_b16_e32 v2, 8, v14
	v_cmp_ne_u16_e32 vcc, 0, v2
	v_mov_b32_e32 v3, 0
	v_mov_b32_e32 v30, 0
	s_and_saveexec_b64 s[18:19], vcc
	s_cbranch_execz .LBB4_3885
; %bb.3880:                             ;   in Loop: Header=BB4_2791 Depth=2
	v_cmp_ne_u16_e32 vcc, s71, v2
	v_bfrev_b32_e32 v30, 1
	s_and_saveexec_b64 s[52:53], vcc
	s_cbranch_execz .LBB4_3884
; %bb.3881:                             ;   in Loop: Header=BB4_2791 Depth=2
	v_and_b32_e32 v31, 0x7f, v2
	v_cmp_ne_u32_e32 vcc, s69, v31
	v_mov_b32_e32 v30, 0x7f800001
	s_and_saveexec_b64 s[54:55], vcc
	s_cbranch_execz .LBB4_3883
; %bb.3882:                             ;   in Loop: Header=BB4_2791 Depth=2
	v_and_b32_e32 v25, 7, v2
	v_ffbh_u32_e32 v32, v25
	v_min_u32_e32 v34, 32, v32
	v_subrev_u32_e32 v32, 28, v34
	v_lshlrev_b64 v[32:33], v32, v[2:3]
	v_lshrrev_b32_e32 v30, 3, v31
	v_sub_u32_e32 v2, 29, v34
	v_and_b32_e32 v32, 7, v32
	v_cmp_gt_u32_e32 vcc, 8, v31
	v_cndmask_b32_e32 v2, v30, v2, vcc
	v_cndmask_b32_e32 v25, v25, v32, vcc
	v_lshlrev_b32_e32 v14, 16, v14
	v_lshlrev_b32_e32 v25, 20, v25
	v_and_b32_e32 v14, 0x80000000, v14
	v_lshl_add_u32 v2, v2, 23, v55
	v_or3_b32 v30, v14, v2, v25
.LBB4_3883:                             ;   in Loop: Header=BB4_2791 Depth=2
	s_or_b64 exec, exec, s[54:55]
.LBB4_3884:                             ;   in Loop: Header=BB4_2791 Depth=2
	s_or_b64 exec, exec, s[52:53]
.LBB4_3885:                             ;   in Loop: Header=BB4_2791 Depth=2
	s_or_b64 exec, exec, s[18:19]
	v_mov_b32_e32 v2, v11
	v_lshrrev_b16_e32 v14, 8, v2
	v_cmp_ne_u16_e32 vcc, 0, v14
	s_and_saveexec_b64 s[18:19], vcc
	s_cbranch_execz .LBB4_3891
; %bb.3886:                             ;   in Loop: Header=BB4_2791 Depth=2
	v_cmp_ne_u16_e32 vcc, s71, v14
	v_bfrev_b32_e32 v3, 1
	s_and_saveexec_b64 s[52:53], vcc
	s_cbranch_execz .LBB4_3890
; %bb.3887:                             ;   in Loop: Header=BB4_2791 Depth=2
	v_and_b32_e32 v31, 0x7f, v14
	v_cmp_ne_u32_e32 vcc, s69, v31
	v_mov_b32_e32 v3, 0x7f800001
	s_and_saveexec_b64 s[54:55], vcc
	s_cbranch_execz .LBB4_3889
; %bb.3888:                             ;   in Loop: Header=BB4_2791 Depth=2
	v_and_b32_e32 v3, 7, v14
	v_ffbh_u32_e32 v32, v3
	v_min_u32_e32 v34, 32, v32
	v_subrev_u32_e32 v32, 28, v34
	v_lshlrev_b64 v[32:33], v32, v[14:15]
	v_lshrrev_b32_e32 v25, 3, v31
	v_sub_u32_e32 v14, 29, v34
	v_and_b32_e32 v32, 7, v32
	v_cmp_gt_u32_e32 vcc, 8, v31
	v_cndmask_b32_e32 v14, v25, v14, vcc
	v_cndmask_b32_e32 v3, v3, v32, vcc
	v_lshlrev_b32_e32 v2, 16, v2
	v_lshlrev_b32_e32 v3, 20, v3
	v_and_b32_e32 v2, 0x80000000, v2
	v_lshl_add_u32 v14, v14, 23, v55
	v_or3_b32 v3, v2, v14, v3
.LBB4_3889:                             ;   in Loop: Header=BB4_2791 Depth=2
	s_or_b64 exec, exec, s[54:55]
.LBB4_3890:                             ;   in Loop: Header=BB4_2791 Depth=2
	s_or_b64 exec, exec, s[52:53]
.LBB4_3891:                             ;   in Loop: Header=BB4_2791 Depth=2
	s_or_b64 exec, exec, s[18:19]
	v_add_f32_e32 v31, v30, v3
	v_and_b32_sdwa v30, v31, s71 dst_sel:DWORD dst_unused:UNUSED_PAD src0_sel:BYTE_3 src1_sel:DWORD
	v_and_b32_e32 v32, 0x7f800000, v31
	v_mov_b32_e32 v33, v37
	v_and_b32_e32 v2, 0x7fffff, v31
	v_mov_b32_e32 v3, v37
	v_or_b32_e32 v14, 0x7e, v30
	v_cmp_ne_u64_e32 vcc, s[38:39], v[32:33]
	s_and_saveexec_b64 s[18:19], vcc
	s_xor_b64 s[52:53], exec, s[18:19]
	s_cbranch_execz .LBB4_3901
; %bb.3892:                             ;   in Loop: Header=BB4_2791 Depth=2
	v_and_b32_e32 v32, 0x7fffffff, v31
	v_mov_b32_e32 v33, v37
	v_cmp_gt_u64_e32 vcc, s[40:41], v[32:33]
	s_and_saveexec_b64 s[54:55], vcc
	s_cbranch_execz .LBB4_3900
; %bb.3893:                             ;   in Loop: Header=BB4_2791 Depth=2
	v_cmp_ne_u32_e32 vcc, 0, v31
	v_mov_b32_e32 v14, 0
	s_and_saveexec_b64 s[56:57], vcc
	s_cbranch_execz .LBB4_3899
; %bb.3894:                             ;   in Loop: Header=BB4_2791 Depth=2
	v_bfe_u32 v14, v31, 23, 8
	v_sub_u32_e32 v31, 0x79, v14
	v_cmp_gt_u32_e32 vcc, s72, v14
	v_add_u32_e32 v25, 0xffffff81, v14
	v_cndmask_b32_e32 v31, 0, v31, vcc
	v_cmp_eq_u32_e32 vcc, 0, v14
	v_mov_b32_e32 v14, 0xffffff82
	v_cndmask_b32_e32 v14, v25, v14, vcc
	v_mov_b32_e32 v25, 0x78
	v_cndmask_b32_e32 v25, v31, v25, vcc
	v_or_b32_e32 v32, 0x800000, v2
	v_add_u32_e32 v31, 20, v25
	v_cndmask_b32_e32 v2, v32, v2, vcc
	v_lshlrev_b64 v[32:33], v31, -1
	v_not_b32_e32 v31, v33
	v_not_b32_e32 v32, v32
	v_and_b32_e32 v35, 0, v31
	v_and_b32_e32 v34, v2, v32
	v_add_u32_e32 v31, 19, v25
	v_lshrrev_b64 v[2:3], v25, v[2:3]
	v_lshlrev_b64 v[50:51], v31, 1
	v_lshrrev_b32_e32 v31, 23, v2
	v_add3_u32 v32, v25, v14, v31
	v_bfe_u32 v14, v2, 20, 1
	v_add_u32_e32 v14, -1, v14
	v_cmp_eq_u64_e32 vcc, v[34:35], v[50:51]
	v_cndmask_b32_e32 v14, 0, v14, vcc
	v_add_u32_e32 v14, v14, v2
	v_and_b32_e32 v14, 0xfffff, v14
	v_add_co_u32_e32 v2, vcc, v14, v2
	v_add_u32_e32 v31, 6, v32
	v_addc_co_u32_e32 v3, vcc, 0, v3, vcc
	v_cmp_ne_u32_e32 vcc, 0, v31
                                        ; implicit-def: $vgpr14
	s_and_saveexec_b64 s[18:19], vcc
	s_xor_b64 s[18:19], exec, s[18:19]
; %bb.3895:                             ;   in Loop: Header=BB4_2791 Depth=2
	v_cmp_lt_u64_e32 vcc, s[44:45], v[2:3]
	v_add_u32_e32 v14, 7, v32
	v_cndmask_b32_e64 v25, 0, 1, vcc
	v_cndmask_b32_e32 v14, v31, v14, vcc
	v_lshrrev_b64 v[2:3], v25, v[2:3]
; %bb.3896:                             ;   in Loop: Header=BB4_2791 Depth=2
	s_andn2_saveexec_b64 s[18:19], s[18:19]
; %bb.3897:                             ;   in Loop: Header=BB4_2791 Depth=2
	v_bfe_u32 v14, v2, 23, 1
; %bb.3898:                             ;   in Loop: Header=BB4_2791 Depth=2
	s_or_b64 exec, exec, s[18:19]
	v_lshrrev_b64 v[2:3], 20, v[2:3]
	v_cmp_gt_i32_e32 vcc, 16, v14
	v_cndmask_b32_e32 v3, 0, v3, vcc
	v_cndmask_b32_e32 v2, 7, v2, vcc
	v_cmp_eq_u64_e64 s[18:19], 0, v[2:3]
	v_min_i32_e32 v3, 15, v14
	v_cmp_eq_u32_e32 vcc, 0, v14
	v_lshlrev_b32_e32 v3, 3, v3
	v_and_or_b32 v2, v2, 7, v3
	s_and_b64 s[18:19], vcc, s[18:19]
	v_cndmask_b32_e64 v2, v2, 0, s[18:19]
	v_or_b32_e32 v14, v2, v30
.LBB4_3899:                             ;   in Loop: Header=BB4_2791 Depth=2
	s_or_b64 exec, exec, s[56:57]
.LBB4_3900:                             ;   in Loop: Header=BB4_2791 Depth=2
	s_or_b64 exec, exec, s[54:55]
                                        ; implicit-def: $vgpr31
                                        ; implicit-def: $vgpr2_vgpr3
.LBB4_3901:                             ;   in Loop: Header=BB4_2791 Depth=2
	s_andn2_saveexec_b64 s[18:19], s[52:53]
; %bb.3902:                             ;   in Loop: Header=BB4_2791 Depth=2
	v_or_b32_sdwa v25, v31, s69 dst_sel:DWORD dst_unused:UNUSED_PAD src0_sel:BYTE_3 src1_sel:DWORD
	v_cmp_eq_u64_e32 vcc, 0, v[2:3]
	v_cndmask_b32_e32 v14, v25, v14, vcc
; %bb.3903:                             ;   in Loop: Header=BB4_2791 Depth=2
	s_or_b64 exec, exec, s[18:19]
	v_lshrrev_b32_e32 v2, 16, v36
	v_cmp_ne_u16_sdwa vcc, v2, v37 src0_sel:BYTE_0 src1_sel:DWORD
	v_mov_b32_e32 v3, 0
	v_mov_b32_e32 v30, 0
	s_and_saveexec_b64 s[18:19], vcc
	s_cbranch_execz .LBB4_3909
; %bb.3904:                             ;   in Loop: Header=BB4_2791 Depth=2
	v_cmp_ne_u16_sdwa vcc, v2, s71 src0_sel:BYTE_0 src1_sel:DWORD
	v_bfrev_b32_e32 v30, 1
	s_and_saveexec_b64 s[52:53], vcc
	s_cbranch_execz .LBB4_3908
; %bb.3905:                             ;   in Loop: Header=BB4_2791 Depth=2
	v_bfe_u32 v31, v36, 16, 7
	v_cmp_ne_u32_e32 vcc, s69, v31
	v_mov_b32_e32 v30, 0x7f800001
	s_and_saveexec_b64 s[54:55], vcc
	s_cbranch_execz .LBB4_3907
; %bb.3906:                             ;   in Loop: Header=BB4_2791 Depth=2
	v_and_b32_e32 v25, 7, v2
	v_ffbh_u32_e32 v32, v25
	v_min_u32_e32 v34, 32, v32
	v_subrev_u32_e32 v32, 28, v34
	v_lshlrev_b64 v[32:33], v32, v[2:3]
	v_lshrrev_b32_e32 v30, 3, v31
	v_sub_u32_e32 v33, 29, v34
	v_and_b32_e32 v32, 7, v32
	v_cmp_gt_u32_e32 vcc, 8, v31
	v_cndmask_b32_e32 v30, v30, v33, vcc
	v_cndmask_b32_e32 v25, v25, v32, vcc
	v_lshlrev_b32_e32 v2, 24, v2
	v_lshlrev_b32_e32 v25, 20, v25
	v_and_b32_e32 v2, 0x80000000, v2
	v_lshl_add_u32 v30, v30, 23, v55
	v_or3_b32 v30, v2, v30, v25
.LBB4_3907:                             ;   in Loop: Header=BB4_2791 Depth=2
	s_or_b64 exec, exec, s[54:55]
.LBB4_3908:                             ;   in Loop: Header=BB4_2791 Depth=2
	s_or_b64 exec, exec, s[52:53]
.LBB4_3909:                             ;   in Loop: Header=BB4_2791 Depth=2
	s_or_b64 exec, exec, s[18:19]
	v_lshrrev_b32_e32 v2, 16, v11
	v_cmp_ne_u16_sdwa vcc, v2, v37 src0_sel:BYTE_0 src1_sel:DWORD
	s_and_saveexec_b64 s[18:19], vcc
	s_cbranch_execz .LBB4_3915
; %bb.3910:                             ;   in Loop: Header=BB4_2791 Depth=2
	v_cmp_ne_u16_sdwa vcc, v2, s71 src0_sel:BYTE_0 src1_sel:DWORD
	v_bfrev_b32_e32 v3, 1
	s_and_saveexec_b64 s[52:53], vcc
	s_cbranch_execz .LBB4_3914
; %bb.3911:                             ;   in Loop: Header=BB4_2791 Depth=2
	v_bfe_u32 v31, v11, 16, 7
	v_cmp_ne_u32_e32 vcc, s69, v31
	v_mov_b32_e32 v3, 0x7f800001
	s_and_saveexec_b64 s[54:55], vcc
	s_cbranch_execz .LBB4_3913
; %bb.3912:                             ;   in Loop: Header=BB4_2791 Depth=2
	v_and_b32_e32 v25, 7, v2
	v_ffbh_u32_e32 v3, v25
	v_min_u32_e32 v33, 32, v3
	v_subrev_u32_e32 v3, 28, v33
	v_lshlrev_b64 v[2:3], v3, v[2:3]
	v_lshrrev_b32_e32 v32, 3, v31
	v_sub_u32_e32 v3, 29, v33
	v_and_b32_e32 v2, 7, v2
	v_cmp_gt_u32_e32 vcc, 8, v31
	v_cndmask_b32_e32 v3, v32, v3, vcc
	v_cndmask_b32_e32 v2, v25, v2, vcc
	v_lshlrev_b32_e32 v25, 8, v11
	v_lshlrev_b32_e32 v2, 20, v2
	v_and_b32_e32 v25, 0x80000000, v25
	v_lshl_add_u32 v3, v3, 23, v55
	v_or3_b32 v3, v25, v3, v2
.LBB4_3913:                             ;   in Loop: Header=BB4_2791 Depth=2
	s_or_b64 exec, exec, s[54:55]
.LBB4_3914:                             ;   in Loop: Header=BB4_2791 Depth=2
	s_or_b64 exec, exec, s[52:53]
.LBB4_3915:                             ;   in Loop: Header=BB4_2791 Depth=2
	s_or_b64 exec, exec, s[18:19]
	v_add_f32_e32 v32, v30, v3
	v_and_b32_sdwa v31, v32, s71 dst_sel:DWORD dst_unused:UNUSED_PAD src0_sel:BYTE_3 src1_sel:DWORD
	v_and_b32_e32 v34, 0x7f800000, v32
	v_mov_b32_e32 v35, v37
	v_and_b32_e32 v2, 0x7fffff, v32
	v_mov_b32_e32 v3, v37
	v_or_b32_e32 v30, 0x7e, v31
	v_cmp_ne_u64_e32 vcc, s[38:39], v[34:35]
	s_and_saveexec_b64 s[18:19], vcc
	s_xor_b64 s[52:53], exec, s[18:19]
	s_cbranch_execz .LBB4_3925
; %bb.3916:                             ;   in Loop: Header=BB4_2791 Depth=2
	v_and_b32_e32 v34, 0x7fffffff, v32
	v_mov_b32_e32 v35, v37
	v_cmp_gt_u64_e32 vcc, s[40:41], v[34:35]
	s_and_saveexec_b64 s[54:55], vcc
	s_cbranch_execz .LBB4_3924
; %bb.3917:                             ;   in Loop: Header=BB4_2791 Depth=2
	v_cmp_ne_u32_e32 vcc, 0, v32
	v_mov_b32_e32 v30, 0
	s_and_saveexec_b64 s[56:57], vcc
	s_cbranch_execz .LBB4_3923
; %bb.3918:                             ;   in Loop: Header=BB4_2791 Depth=2
	v_bfe_u32 v25, v32, 23, 8
	v_sub_u32_e32 v32, 0x79, v25
	v_cmp_gt_u32_e32 vcc, s72, v25
	v_add_u32_e32 v30, 0xffffff81, v25
	v_cndmask_b32_e32 v32, 0, v32, vcc
	v_cmp_eq_u32_e32 vcc, 0, v25
	v_mov_b32_e32 v25, 0xffffff82
	v_cndmask_b32_e32 v25, v30, v25, vcc
	v_mov_b32_e32 v30, 0x78
	v_cndmask_b32_e32 v30, v32, v30, vcc
	v_or_b32_e32 v33, 0x800000, v2
	v_add_u32_e32 v32, 20, v30
	v_cndmask_b32_e32 v2, v33, v2, vcc
	v_lshlrev_b64 v[32:33], v32, -1
	v_not_b32_e32 v32, v32
	v_and_b32_e32 v34, v2, v32
	v_add_u32_e32 v32, 19, v30
	v_lshrrev_b64 v[2:3], v30, v[2:3]
	v_not_b32_e32 v33, v33
	v_lshlrev_b64 v[50:51], v32, 1
	v_lshrrev_b32_e32 v32, 23, v2
	v_and_b32_e32 v35, 0, v33
	v_add3_u32 v33, v30, v25, v32
	v_bfe_u32 v25, v2, 20, 1
	v_add_u32_e32 v25, -1, v25
	v_cmp_eq_u64_e32 vcc, v[34:35], v[50:51]
	v_cndmask_b32_e32 v25, 0, v25, vcc
	v_add_u32_e32 v25, v25, v2
	v_and_b32_e32 v25, 0xfffff, v25
	v_add_co_u32_e32 v2, vcc, v25, v2
	v_add_u32_e32 v32, 6, v33
	v_addc_co_u32_e32 v3, vcc, 0, v3, vcc
	v_cmp_ne_u32_e32 vcc, 0, v32
                                        ; implicit-def: $vgpr30
	s_and_saveexec_b64 s[18:19], vcc
	s_xor_b64 s[18:19], exec, s[18:19]
; %bb.3919:                             ;   in Loop: Header=BB4_2791 Depth=2
	v_add_u32_e32 v25, 7, v33
	v_cmp_lt_u64_e32 vcc, s[44:45], v[2:3]
	v_cndmask_b32_e32 v30, v32, v25, vcc
	v_cndmask_b32_e64 v25, 0, 1, vcc
	v_lshrrev_b64 v[2:3], v25, v[2:3]
; %bb.3920:                             ;   in Loop: Header=BB4_2791 Depth=2
	s_andn2_saveexec_b64 s[18:19], s[18:19]
; %bb.3921:                             ;   in Loop: Header=BB4_2791 Depth=2
	v_bfe_u32 v30, v2, 23, 1
; %bb.3922:                             ;   in Loop: Header=BB4_2791 Depth=2
	s_or_b64 exec, exec, s[18:19]
	v_lshrrev_b64 v[2:3], 20, v[2:3]
	v_cmp_gt_i32_e32 vcc, 16, v30
	v_cndmask_b32_e32 v3, 0, v3, vcc
	v_cndmask_b32_e32 v2, 7, v2, vcc
	v_cmp_eq_u64_e64 s[18:19], 0, v[2:3]
	v_min_i32_e32 v3, 15, v30
	v_lshlrev_b32_e32 v3, 3, v3
	v_cmp_eq_u32_e32 vcc, 0, v30
	v_and_b32_e32 v3, 0xf8, v3
	v_and_or_b32 v2, v2, 7, v3
	s_and_b64 s[18:19], vcc, s[18:19]
	v_cndmask_b32_e64 v2, v2, 0, s[18:19]
	v_or_b32_e32 v30, v2, v31
.LBB4_3923:                             ;   in Loop: Header=BB4_2791 Depth=2
	s_or_b64 exec, exec, s[56:57]
.LBB4_3924:                             ;   in Loop: Header=BB4_2791 Depth=2
	s_or_b64 exec, exec, s[54:55]
                                        ; implicit-def: $vgpr32
                                        ; implicit-def: $vgpr2_vgpr3
.LBB4_3925:                             ;   in Loop: Header=BB4_2791 Depth=2
	s_andn2_saveexec_b64 s[18:19], s[52:53]
; %bb.3926:                             ;   in Loop: Header=BB4_2791 Depth=2
	v_or_b32_sdwa v25, v32, s69 dst_sel:DWORD dst_unused:UNUSED_PAD src0_sel:BYTE_3 src1_sel:DWORD
	v_cmp_eq_u64_e32 vcc, 0, v[2:3]
	v_cndmask_b32_e32 v30, v25, v30, vcc
; %bb.3927:                             ;   in Loop: Header=BB4_2791 Depth=2
	s_or_b64 exec, exec, s[18:19]
	v_cmp_lt_u32_e32 vcc, s43, v36
	v_mov_b32_e32 v3, 0
	v_mov_b32_e32 v31, 0
	s_and_saveexec_b64 s[18:19], vcc
	s_cbranch_execz .LBB4_3933
; %bb.3928:                             ;   in Loop: Header=BB4_2791 Depth=2
	v_lshrrev_b32_e32 v2, 24, v36
	v_cmp_ne_u32_sdwa vcc, v36, s71 src0_sel:BYTE_3 src1_sel:DWORD
	v_bfrev_b32_e32 v31, 1
	s_and_saveexec_b64 s[52:53], vcc
	s_cbranch_execz .LBB4_3932
; %bb.3929:                             ;   in Loop: Header=BB4_2791 Depth=2
	v_bfe_u32 v32, v36, 24, 7
	v_cmp_ne_u32_e32 vcc, s69, v32
	v_mov_b32_e32 v31, 0x7f800001
	s_and_saveexec_b64 s[54:55], vcc
	s_cbranch_execz .LBB4_3931
; %bb.3930:                             ;   in Loop: Header=BB4_2791 Depth=2
	v_and_b32_e32 v25, 7, v2
	v_ffbh_u32_e32 v33, v25
	v_min_u32_e32 v33, 32, v33
	v_subrev_u32_e32 v34, 28, v33
	v_lshrrev_b32_e32 v31, 3, v32
	v_lshlrev_b64 v[34:35], v34, v[2:3]
	v_sub_u32_e32 v2, 29, v33
	v_cmp_gt_u32_e32 vcc, 8, v32
	v_and_b32_e32 v33, 7, v34
	v_cndmask_b32_e32 v2, v31, v2, vcc
	v_mov_b32_e32 v31, 24
	v_cndmask_b32_e32 v25, v25, v33, vcc
	v_lshlrev_b32_sdwa v31, v31, v36 dst_sel:DWORD dst_unused:UNUSED_PAD src0_sel:DWORD src1_sel:BYTE_3
	v_lshlrev_b32_e32 v25, 20, v25
	v_and_b32_e32 v31, 0x80000000, v31
	v_lshl_add_u32 v2, v2, 23, v55
	v_or3_b32 v31, v31, v2, v25
.LBB4_3931:                             ;   in Loop: Header=BB4_2791 Depth=2
	s_or_b64 exec, exec, s[54:55]
.LBB4_3932:                             ;   in Loop: Header=BB4_2791 Depth=2
	s_or_b64 exec, exec, s[52:53]
.LBB4_3933:                             ;   in Loop: Header=BB4_2791 Depth=2
	s_or_b64 exec, exec, s[18:19]
	v_cmp_lt_u64_e32 vcc, s[42:43], v[10:11]
	s_and_saveexec_b64 s[18:19], vcc
	s_cbranch_execz .LBB4_3939
; %bb.3934:                             ;   in Loop: Header=BB4_2791 Depth=2
	v_lshrrev_b32_e32 v2, 24, v11
	v_cmp_ne_u32_e32 vcc, s71, v2
	v_bfrev_b32_e32 v3, 1
	s_and_saveexec_b64 s[52:53], vcc
	s_cbranch_execz .LBB4_3938
; %bb.3935:                             ;   in Loop: Header=BB4_2791 Depth=2
	v_bfe_u32 v10, v11, 24, 7
	v_cmp_ne_u32_e32 vcc, s69, v10
	v_mov_b32_e32 v3, 0x7f800001
	s_and_saveexec_b64 s[54:55], vcc
	s_cbranch_execz .LBB4_3937
; %bb.3936:                             ;   in Loop: Header=BB4_2791 Depth=2
	v_and_b32_e32 v3, 7, v2
	v_ffbh_u32_e32 v25, v3
	v_min_u32_e32 v25, 32, v25
	v_subrev_u32_e32 v32, 28, v25
	v_lshlrev_b64 v[32:33], v32, v[2:3]
	v_lshrrev_b32_e32 v11, 3, v10
	v_sub_u32_e32 v25, 29, v25
	v_and_b32_e32 v32, 7, v32
	v_cmp_gt_u32_e32 vcc, 8, v10
	v_cndmask_b32_e32 v10, v11, v25, vcc
	v_cndmask_b32_e32 v3, v3, v32, vcc
	v_lshlrev_b32_e32 v2, 24, v2
	v_lshlrev_b32_e32 v3, 20, v3
	v_and_b32_e32 v2, 0x80000000, v2
	v_lshl_add_u32 v10, v10, 23, v55
	v_or3_b32 v3, v2, v10, v3
.LBB4_3937:                             ;   in Loop: Header=BB4_2791 Depth=2
	s_or_b64 exec, exec, s[54:55]
.LBB4_3938:                             ;   in Loop: Header=BB4_2791 Depth=2
	s_or_b64 exec, exec, s[52:53]
.LBB4_3939:                             ;   in Loop: Header=BB4_2791 Depth=2
	s_or_b64 exec, exec, s[18:19]
	v_add_f32_e32 v2, v31, v3
	v_and_b32_sdwa v10, v2, s71 dst_sel:DWORD dst_unused:UNUSED_PAD src0_sel:BYTE_3 src1_sel:DWORD
	v_and_b32_e32 v32, 0x7f800000, v2
	v_mov_b32_e32 v33, v37
	v_and_b32_e32 v36, 0x7fffff, v2
	v_or_b32_e32 v11, 0x7e, v10
	v_cmp_ne_u64_e32 vcc, s[38:39], v[32:33]
	s_and_saveexec_b64 s[18:19], vcc
	s_xor_b64 s[52:53], exec, s[18:19]
	s_cbranch_execz .LBB4_3949
; %bb.3940:                             ;   in Loop: Header=BB4_2791 Depth=2
	v_and_b32_e32 v32, 0x7fffffff, v2
	v_mov_b32_e32 v33, v37
	v_cmp_gt_u64_e32 vcc, s[40:41], v[32:33]
	s_and_saveexec_b64 s[54:55], vcc
	s_cbranch_execz .LBB4_3948
; %bb.3941:                             ;   in Loop: Header=BB4_2791 Depth=2
	v_cmp_ne_u32_e32 vcc, 0, v2
	v_mov_b32_e32 v11, 0
	s_and_saveexec_b64 s[56:57], vcc
	s_cbranch_execz .LBB4_3947
; %bb.3942:                             ;   in Loop: Header=BB4_2791 Depth=2
	v_bfe_u32 v2, v2, 23, 8
	v_sub_u32_e32 v11, 0x79, v2
	v_cmp_gt_u32_e32 vcc, s72, v2
	v_add_u32_e32 v3, 0xffffff81, v2
	v_cndmask_b32_e32 v11, 0, v11, vcc
	v_cmp_eq_u32_e32 vcc, 0, v2
	v_mov_b32_e32 v2, 0xffffff82
	v_cndmask_b32_e32 v31, v3, v2, vcc
	v_mov_b32_e32 v2, 0x78
	v_or_b32_e32 v25, 0x800000, v36
	v_cndmask_b32_e32 v11, v11, v2, vcc
	v_cndmask_b32_e32 v36, v25, v36, vcc
	v_add_u32_e32 v2, 20, v11
	v_lshlrev_b64 v[2:3], v2, -1
	v_add_u32_e32 v25, 19, v11
	v_lshrrev_b64 v[50:51], v11, v[36:37]
	v_not_b32_e32 v3, v3
	v_not_b32_e32 v2, v2
	v_lshlrev_b64 v[34:35], v25, 1
	v_lshrrev_b32_e32 v25, 23, v50
	v_and_b32_e32 v3, 0, v3
	v_and_b32_e32 v2, v36, v2
	v_add3_u32 v32, v11, v31, v25
	v_bfe_u32 v11, v50, 20, 1
	v_add_u32_e32 v11, -1, v11
	v_cmp_eq_u64_e32 vcc, v[2:3], v[34:35]
	v_cndmask_b32_e32 v2, 0, v11, vcc
	v_add_u32_e32 v2, v2, v50
	v_and_b32_e32 v2, 0xfffff, v2
	v_add_co_u32_e32 v2, vcc, v2, v50
	v_add_u32_e32 v31, 6, v32
	v_addc_co_u32_e32 v3, vcc, 0, v51, vcc
	v_cmp_ne_u32_e32 vcc, 0, v31
                                        ; implicit-def: $vgpr11
	s_and_saveexec_b64 s[18:19], vcc
	s_xor_b64 s[18:19], exec, s[18:19]
; %bb.3943:                             ;   in Loop: Header=BB4_2791 Depth=2
	v_cmp_lt_u64_e32 vcc, s[44:45], v[2:3]
	v_add_u32_e32 v11, 7, v32
	v_cndmask_b32_e64 v25, 0, 1, vcc
	v_cndmask_b32_e32 v11, v31, v11, vcc
	v_lshrrev_b64 v[2:3], v25, v[2:3]
; %bb.3944:                             ;   in Loop: Header=BB4_2791 Depth=2
	s_andn2_saveexec_b64 s[18:19], s[18:19]
; %bb.3945:                             ;   in Loop: Header=BB4_2791 Depth=2
	v_bfe_u32 v11, v2, 23, 1
; %bb.3946:                             ;   in Loop: Header=BB4_2791 Depth=2
	s_or_b64 exec, exec, s[18:19]
	v_lshrrev_b64 v[2:3], 20, v[2:3]
	v_cmp_gt_i32_e32 vcc, 16, v11
	v_cndmask_b32_e32 v3, 0, v3, vcc
	v_cndmask_b32_e32 v2, 7, v2, vcc
	v_cmp_eq_u64_e64 s[18:19], 0, v[2:3]
	v_min_i32_e32 v3, 15, v11
	v_lshlrev_b32_e32 v3, 3, v3
	v_cmp_eq_u32_e32 vcc, 0, v11
	v_and_b32_e32 v3, 0xf8, v3
	v_and_or_b32 v2, v2, 7, v3
	s_and_b64 s[18:19], vcc, s[18:19]
	v_cndmask_b32_e64 v2, v2, 0, s[18:19]
	v_or_b32_e32 v11, v2, v10
.LBB4_3947:                             ;   in Loop: Header=BB4_2791 Depth=2
	s_or_b64 exec, exec, s[56:57]
.LBB4_3948:                             ;   in Loop: Header=BB4_2791 Depth=2
	s_or_b64 exec, exec, s[54:55]
                                        ; implicit-def: $vgpr2
.LBB4_3949:                             ;   in Loop: Header=BB4_2791 Depth=2
	s_andn2_saveexec_b64 s[18:19], s[52:53]
; %bb.3950:                             ;   in Loop: Header=BB4_2791 Depth=2
	v_or_b32_sdwa v2, v2, s69 dst_sel:DWORD dst_unused:UNUSED_PAD src0_sel:BYTE_3 src1_sel:DWORD
	v_cmp_eq_u64_e32 vcc, 0, v[36:37]
	v_cndmask_b32_e32 v11, v2, v11, vcc
; %bb.3951:                             ;   in Loop: Header=BB4_2791 Depth=2
	s_or_b64 exec, exec, s[18:19]
	v_lshlrev_b32_e32 v10, 8, v57
	v_cmp_ne_u16_sdwa vcc, v39, v37 src0_sel:BYTE_0 src1_sel:DWORD
	v_mov_b32_e32 v2, 0
	v_mov_b32_e32 v3, 0
	s_and_saveexec_b64 s[18:19], vcc
	s_cbranch_execz .LBB4_3957
; %bb.3952:                             ;   in Loop: Header=BB4_2791 Depth=2
	v_cmp_ne_u16_sdwa vcc, v39, s71 src0_sel:BYTE_0 src1_sel:DWORD
	v_bfrev_b32_e32 v3, 1
	s_and_saveexec_b64 s[52:53], vcc
	s_cbranch_execz .LBB4_3956
; %bb.3953:                             ;   in Loop: Header=BB4_2791 Depth=2
	v_and_b32_e32 v31, 0x7f, v39
	v_cmp_ne_u32_e32 vcc, s69, v31
	v_mov_b32_e32 v3, 0x7f800001
	s_and_saveexec_b64 s[54:55], vcc
	s_cbranch_execz .LBB4_3955
; %bb.3954:                             ;   in Loop: Header=BB4_2791 Depth=2
	v_and_b32_e32 v3, 7, v39
	v_ffbh_u32_e32 v3, v3
	v_min_u32_e32 v3, 32, v3
	v_lshrrev_b32_e32 v25, 3, v31
	v_subrev_u32_e32 v33, 28, v3
	v_sub_u32_e32 v3, 29, v3
	v_cmp_gt_u32_e32 vcc, 8, v31
	v_perm_b32 v32, v10, v39, s73
	v_cndmask_b32_e32 v3, v25, v3, vcc
	v_cndmask_b32_e32 v25, 0, v33, vcc
	v_lshlrev_b64 v[32:33], v25, v[32:33]
	v_lshlrev_b32_e32 v25, 20, v32
	v_lshlrev_b32_e32 v31, 24, v39
	v_and_b32_e32 v25, 0x700000, v25
	v_and_b32_e32 v31, 0x80000000, v31
	v_lshl_add_u32 v3, v3, 23, v55
	v_or3_b32 v3, v31, v3, v25
.LBB4_3955:                             ;   in Loop: Header=BB4_2791 Depth=2
	s_or_b64 exec, exec, s[54:55]
.LBB4_3956:                             ;   in Loop: Header=BB4_2791 Depth=2
	s_or_b64 exec, exec, s[52:53]
.LBB4_3957:                             ;   in Loop: Header=BB4_2791 Depth=2
	s_or_b64 exec, exec, s[18:19]
	v_cmp_ne_u16_sdwa vcc, v12, v37 src0_sel:BYTE_0 src1_sel:DWORD
	s_and_saveexec_b64 s[18:19], vcc
	s_cbranch_execz .LBB4_3963
; %bb.3958:                             ;   in Loop: Header=BB4_2791 Depth=2
	v_cmp_ne_u16_sdwa vcc, v12, s71 src0_sel:BYTE_0 src1_sel:DWORD
	v_bfrev_b32_e32 v2, 1
	s_and_saveexec_b64 s[52:53], vcc
	s_cbranch_execz .LBB4_3962
; %bb.3959:                             ;   in Loop: Header=BB4_2791 Depth=2
	v_and_b32_e32 v31, 0x7f, v12
	v_cmp_ne_u32_e32 vcc, s69, v31
	v_mov_b32_e32 v2, 0x7f800001
	s_and_saveexec_b64 s[54:55], vcc
	s_cbranch_execz .LBB4_3961
; %bb.3960:                             ;   in Loop: Header=BB4_2791 Depth=2
	v_and_b32_e32 v2, 7, v12
	v_ffbh_u32_e32 v2, v2
	v_min_u32_e32 v2, 32, v2
	v_lshrrev_b32_e32 v25, 3, v31
	v_subrev_u32_e32 v32, 28, v2
	v_sub_u32_e32 v2, 29, v2
	v_cmp_gt_u32_e32 vcc, 8, v31
	v_cndmask_b32_e32 v2, v25, v2, vcc
	v_cndmask_b32_e32 v25, 0, v32, vcc
	v_lshlrev_b64 v[32:33], v25, v[12:13]
	v_lshlrev_b32_e32 v25, 20, v32
	v_lshlrev_b32_e32 v31, 24, v12
	v_and_b32_e32 v25, 0x700000, v25
	v_and_b32_e32 v31, 0x80000000, v31
	v_lshl_add_u32 v2, v2, 23, v55
	v_or3_b32 v2, v31, v2, v25
.LBB4_3961:                             ;   in Loop: Header=BB4_2791 Depth=2
	s_or_b64 exec, exec, s[54:55]
.LBB4_3962:                             ;   in Loop: Header=BB4_2791 Depth=2
	s_or_b64 exec, exec, s[52:53]
.LBB4_3963:                             ;   in Loop: Header=BB4_2791 Depth=2
	s_or_b64 exec, exec, s[18:19]
	v_add_f32_e32 v2, v3, v2
	v_and_b32_sdwa v32, v2, s71 dst_sel:DWORD dst_unused:UNUSED_PAD src0_sel:BYTE_3 src1_sel:DWORD
	v_and_b32_e32 v34, 0x7f800000, v2
	v_mov_b32_e32 v35, v37
	v_and_b32_e32 v36, 0x7fffff, v2
	v_or_b32_e32 v31, 0x7e, v32
	v_cmp_ne_u64_e32 vcc, s[38:39], v[34:35]
	s_and_saveexec_b64 s[18:19], vcc
	s_xor_b64 s[52:53], exec, s[18:19]
	s_cbranch_execz .LBB4_3973
; %bb.3964:                             ;   in Loop: Header=BB4_2791 Depth=2
	v_and_b32_e32 v34, 0x7fffffff, v2
	v_mov_b32_e32 v35, v37
	v_cmp_gt_u64_e32 vcc, s[40:41], v[34:35]
	s_and_saveexec_b64 s[54:55], vcc
	s_cbranch_execz .LBB4_3972
; %bb.3965:                             ;   in Loop: Header=BB4_2791 Depth=2
	v_cmp_ne_u32_e32 vcc, 0, v2
	v_mov_b32_e32 v31, 0
	s_and_saveexec_b64 s[56:57], vcc
	s_cbranch_execz .LBB4_3971
; %bb.3966:                             ;   in Loop: Header=BB4_2791 Depth=2
	v_bfe_u32 v2, v2, 23, 8
	v_sub_u32_e32 v25, 0x79, v2
	v_cmp_gt_u32_e32 vcc, s72, v2
	v_add_u32_e32 v3, 0xffffff81, v2
	v_cndmask_b32_e32 v25, 0, v25, vcc
	v_cmp_eq_u32_e32 vcc, 0, v2
	v_mov_b32_e32 v2, 0xffffff82
	v_cndmask_b32_e32 v33, v3, v2, vcc
	v_mov_b32_e32 v2, 0x78
	v_or_b32_e32 v31, 0x800000, v36
	v_cndmask_b32_e32 v25, v25, v2, vcc
	v_cndmask_b32_e32 v36, v31, v36, vcc
	v_add_u32_e32 v2, 20, v25
	v_lshlrev_b64 v[2:3], v2, -1
	v_add_u32_e32 v31, 19, v25
	v_lshrrev_b64 v[54:55], v25, v[36:37]
	v_not_b32_e32 v3, v3
	v_not_b32_e32 v2, v2
	v_lshlrev_b64 v[50:51], v31, 1
	v_lshrrev_b32_e32 v31, 23, v54
	v_and_b32_e32 v3, 0, v3
	v_and_b32_e32 v2, v36, v2
	v_add3_u32 v34, v25, v33, v31
	v_bfe_u32 v25, v54, 20, 1
	v_add_u32_e32 v25, -1, v25
	v_cmp_eq_u64_e32 vcc, v[2:3], v[50:51]
	v_cndmask_b32_e32 v2, 0, v25, vcc
	v_add_u32_e32 v2, v2, v54
	v_and_b32_e32 v2, 0xfffff, v2
	v_add_co_u32_e32 v2, vcc, v2, v54
	v_add_u32_e32 v33, 6, v34
	v_addc_co_u32_e32 v3, vcc, 0, v55, vcc
	v_cmp_ne_u32_e32 vcc, 0, v33
                                        ; implicit-def: $vgpr31
	s_and_saveexec_b64 s[18:19], vcc
	s_xor_b64 s[18:19], exec, s[18:19]
; %bb.3967:                             ;   in Loop: Header=BB4_2791 Depth=2
	v_add_u32_e32 v25, 7, v34
	v_cmp_lt_u64_e32 vcc, s[44:45], v[2:3]
	v_cndmask_b32_e32 v31, v33, v25, vcc
	v_cndmask_b32_e64 v25, 0, 1, vcc
	v_lshrrev_b64 v[2:3], v25, v[2:3]
; %bb.3968:                             ;   in Loop: Header=BB4_2791 Depth=2
	s_andn2_saveexec_b64 s[18:19], s[18:19]
; %bb.3969:                             ;   in Loop: Header=BB4_2791 Depth=2
	v_bfe_u32 v31, v2, 23, 1
; %bb.3970:                             ;   in Loop: Header=BB4_2791 Depth=2
	s_or_b64 exec, exec, s[18:19]
	v_lshrrev_b64 v[2:3], 20, v[2:3]
	v_cmp_gt_i32_e32 vcc, 16, v31
	v_cndmask_b32_e32 v3, 0, v3, vcc
	v_cndmask_b32_e32 v2, 7, v2, vcc
	v_cmp_eq_u64_e64 s[18:19], 0, v[2:3]
	v_min_i32_e32 v3, 15, v31
	v_cmp_eq_u32_e32 vcc, 0, v31
	v_lshlrev_b32_e32 v3, 3, v3
	v_and_or_b32 v2, v2, 7, v3
	s_and_b64 s[18:19], vcc, s[18:19]
	v_cndmask_b32_e64 v2, v2, 0, s[18:19]
	v_or_b32_e32 v31, v2, v32
	v_bfrev_b32_e32 v55, 60
.LBB4_3971:                             ;   in Loop: Header=BB4_2791 Depth=2
	s_or_b64 exec, exec, s[56:57]
.LBB4_3972:                             ;   in Loop: Header=BB4_2791 Depth=2
	s_or_b64 exec, exec, s[54:55]
                                        ; implicit-def: $vgpr2
.LBB4_3973:                             ;   in Loop: Header=BB4_2791 Depth=2
	s_andn2_saveexec_b64 s[18:19], s[52:53]
; %bb.3974:                             ;   in Loop: Header=BB4_2791 Depth=2
	v_or_b32_sdwa v2, v2, s69 dst_sel:DWORD dst_unused:UNUSED_PAD src0_sel:BYTE_3 src1_sel:DWORD
	v_cmp_eq_u64_e32 vcc, 0, v[36:37]
	v_cndmask_b32_e32 v31, v2, v31, vcc
; %bb.3975:                             ;   in Loop: Header=BB4_2791 Depth=2
	s_or_b64 exec, exec, s[18:19]
	v_lshrrev_b16_e32 v2, 8, v10
	v_cmp_ne_u16_e32 vcc, 0, v2
	v_mov_b32_e32 v3, 0
	v_mov_b32_e32 v32, 0
	s_and_saveexec_b64 s[18:19], vcc
	s_cbranch_execz .LBB4_3981
; %bb.3976:                             ;   in Loop: Header=BB4_2791 Depth=2
	v_cmp_ne_u16_e32 vcc, s71, v2
	v_bfrev_b32_e32 v32, 1
	s_and_saveexec_b64 s[52:53], vcc
	s_cbranch_execz .LBB4_3980
; %bb.3977:                             ;   in Loop: Header=BB4_2791 Depth=2
	v_and_b32_e32 v33, 0x7f, v2
	v_cmp_ne_u32_e32 vcc, s69, v33
	v_mov_b32_e32 v32, 0x7f800001
	s_and_saveexec_b64 s[54:55], vcc
	s_cbranch_execz .LBB4_3979
; %bb.3978:                             ;   in Loop: Header=BB4_2791 Depth=2
	v_and_b32_e32 v25, 7, v2
	v_ffbh_u32_e32 v34, v25
	v_min_u32_e32 v36, 32, v34
	v_subrev_u32_e32 v34, 28, v36
	v_lshlrev_b64 v[34:35], v34, v[2:3]
	v_lshrrev_b32_e32 v32, 3, v33
	v_sub_u32_e32 v2, 29, v36
	v_and_b32_e32 v34, 7, v34
	v_cmp_gt_u32_e32 vcc, 8, v33
	v_cndmask_b32_e32 v2, v32, v2, vcc
	v_cndmask_b32_e32 v25, v25, v34, vcc
	v_lshlrev_b32_e32 v10, 16, v10
	v_lshlrev_b32_e32 v25, 20, v25
	v_and_b32_e32 v10, 0x80000000, v10
	v_lshl_add_u32 v2, v2, 23, v55
	v_or3_b32 v32, v10, v2, v25
.LBB4_3979:                             ;   in Loop: Header=BB4_2791 Depth=2
	s_or_b64 exec, exec, s[54:55]
.LBB4_3980:                             ;   in Loop: Header=BB4_2791 Depth=2
	s_or_b64 exec, exec, s[52:53]
.LBB4_3981:                             ;   in Loop: Header=BB4_2791 Depth=2
	s_or_b64 exec, exec, s[18:19]
	v_lshrrev_b16_e32 v2, 8, v12
	v_cmp_ne_u16_e32 vcc, 0, v2
	s_and_saveexec_b64 s[18:19], vcc
	s_cbranch_execz .LBB4_3987
; %bb.3982:                             ;   in Loop: Header=BB4_2791 Depth=2
	v_cmp_ne_u16_e32 vcc, s71, v2
	v_bfrev_b32_e32 v3, 1
	s_and_saveexec_b64 s[52:53], vcc
	s_cbranch_execz .LBB4_3986
; %bb.3983:                             ;   in Loop: Header=BB4_2791 Depth=2
	v_and_b32_e32 v10, 0x7f, v2
	v_cmp_ne_u32_e32 vcc, s69, v10
	v_mov_b32_e32 v3, 0x7f800001
	s_and_saveexec_b64 s[54:55], vcc
	s_cbranch_execz .LBB4_3985
; %bb.3984:                             ;   in Loop: Header=BB4_2791 Depth=2
	v_and_b32_e32 v25, 7, v2
	v_ffbh_u32_e32 v3, v25
	v_min_u32_e32 v34, 32, v3
	v_subrev_u32_e32 v3, 28, v34
	v_lshlrev_b64 v[2:3], v3, v[2:3]
	v_lshrrev_b32_e32 v33, 3, v10
	v_sub_u32_e32 v3, 29, v34
	v_and_b32_e32 v2, 7, v2
	v_cmp_gt_u32_e32 vcc, 8, v10
	v_cndmask_b32_e32 v3, v33, v3, vcc
	v_cndmask_b32_e32 v2, v25, v2, vcc
	v_lshlrev_b32_e32 v10, 16, v12
	v_lshlrev_b32_e32 v2, 20, v2
	v_and_b32_e32 v10, 0x80000000, v10
	v_lshl_add_u32 v3, v3, 23, v55
	v_or3_b32 v3, v10, v3, v2
.LBB4_3985:                             ;   in Loop: Header=BB4_2791 Depth=2
	s_or_b64 exec, exec, s[54:55]
.LBB4_3986:                             ;   in Loop: Header=BB4_2791 Depth=2
	s_or_b64 exec, exec, s[52:53]
.LBB4_3987:                             ;   in Loop: Header=BB4_2791 Depth=2
	s_or_b64 exec, exec, s[18:19]
	v_add_f32_e32 v2, v32, v3
	v_and_b32_sdwa v10, v2, s71 dst_sel:DWORD dst_unused:UNUSED_PAD src0_sel:BYTE_3 src1_sel:DWORD
	v_and_b32_e32 v34, 0x7f800000, v2
	v_mov_b32_e32 v35, v37
	v_and_b32_e32 v36, 0x7fffff, v2
	v_or_b32_e32 v32, 0x7e, v10
	v_cmp_ne_u64_e32 vcc, s[38:39], v[34:35]
	s_and_saveexec_b64 s[18:19], vcc
	s_xor_b64 s[52:53], exec, s[18:19]
	s_cbranch_execz .LBB4_3997
; %bb.3988:                             ;   in Loop: Header=BB4_2791 Depth=2
	v_and_b32_e32 v34, 0x7fffffff, v2
	v_mov_b32_e32 v35, v37
	v_cmp_gt_u64_e32 vcc, s[40:41], v[34:35]
	s_and_saveexec_b64 s[54:55], vcc
	s_cbranch_execz .LBB4_3996
; %bb.3989:                             ;   in Loop: Header=BB4_2791 Depth=2
	v_cmp_ne_u32_e32 vcc, 0, v2
	v_mov_b32_e32 v32, 0
	s_and_saveexec_b64 s[56:57], vcc
	s_cbranch_execz .LBB4_3995
; %bb.3990:                             ;   in Loop: Header=BB4_2791 Depth=2
	v_bfe_u32 v2, v2, 23, 8
	v_sub_u32_e32 v25, 0x79, v2
	v_cmp_gt_u32_e32 vcc, s72, v2
	v_add_u32_e32 v3, 0xffffff81, v2
	v_cndmask_b32_e32 v25, 0, v25, vcc
	v_cmp_eq_u32_e32 vcc, 0, v2
	v_mov_b32_e32 v2, 0xffffff82
	v_cndmask_b32_e32 v33, v3, v2, vcc
	v_mov_b32_e32 v2, 0x78
	v_or_b32_e32 v32, 0x800000, v36
	v_cndmask_b32_e32 v25, v25, v2, vcc
	v_cndmask_b32_e32 v36, v32, v36, vcc
	v_add_u32_e32 v2, 20, v25
	v_lshlrev_b64 v[2:3], v2, -1
	v_add_u32_e32 v32, 19, v25
	v_lshrrev_b64 v[54:55], v25, v[36:37]
	v_not_b32_e32 v3, v3
	v_not_b32_e32 v2, v2
	v_lshlrev_b64 v[50:51], v32, 1
	v_lshrrev_b32_e32 v32, 23, v54
	v_and_b32_e32 v3, 0, v3
	v_and_b32_e32 v2, v36, v2
	v_add3_u32 v34, v25, v33, v32
	v_bfe_u32 v25, v54, 20, 1
	v_add_u32_e32 v25, -1, v25
	v_cmp_eq_u64_e32 vcc, v[2:3], v[50:51]
	v_cndmask_b32_e32 v2, 0, v25, vcc
	v_add_u32_e32 v2, v2, v54
	v_and_b32_e32 v2, 0xfffff, v2
	v_add_co_u32_e32 v2, vcc, v2, v54
	v_add_u32_e32 v33, 6, v34
	v_addc_co_u32_e32 v3, vcc, 0, v55, vcc
	v_cmp_ne_u32_e32 vcc, 0, v33
                                        ; implicit-def: $vgpr32
	s_and_saveexec_b64 s[18:19], vcc
	s_xor_b64 s[18:19], exec, s[18:19]
; %bb.3991:                             ;   in Loop: Header=BB4_2791 Depth=2
	v_add_u32_e32 v25, 7, v34
	v_cmp_lt_u64_e32 vcc, s[44:45], v[2:3]
	v_cndmask_b32_e32 v32, v33, v25, vcc
	v_cndmask_b32_e64 v25, 0, 1, vcc
	v_lshrrev_b64 v[2:3], v25, v[2:3]
; %bb.3992:                             ;   in Loop: Header=BB4_2791 Depth=2
	s_andn2_saveexec_b64 s[18:19], s[18:19]
; %bb.3993:                             ;   in Loop: Header=BB4_2791 Depth=2
	v_bfe_u32 v32, v2, 23, 1
; %bb.3994:                             ;   in Loop: Header=BB4_2791 Depth=2
	s_or_b64 exec, exec, s[18:19]
	v_lshrrev_b64 v[2:3], 20, v[2:3]
	v_cmp_gt_i32_e32 vcc, 16, v32
	v_cndmask_b32_e32 v3, 0, v3, vcc
	v_cndmask_b32_e32 v2, 7, v2, vcc
	v_cmp_eq_u64_e64 s[18:19], 0, v[2:3]
	v_min_i32_e32 v3, 15, v32
	v_cmp_eq_u32_e32 vcc, 0, v32
	v_lshlrev_b32_e32 v3, 3, v3
	v_and_or_b32 v2, v2, 7, v3
	s_and_b64 s[18:19], vcc, s[18:19]
	v_cndmask_b32_e64 v2, v2, 0, s[18:19]
	v_or_b32_e32 v32, v2, v10
	v_bfrev_b32_e32 v55, 60
.LBB4_3995:                             ;   in Loop: Header=BB4_2791 Depth=2
	s_or_b64 exec, exec, s[56:57]
.LBB4_3996:                             ;   in Loop: Header=BB4_2791 Depth=2
	s_or_b64 exec, exec, s[54:55]
                                        ; implicit-def: $vgpr2
.LBB4_3997:                             ;   in Loop: Header=BB4_2791 Depth=2
	s_andn2_saveexec_b64 s[18:19], s[52:53]
; %bb.3998:                             ;   in Loop: Header=BB4_2791 Depth=2
	v_or_b32_sdwa v2, v2, s69 dst_sel:DWORD dst_unused:UNUSED_PAD src0_sel:BYTE_3 src1_sel:DWORD
	v_cmp_eq_u64_e32 vcc, 0, v[36:37]
	v_cndmask_b32_e32 v32, v2, v32, vcc
; %bb.3999:                             ;   in Loop: Header=BB4_2791 Depth=2
	s_or_b64 exec, exec, s[18:19]
	v_cmp_ne_u16_sdwa vcc, v46, v37 src0_sel:BYTE_0 src1_sel:DWORD
	v_mov_b32_e32 v3, 0
	v_mov_b32_e32 v10, 0
	s_and_saveexec_b64 s[18:19], vcc
	s_cbranch_execz .LBB4_4005
; %bb.4000:                             ;   in Loop: Header=BB4_2791 Depth=2
	v_cmp_ne_u16_sdwa vcc, v46, s71 src0_sel:BYTE_0 src1_sel:DWORD
	v_bfrev_b32_e32 v10, 1
	s_and_saveexec_b64 s[52:53], vcc
	s_cbranch_execz .LBB4_4004
; %bb.4001:                             ;   in Loop: Header=BB4_2791 Depth=2
	v_and_b32_e32 v2, 0x7f, v46
	v_cmp_ne_u32_e32 vcc, s69, v2
	v_mov_b32_e32 v10, 0x7f800001
	s_and_saveexec_b64 s[54:55], vcc
	s_cbranch_execz .LBB4_4003
; %bb.4002:                             ;   in Loop: Header=BB4_2791 Depth=2
	v_and_b32_e32 v10, 7, v46
	v_ffbh_u32_e32 v33, v10
	v_min_u32_e32 v33, 32, v33
	v_subrev_u32_e32 v34, 28, v33
	v_lshlrev_b64 v[34:35], v34, v[46:47]
	v_lshrrev_b32_e32 v25, 3, v2
	v_sub_u32_e32 v33, 29, v33
	v_and_b32_e32 v34, 7, v34
	v_cmp_gt_u32_e32 vcc, 8, v2
	v_cndmask_b32_e32 v2, v25, v33, vcc
	v_cndmask_b32_e32 v10, v10, v34, vcc
	v_lshlrev_b32_e32 v25, 24, v46
	v_lshlrev_b32_e32 v10, 20, v10
	v_and_b32_e32 v25, 0x80000000, v25
	v_lshl_add_u32 v2, v2, 23, v55
	v_or3_b32 v10, v25, v2, v10
.LBB4_4003:                             ;   in Loop: Header=BB4_2791 Depth=2
	s_or_b64 exec, exec, s[54:55]
.LBB4_4004:                             ;   in Loop: Header=BB4_2791 Depth=2
	s_or_b64 exec, exec, s[52:53]
.LBB4_4005:                             ;   in Loop: Header=BB4_2791 Depth=2
	s_or_b64 exec, exec, s[18:19]
	v_lshrrev_b32_e32 v2, 16, v12
	v_cmp_ne_u16_sdwa vcc, v2, v37 src0_sel:BYTE_0 src1_sel:DWORD
	s_and_saveexec_b64 s[18:19], vcc
	s_cbranch_execz .LBB4_4011
; %bb.4006:                             ;   in Loop: Header=BB4_2791 Depth=2
	v_cmp_ne_u16_sdwa vcc, v2, s71 src0_sel:BYTE_0 src1_sel:DWORD
	v_bfrev_b32_e32 v3, 1
	s_and_saveexec_b64 s[52:53], vcc
	s_cbranch_execz .LBB4_4010
; %bb.4007:                             ;   in Loop: Header=BB4_2791 Depth=2
	v_bfe_u32 v33, v12, 16, 7
	v_cmp_ne_u32_e32 vcc, s69, v33
	v_mov_b32_e32 v3, 0x7f800001
	s_and_saveexec_b64 s[54:55], vcc
	s_cbranch_execz .LBB4_4009
; %bb.4008:                             ;   in Loop: Header=BB4_2791 Depth=2
	v_and_b32_e32 v25, 7, v2
	v_ffbh_u32_e32 v3, v25
	v_min_u32_e32 v35, 32, v3
	v_subrev_u32_e32 v3, 28, v35
	v_lshlrev_b64 v[2:3], v3, v[2:3]
	v_lshrrev_b32_e32 v34, 3, v33
	v_sub_u32_e32 v3, 29, v35
	v_and_b32_e32 v2, 7, v2
	v_cmp_gt_u32_e32 vcc, 8, v33
	v_cndmask_b32_e32 v3, v34, v3, vcc
	v_cndmask_b32_e32 v2, v25, v2, vcc
	v_lshlrev_b32_e32 v25, 8, v12
	v_lshlrev_b32_e32 v2, 20, v2
	v_and_b32_e32 v25, 0x80000000, v25
	v_lshl_add_u32 v3, v3, 23, v55
	v_or3_b32 v3, v25, v3, v2
.LBB4_4009:                             ;   in Loop: Header=BB4_2791 Depth=2
	s_or_b64 exec, exec, s[54:55]
.LBB4_4010:                             ;   in Loop: Header=BB4_2791 Depth=2
	s_or_b64 exec, exec, s[52:53]
.LBB4_4011:                             ;   in Loop: Header=BB4_2791 Depth=2
	s_or_b64 exec, exec, s[18:19]
	v_add_f32_e32 v2, v10, v3
	v_and_b32_sdwa v10, v2, s71 dst_sel:DWORD dst_unused:UNUSED_PAD src0_sel:BYTE_3 src1_sel:DWORD
	v_and_b32_e32 v34, 0x7f800000, v2
	v_mov_b32_e32 v35, v37
	v_and_b32_e32 v36, 0x7fffff, v2
	v_or_b32_e32 v33, 0x7e, v10
	v_cmp_ne_u64_e32 vcc, s[38:39], v[34:35]
	s_and_saveexec_b64 s[18:19], vcc
	s_xor_b64 s[52:53], exec, s[18:19]
	s_cbranch_execz .LBB4_4021
; %bb.4012:                             ;   in Loop: Header=BB4_2791 Depth=2
	v_and_b32_e32 v34, 0x7fffffff, v2
	v_mov_b32_e32 v35, v37
	v_cmp_gt_u64_e32 vcc, s[40:41], v[34:35]
	s_and_saveexec_b64 s[54:55], vcc
	s_cbranch_execz .LBB4_4020
; %bb.4013:                             ;   in Loop: Header=BB4_2791 Depth=2
	v_cmp_ne_u32_e32 vcc, 0, v2
	v_mov_b32_e32 v33, 0
	s_and_saveexec_b64 s[56:57], vcc
	s_cbranch_execz .LBB4_4019
; %bb.4014:                             ;   in Loop: Header=BB4_2791 Depth=2
	v_bfe_u32 v2, v2, 23, 8
	v_sub_u32_e32 v25, 0x79, v2
	v_cmp_gt_u32_e32 vcc, s72, v2
	v_add_u32_e32 v3, 0xffffff81, v2
	v_cndmask_b32_e32 v25, 0, v25, vcc
	v_cmp_eq_u32_e32 vcc, 0, v2
	v_mov_b32_e32 v2, 0xffffff82
	v_cndmask_b32_e32 v34, v3, v2, vcc
	v_mov_b32_e32 v2, 0x78
	v_or_b32_e32 v33, 0x800000, v36
	v_cndmask_b32_e32 v25, v25, v2, vcc
	v_cndmask_b32_e32 v36, v33, v36, vcc
	v_add_u32_e32 v2, 20, v25
	v_lshlrev_b64 v[2:3], v2, -1
	v_add_u32_e32 v33, 19, v25
	v_lshrrev_b64 v[54:55], v25, v[36:37]
	v_not_b32_e32 v3, v3
	v_not_b32_e32 v2, v2
	v_lshlrev_b64 v[50:51], v33, 1
	v_lshrrev_b32_e32 v33, 23, v54
	v_and_b32_e32 v3, 0, v3
	v_and_b32_e32 v2, v36, v2
	v_add3_u32 v35, v25, v34, v33
	v_bfe_u32 v25, v54, 20, 1
	v_add_u32_e32 v25, -1, v25
	v_cmp_eq_u64_e32 vcc, v[2:3], v[50:51]
	v_cndmask_b32_e32 v2, 0, v25, vcc
	v_add_u32_e32 v2, v2, v54
	v_and_b32_e32 v2, 0xfffff, v2
	v_add_co_u32_e32 v2, vcc, v2, v54
	v_add_u32_e32 v34, 6, v35
	v_addc_co_u32_e32 v3, vcc, 0, v55, vcc
	v_cmp_ne_u32_e32 vcc, 0, v34
                                        ; implicit-def: $vgpr33
	s_and_saveexec_b64 s[18:19], vcc
	s_xor_b64 s[18:19], exec, s[18:19]
; %bb.4015:                             ;   in Loop: Header=BB4_2791 Depth=2
	v_add_u32_e32 v25, 7, v35
	v_cmp_lt_u64_e32 vcc, s[44:45], v[2:3]
	v_cndmask_b32_e32 v33, v34, v25, vcc
	v_cndmask_b32_e64 v25, 0, 1, vcc
	v_lshrrev_b64 v[2:3], v25, v[2:3]
; %bb.4016:                             ;   in Loop: Header=BB4_2791 Depth=2
	s_andn2_saveexec_b64 s[18:19], s[18:19]
; %bb.4017:                             ;   in Loop: Header=BB4_2791 Depth=2
	v_bfe_u32 v33, v2, 23, 1
; %bb.4018:                             ;   in Loop: Header=BB4_2791 Depth=2
	s_or_b64 exec, exec, s[18:19]
	v_lshrrev_b64 v[2:3], 20, v[2:3]
	v_cmp_gt_i32_e32 vcc, 16, v33
	v_cndmask_b32_e32 v3, 0, v3, vcc
	v_cndmask_b32_e32 v2, 7, v2, vcc
	v_cmp_eq_u64_e64 s[18:19], 0, v[2:3]
	v_min_i32_e32 v3, 15, v33
	v_cmp_eq_u32_e32 vcc, 0, v33
	v_lshlrev_b32_e32 v3, 3, v3
	v_and_or_b32 v2, v2, 7, v3
	s_and_b64 s[18:19], vcc, s[18:19]
	v_cndmask_b32_e64 v2, v2, 0, s[18:19]
	v_or_b32_e32 v33, v2, v10
	v_bfrev_b32_e32 v55, 60
.LBB4_4019:                             ;   in Loop: Header=BB4_2791 Depth=2
	s_or_b64 exec, exec, s[56:57]
.LBB4_4020:                             ;   in Loop: Header=BB4_2791 Depth=2
	s_or_b64 exec, exec, s[54:55]
                                        ; implicit-def: $vgpr2
.LBB4_4021:                             ;   in Loop: Header=BB4_2791 Depth=2
	s_andn2_saveexec_b64 s[18:19], s[52:53]
; %bb.4022:                             ;   in Loop: Header=BB4_2791 Depth=2
	v_or_b32_sdwa v2, v2, s69 dst_sel:DWORD dst_unused:UNUSED_PAD src0_sel:BYTE_3 src1_sel:DWORD
	v_cmp_eq_u64_e32 vcc, 0, v[36:37]
	v_cndmask_b32_e32 v33, v2, v33, vcc
; %bb.4023:                             ;   in Loop: Header=BB4_2791 Depth=2
	s_or_b64 exec, exec, s[18:19]
	v_lshlrev_b32_e32 v0, 8, v0
	v_and_b32_e32 v2, 0xff00, v0
	v_cmp_ne_u32_e32 vcc, 0, v2
	v_mov_b32_e32 v0, 0
	v_mov_b32_e32 v3, 0
	s_and_saveexec_b64 s[18:19], vcc
	s_cbranch_execz .LBB4_4029
; %bb.4024:                             ;   in Loop: Header=BB4_2791 Depth=2
	v_cmp_ne_u32_e32 vcc, s74, v2
	v_bfrev_b32_e32 v3, 1
	s_and_saveexec_b64 s[52:53], vcc
	s_cbranch_execz .LBB4_4028
; %bb.4025:                             ;   in Loop: Header=BB4_2791 Depth=2
	v_bfe_u32 v10, v2, 8, 7
	v_cmp_ne_u32_e32 vcc, s69, v10
	v_mov_b32_e32 v3, 0x7f800001
	s_and_saveexec_b64 s[54:55], vcc
	s_cbranch_execz .LBB4_4027
; %bb.4026:                             ;   in Loop: Header=BB4_2791 Depth=2
	v_lshrrev_b32_e32 v34, 8, v2
	v_and_b32_e32 v3, 7, v34
	v_ffbh_u32_e32 v35, v3
	v_min_u32_e32 v36, 32, v35
	v_subrev_u32_e32 v35, 28, v36
	v_lshlrev_b64 v[34:35], v35, v[34:35]
	v_lshrrev_b32_e32 v25, 3, v10
	v_sub_u32_e32 v35, 29, v36
	v_and_b32_e32 v34, 7, v34
	v_cmp_gt_u32_e32 vcc, 8, v10
	v_cndmask_b32_e32 v10, v25, v35, vcc
	v_cndmask_b32_e32 v3, v3, v34, vcc
	v_lshlrev_b32_e32 v2, 16, v2
	v_lshlrev_b32_e32 v3, 20, v3
	v_and_b32_e32 v2, 0x80000000, v2
	v_lshl_add_u32 v10, v10, 23, v55
	v_or3_b32 v3, v2, v10, v3
.LBB4_4027:                             ;   in Loop: Header=BB4_2791 Depth=2
	s_or_b64 exec, exec, s[54:55]
.LBB4_4028:                             ;   in Loop: Header=BB4_2791 Depth=2
	s_or_b64 exec, exec, s[52:53]
.LBB4_4029:                             ;   in Loop: Header=BB4_2791 Depth=2
	s_or_b64 exec, exec, s[18:19]
	v_cmp_lt_u32_e32 vcc, s43, v12
	s_and_saveexec_b64 s[18:19], vcc
	s_cbranch_execz .LBB4_4035
; %bb.4030:                             ;   in Loop: Header=BB4_2791 Depth=2
	v_lshrrev_b32_e32 v2, 24, v12
	v_cmp_ne_u32_e32 vcc, s71, v2
	v_bfrev_b32_e32 v0, 1
	s_and_saveexec_b64 s[52:53], vcc
	s_cbranch_execz .LBB4_4034
; %bb.4031:                             ;   in Loop: Header=BB4_2791 Depth=2
	v_bfe_u32 v10, v12, 24, 7
	v_cmp_ne_u32_e32 vcc, s69, v10
	v_mov_b32_e32 v0, 0x7f800001
	s_and_saveexec_b64 s[54:55], vcc
	s_cbranch_execz .LBB4_4033
; %bb.4032:                             ;   in Loop: Header=BB4_2791 Depth=2
	v_and_b32_e32 v0, 7, v2
	v_ffbh_u32_e32 v34, v0
	v_min_u32_e32 v36, 32, v34
	v_subrev_u32_e32 v34, 28, v36
	v_lshlrev_b64 v[34:35], v34, v[2:3]
	v_lshrrev_b32_e32 v25, 3, v10
	v_sub_u32_e32 v35, 29, v36
	v_and_b32_e32 v34, 7, v34
	v_cmp_gt_u32_e32 vcc, 8, v10
	v_cndmask_b32_e32 v10, v25, v35, vcc
	v_cndmask_b32_e32 v0, v0, v34, vcc
	v_lshlrev_b32_e32 v2, 24, v2
	v_lshlrev_b32_e32 v0, 20, v0
	v_and_b32_e32 v2, 0x80000000, v2
	v_lshl_add_u32 v10, v10, 23, v55
	v_or3_b32 v0, v2, v10, v0
.LBB4_4033:                             ;   in Loop: Header=BB4_2791 Depth=2
	s_or_b64 exec, exec, s[54:55]
.LBB4_4034:                             ;   in Loop: Header=BB4_2791 Depth=2
	s_or_b64 exec, exec, s[52:53]
.LBB4_4035:                             ;   in Loop: Header=BB4_2791 Depth=2
	s_or_b64 exec, exec, s[18:19]
	v_add_f32_e32 v2, v3, v0
	v_and_b32_sdwa v10, v2, s71 dst_sel:DWORD dst_unused:UNUSED_PAD src0_sel:BYTE_3 src1_sel:DWORD
	v_and_b32_e32 v34, 0x7f800000, v2
	v_mov_b32_e32 v35, v37
	v_and_b32_e32 v36, 0x7fffff, v2
	v_or_b32_e32 v0, 0x7e, v10
	v_cmp_ne_u64_e32 vcc, s[38:39], v[34:35]
	s_and_saveexec_b64 s[18:19], vcc
	s_xor_b64 s[52:53], exec, s[18:19]
	s_cbranch_execz .LBB4_4045
; %bb.4036:                             ;   in Loop: Header=BB4_2791 Depth=2
	v_and_b32_e32 v34, 0x7fffffff, v2
	v_mov_b32_e32 v35, v37
	v_cmp_gt_u64_e32 vcc, s[40:41], v[34:35]
	s_and_saveexec_b64 s[54:55], vcc
	s_cbranch_execz .LBB4_4044
; %bb.4037:                             ;   in Loop: Header=BB4_2791 Depth=2
	v_cmp_ne_u32_e32 vcc, 0, v2
	v_mov_b32_e32 v0, 0
	s_and_saveexec_b64 s[56:57], vcc
	s_cbranch_execz .LBB4_4043
; %bb.4038:                             ;   in Loop: Header=BB4_2791 Depth=2
	v_bfe_u32 v0, v2, 23, 8
	v_sub_u32_e32 v3, 0x79, v0
	v_cmp_gt_u32_e32 vcc, s72, v0
	v_add_u32_e32 v2, 0xffffff81, v0
	v_cndmask_b32_e32 v3, 0, v3, vcc
	v_cmp_eq_u32_e32 vcc, 0, v0
	v_mov_b32_e32 v0, 0xffffff82
	v_cndmask_b32_e32 v0, v2, v0, vcc
	v_mov_b32_e32 v2, 0x78
	v_or_b32_e32 v25, 0x800000, v36
	v_cndmask_b32_e32 v34, v3, v2, vcc
	v_cndmask_b32_e32 v36, v25, v36, vcc
	v_add_u32_e32 v2, 20, v34
	v_lshlrev_b64 v[2:3], v2, -1
	v_add_u32_e32 v25, 19, v34
	v_lshrrev_b64 v[54:55], v34, v[36:37]
	v_not_b32_e32 v3, v3
	v_not_b32_e32 v2, v2
	v_lshlrev_b64 v[50:51], v25, 1
	v_lshrrev_b32_e32 v25, 23, v54
	v_and_b32_e32 v3, 0, v3
	v_and_b32_e32 v2, v36, v2
	v_add3_u32 v35, v34, v0, v25
	v_bfe_u32 v0, v54, 20, 1
	v_add_u32_e32 v0, -1, v0
	v_cmp_eq_u64_e32 vcc, v[2:3], v[50:51]
	v_cndmask_b32_e32 v0, 0, v0, vcc
	v_add_u32_e32 v0, v0, v54
	v_and_b32_e32 v0, 0xfffff, v0
	v_add_co_u32_e32 v2, vcc, v0, v54
	v_add_u32_e32 v34, 6, v35
	v_addc_co_u32_e32 v3, vcc, 0, v55, vcc
	v_cmp_ne_u32_e32 vcc, 0, v34
                                        ; implicit-def: $vgpr0
	s_and_saveexec_b64 s[18:19], vcc
	s_xor_b64 s[18:19], exec, s[18:19]
; %bb.4039:                             ;   in Loop: Header=BB4_2791 Depth=2
	v_cmp_lt_u64_e32 vcc, s[44:45], v[2:3]
	v_add_u32_e32 v0, 7, v35
	v_cndmask_b32_e64 v25, 0, 1, vcc
	v_cndmask_b32_e32 v0, v34, v0, vcc
	v_lshrrev_b64 v[2:3], v25, v[2:3]
; %bb.4040:                             ;   in Loop: Header=BB4_2791 Depth=2
	s_andn2_saveexec_b64 s[18:19], s[18:19]
; %bb.4041:                             ;   in Loop: Header=BB4_2791 Depth=2
	v_bfe_u32 v0, v2, 23, 1
; %bb.4042:                             ;   in Loop: Header=BB4_2791 Depth=2
	s_or_b64 exec, exec, s[18:19]
	v_lshrrev_b64 v[2:3], 20, v[2:3]
	v_cmp_gt_i32_e32 vcc, 16, v0
	v_cndmask_b32_e32 v3, 0, v3, vcc
	v_cndmask_b32_e32 v2, 7, v2, vcc
	v_cmp_eq_u32_e32 vcc, 0, v0
	v_min_i32_e32 v0, 15, v0
	v_cmp_eq_u64_e64 s[18:19], 0, v[2:3]
	v_lshlrev_b32_e32 v0, 3, v0
	v_and_or_b32 v0, v2, 7, v0
	s_and_b64 s[18:19], vcc, s[18:19]
	v_cndmask_b32_e64 v0, v0, 0, s[18:19]
	v_or_b32_e32 v0, v0, v10
	v_bfrev_b32_e32 v55, 60
.LBB4_4043:                             ;   in Loop: Header=BB4_2791 Depth=2
	s_or_b64 exec, exec, s[56:57]
.LBB4_4044:                             ;   in Loop: Header=BB4_2791 Depth=2
	s_or_b64 exec, exec, s[54:55]
                                        ; implicit-def: $vgpr2
.LBB4_4045:                             ;   in Loop: Header=BB4_2791 Depth=2
	s_andn2_saveexec_b64 s[18:19], s[52:53]
; %bb.4046:                             ;   in Loop: Header=BB4_2791 Depth=2
	v_or_b32_sdwa v2, v2, s69 dst_sel:DWORD dst_unused:UNUSED_PAD src0_sel:BYTE_3 src1_sel:DWORD
	v_cmp_eq_u64_e32 vcc, 0, v[36:37]
	v_cndmask_b32_e32 v0, v2, v0, vcc
; %bb.4047:                             ;   in Loop: Header=BB4_2791 Depth=2
	s_or_b64 exec, exec, s[18:19]
	v_lshlrev_b32_e32 v10, 8, v26
	v_lshlrev_b32_e32 v2, 24, v49
	v_perm_b32 v3, v47, v19, s75
	v_or3_b32 v36, v3, v2, v10
	v_cmp_ne_u16_sdwa vcc, v19, v37 src0_sel:BYTE_0 src1_sel:DWORD
	v_mov_b32_e32 v3, 0
	v_mov_b32_e32 v2, 0
	s_and_saveexec_b64 s[18:19], vcc
	s_cbranch_execz .LBB4_4053
; %bb.4048:                             ;   in Loop: Header=BB4_2791 Depth=2
	v_cmp_ne_u16_sdwa vcc, v19, s71 src0_sel:BYTE_0 src1_sel:DWORD
	v_bfrev_b32_e32 v2, 1
	s_and_saveexec_b64 s[52:53], vcc
	s_cbranch_execz .LBB4_4052
; %bb.4049:                             ;   in Loop: Header=BB4_2791 Depth=2
	v_and_b32_e32 v26, 0x7f, v19
	v_cmp_ne_u32_e32 vcc, s69, v26
	v_mov_b32_e32 v2, 0x7f800001
	s_and_saveexec_b64 s[54:55], vcc
	s_cbranch_execz .LBB4_4051
; %bb.4050:                             ;   in Loop: Header=BB4_2791 Depth=2
	v_and_b32_e32 v2, 7, v19
	v_ffbh_u32_e32 v2, v2
	v_min_u32_e32 v2, 32, v2
	v_lshrrev_b32_e32 v19, 3, v26
	v_subrev_u32_e32 v25, 28, v2
	v_sub_u32_e32 v2, 29, v2
	v_cmp_gt_u32_e32 vcc, 8, v26
	v_cndmask_b32_e32 v2, v19, v2, vcc
	v_cndmask_b32_e32 v19, 0, v25, vcc
	v_lshlrev_b64 v[34:35], v19, v[36:37]
	v_lshlrev_b32_e32 v19, 20, v34
	v_lshlrev_b32_e32 v25, 24, v36
	v_and_b32_e32 v19, 0x700000, v19
	v_and_b32_e32 v25, 0x80000000, v25
	v_lshl_add_u32 v2, v2, 23, v55
	v_or3_b32 v2, v25, v2, v19
.LBB4_4051:                             ;   in Loop: Header=BB4_2791 Depth=2
	s_or_b64 exec, exec, s[54:55]
.LBB4_4052:                             ;   in Loop: Header=BB4_2791 Depth=2
	s_or_b64 exec, exec, s[52:53]
.LBB4_4053:                             ;   in Loop: Header=BB4_2791 Depth=2
	s_or_b64 exec, exec, s[18:19]
	v_cmp_ne_u16_sdwa vcc, v13, v37 src0_sel:BYTE_0 src1_sel:DWORD
	s_and_saveexec_b64 s[18:19], vcc
	s_cbranch_execz .LBB4_4059
; %bb.4054:                             ;   in Loop: Header=BB4_2791 Depth=2
	v_cmp_ne_u16_sdwa vcc, v13, s71 src0_sel:BYTE_0 src1_sel:DWORD
	v_bfrev_b32_e32 v3, 1
	s_and_saveexec_b64 s[52:53], vcc
	s_cbranch_execz .LBB4_4058
; %bb.4055:                             ;   in Loop: Header=BB4_2791 Depth=2
	v_and_b32_e32 v19, 0x7f, v13
	v_cmp_ne_u32_e32 vcc, s69, v19
	v_mov_b32_e32 v3, 0x7f800001
	s_and_saveexec_b64 s[54:55], vcc
	s_cbranch_execz .LBB4_4057
; %bb.4056:                             ;   in Loop: Header=BB4_2791 Depth=2
	v_and_b32_e32 v3, 7, v13
	v_ffbh_u32_e32 v3, v3
	v_min_u32_e32 v3, 32, v3
	v_subrev_u32_e32 v26, 28, v3
	v_cmp_gt_u32_e32 vcc, 8, v19
	v_mov_b32_e32 v34, v13
	v_mov_b32_e32 v35, v37
	v_lshrrev_b32_e32 v25, 3, v19
	v_cndmask_b32_e32 v19, 0, v26, vcc
	v_sub_u32_e32 v3, 29, v3
	v_lshlrev_b64 v[48:49], v19, v[34:35]
	v_cndmask_b32_e32 v3, v25, v3, vcc
	v_lshlrev_b32_e32 v19, 20, v48
	v_lshlrev_b32_e32 v25, 24, v34
	v_and_b32_e32 v19, 0x700000, v19
	v_and_b32_e32 v25, 0x80000000, v25
	v_lshl_add_u32 v3, v3, 23, v55
	v_or3_b32 v3, v25, v3, v19
.LBB4_4057:                             ;   in Loop: Header=BB4_2791 Depth=2
	s_or_b64 exec, exec, s[54:55]
.LBB4_4058:                             ;   in Loop: Header=BB4_2791 Depth=2
	s_or_b64 exec, exec, s[52:53]
.LBB4_4059:                             ;   in Loop: Header=BB4_2791 Depth=2
	s_or_b64 exec, exec, s[18:19]
	v_add_f32_e32 v34, v2, v3
	v_and_b32_sdwa v26, v34, s71 dst_sel:DWORD dst_unused:UNUSED_PAD src0_sel:BYTE_3 src1_sel:DWORD
	v_and_b32_e32 v48, 0x7f800000, v34
	v_mov_b32_e32 v49, v37
	v_and_b32_e32 v2, 0x7fffff, v34
	v_mov_b32_e32 v3, v37
	v_or_b32_e32 v19, 0x7e, v26
	v_cmp_ne_u64_e32 vcc, s[38:39], v[48:49]
	s_and_saveexec_b64 s[18:19], vcc
	s_xor_b64 s[52:53], exec, s[18:19]
	s_cbranch_execz .LBB4_4069
; %bb.4060:                             ;   in Loop: Header=BB4_2791 Depth=2
	v_and_b32_e32 v48, 0x7fffffff, v34
	v_mov_b32_e32 v49, v37
	v_cmp_gt_u64_e32 vcc, s[40:41], v[48:49]
	s_and_saveexec_b64 s[54:55], vcc
	s_cbranch_execz .LBB4_4068
; %bb.4061:                             ;   in Loop: Header=BB4_2791 Depth=2
	v_cmp_ne_u32_e32 vcc, 0, v34
	v_mov_b32_e32 v19, 0
	s_and_saveexec_b64 s[56:57], vcc
	s_cbranch_execz .LBB4_4067
; %bb.4062:                             ;   in Loop: Header=BB4_2791 Depth=2
	v_bfe_u32 v19, v34, 23, 8
	v_sub_u32_e32 v34, 0x79, v19
	v_cmp_gt_u32_e32 vcc, s72, v19
	v_add_u32_e32 v25, 0xffffff81, v19
	v_cndmask_b32_e32 v34, 0, v34, vcc
	v_cmp_eq_u32_e32 vcc, 0, v19
	v_mov_b32_e32 v19, 0xffffff82
	v_cndmask_b32_e32 v19, v25, v19, vcc
	v_mov_b32_e32 v25, 0x78
	v_cndmask_b32_e32 v25, v34, v25, vcc
	v_or_b32_e32 v35, 0x800000, v2
	v_add_u32_e32 v34, 20, v25
	v_cndmask_b32_e32 v2, v35, v2, vcc
	v_lshlrev_b64 v[34:35], v34, -1
	v_not_b32_e32 v34, v34
	v_and_b32_e32 v48, v2, v34
	v_add_u32_e32 v34, 19, v25
	v_lshrrev_b64 v[2:3], v25, v[2:3]
	v_not_b32_e32 v35, v35
	v_lshlrev_b64 v[50:51], v34, 1
	v_lshrrev_b32_e32 v34, 23, v2
	v_and_b32_e32 v49, 0, v35
	v_add3_u32 v35, v25, v19, v34
	v_bfe_u32 v19, v2, 20, 1
	v_add_u32_e32 v19, -1, v19
	v_cmp_eq_u64_e32 vcc, v[48:49], v[50:51]
	v_cndmask_b32_e32 v19, 0, v19, vcc
	v_add_u32_e32 v19, v19, v2
	v_and_b32_e32 v19, 0xfffff, v19
	v_add_co_u32_e32 v2, vcc, v19, v2
	v_add_u32_e32 v34, 6, v35
	v_addc_co_u32_e32 v3, vcc, 0, v3, vcc
	v_cmp_ne_u32_e32 vcc, 0, v34
                                        ; implicit-def: $vgpr19
	s_and_saveexec_b64 s[18:19], vcc
	s_xor_b64 s[18:19], exec, s[18:19]
; %bb.4063:                             ;   in Loop: Header=BB4_2791 Depth=2
	v_cmp_lt_u64_e32 vcc, s[44:45], v[2:3]
	v_add_u32_e32 v19, 7, v35
	v_cndmask_b32_e64 v25, 0, 1, vcc
	v_cndmask_b32_e32 v19, v34, v19, vcc
	v_lshrrev_b64 v[2:3], v25, v[2:3]
; %bb.4064:                             ;   in Loop: Header=BB4_2791 Depth=2
	s_andn2_saveexec_b64 s[18:19], s[18:19]
; %bb.4065:                             ;   in Loop: Header=BB4_2791 Depth=2
	v_bfe_u32 v19, v2, 23, 1
; %bb.4066:                             ;   in Loop: Header=BB4_2791 Depth=2
	s_or_b64 exec, exec, s[18:19]
	v_lshrrev_b64 v[2:3], 20, v[2:3]
	v_cmp_gt_i32_e32 vcc, 16, v19
	v_cndmask_b32_e32 v3, 0, v3, vcc
	v_cndmask_b32_e32 v2, 7, v2, vcc
	v_cmp_eq_u64_e64 s[18:19], 0, v[2:3]
	v_min_i32_e32 v3, 15, v19
	v_cmp_eq_u32_e32 vcc, 0, v19
	v_lshlrev_b32_e32 v3, 3, v3
	v_and_or_b32 v2, v2, 7, v3
	s_and_b64 s[18:19], vcc, s[18:19]
	v_cndmask_b32_e64 v2, v2, 0, s[18:19]
	v_or_b32_e32 v19, v2, v26
.LBB4_4067:                             ;   in Loop: Header=BB4_2791 Depth=2
	s_or_b64 exec, exec, s[56:57]
.LBB4_4068:                             ;   in Loop: Header=BB4_2791 Depth=2
	s_or_b64 exec, exec, s[54:55]
                                        ; implicit-def: $vgpr34
                                        ; implicit-def: $vgpr2_vgpr3
.LBB4_4069:                             ;   in Loop: Header=BB4_2791 Depth=2
	s_andn2_saveexec_b64 s[18:19], s[52:53]
; %bb.4070:                             ;   in Loop: Header=BB4_2791 Depth=2
	v_or_b32_sdwa v25, v34, s69 dst_sel:DWORD dst_unused:UNUSED_PAD src0_sel:BYTE_3 src1_sel:DWORD
	v_cmp_eq_u64_e32 vcc, 0, v[2:3]
	v_cndmask_b32_e32 v19, v25, v19, vcc
; %bb.4071:                             ;   in Loop: Header=BB4_2791 Depth=2
	s_or_b64 exec, exec, s[18:19]
	v_lshrrev_b16_e32 v2, 8, v10
	v_cmp_ne_u16_e32 vcc, 0, v2
	v_mov_b32_e32 v3, 0
	v_mov_b32_e32 v26, 0
	s_and_saveexec_b64 s[18:19], vcc
	s_cbranch_execz .LBB4_4077
; %bb.4072:                             ;   in Loop: Header=BB4_2791 Depth=2
	v_cmp_ne_u16_e32 vcc, s71, v2
	v_bfrev_b32_e32 v26, 1
	s_and_saveexec_b64 s[52:53], vcc
	s_cbranch_execz .LBB4_4076
; %bb.4073:                             ;   in Loop: Header=BB4_2791 Depth=2
	v_and_b32_e32 v34, 0x7f, v2
	v_cmp_ne_u32_e32 vcc, s69, v34
	v_mov_b32_e32 v26, 0x7f800001
	s_and_saveexec_b64 s[54:55], vcc
	s_cbranch_execz .LBB4_4075
; %bb.4074:                             ;   in Loop: Header=BB4_2791 Depth=2
	v_and_b32_e32 v25, 7, v2
	v_ffbh_u32_e32 v35, v25
	v_min_u32_e32 v35, 32, v35
	v_subrev_u32_e32 v39, 28, v35
	v_lshlrev_b64 v[48:49], v39, v[2:3]
	v_lshrrev_b32_e32 v26, 3, v34
	v_sub_u32_e32 v2, 29, v35
	v_and_b32_e32 v35, 7, v48
	v_cmp_gt_u32_e32 vcc, 8, v34
	v_cndmask_b32_e32 v2, v26, v2, vcc
	v_cndmask_b32_e32 v25, v25, v35, vcc
	v_lshlrev_b32_e32 v10, 16, v10
	v_lshlrev_b32_e32 v25, 20, v25
	v_and_b32_e32 v10, 0x80000000, v10
	v_lshl_add_u32 v2, v2, 23, v55
	v_or3_b32 v26, v10, v2, v25
.LBB4_4075:                             ;   in Loop: Header=BB4_2791 Depth=2
	s_or_b64 exec, exec, s[54:55]
.LBB4_4076:                             ;   in Loop: Header=BB4_2791 Depth=2
	s_or_b64 exec, exec, s[52:53]
.LBB4_4077:                             ;   in Loop: Header=BB4_2791 Depth=2
	s_or_b64 exec, exec, s[18:19]
	v_mov_b32_e32 v2, v13
	v_lshrrev_b16_e32 v10, 8, v2
	v_cmp_ne_u16_e32 vcc, 0, v10
	s_and_saveexec_b64 s[18:19], vcc
	s_cbranch_execz .LBB4_4083
; %bb.4078:                             ;   in Loop: Header=BB4_2791 Depth=2
	v_cmp_ne_u16_e32 vcc, s71, v10
	v_bfrev_b32_e32 v3, 1
	s_and_saveexec_b64 s[52:53], vcc
	s_cbranch_execz .LBB4_4082
; %bb.4079:                             ;   in Loop: Header=BB4_2791 Depth=2
	v_and_b32_e32 v34, 0x7f, v10
	v_cmp_ne_u32_e32 vcc, s69, v34
	v_mov_b32_e32 v3, 0x7f800001
	s_and_saveexec_b64 s[54:55], vcc
	s_cbranch_execz .LBB4_4081
; %bb.4080:                             ;   in Loop: Header=BB4_2791 Depth=2
	v_and_b32_e32 v3, 7, v10
	v_ffbh_u32_e32 v35, v3
	v_min_u32_e32 v35, 32, v35
	v_subrev_u32_e32 v39, 28, v35
	v_lshlrev_b64 v[48:49], v39, v[10:11]
	v_lshrrev_b32_e32 v25, 3, v34
	v_sub_u32_e32 v10, 29, v35
	v_and_b32_e32 v35, 7, v48
	v_cmp_gt_u32_e32 vcc, 8, v34
	v_cndmask_b32_e32 v10, v25, v10, vcc
	v_cndmask_b32_e32 v3, v3, v35, vcc
	v_lshlrev_b32_e32 v2, 16, v2
	v_lshlrev_b32_e32 v3, 20, v3
	v_and_b32_e32 v2, 0x80000000, v2
	v_lshl_add_u32 v10, v10, 23, v55
	v_or3_b32 v3, v2, v10, v3
.LBB4_4081:                             ;   in Loop: Header=BB4_2791 Depth=2
	s_or_b64 exec, exec, s[54:55]
.LBB4_4082:                             ;   in Loop: Header=BB4_2791 Depth=2
	s_or_b64 exec, exec, s[52:53]
.LBB4_4083:                             ;   in Loop: Header=BB4_2791 Depth=2
	s_or_b64 exec, exec, s[18:19]
	v_add_f32_e32 v34, v26, v3
	v_and_b32_sdwa v26, v34, s71 dst_sel:DWORD dst_unused:UNUSED_PAD src0_sel:BYTE_3 src1_sel:DWORD
	v_and_b32_e32 v48, 0x7f800000, v34
	v_mov_b32_e32 v49, v37
	v_and_b32_e32 v2, 0x7fffff, v34
	v_mov_b32_e32 v3, v37
	v_or_b32_e32 v10, 0x7e, v26
	v_cmp_ne_u64_e32 vcc, s[38:39], v[48:49]
	s_and_saveexec_b64 s[18:19], vcc
	s_xor_b64 s[52:53], exec, s[18:19]
	s_cbranch_execz .LBB4_4093
; %bb.4084:                             ;   in Loop: Header=BB4_2791 Depth=2
	v_and_b32_e32 v48, 0x7fffffff, v34
	v_mov_b32_e32 v49, v37
	v_cmp_gt_u64_e32 vcc, s[40:41], v[48:49]
	s_and_saveexec_b64 s[54:55], vcc
	s_cbranch_execz .LBB4_4092
; %bb.4085:                             ;   in Loop: Header=BB4_2791 Depth=2
	v_cmp_ne_u32_e32 vcc, 0, v34
	v_mov_b32_e32 v10, 0
	s_and_saveexec_b64 s[56:57], vcc
	s_cbranch_execz .LBB4_4091
; %bb.4086:                             ;   in Loop: Header=BB4_2791 Depth=2
	v_bfe_u32 v10, v34, 23, 8
	v_sub_u32_e32 v34, 0x79, v10
	v_cmp_gt_u32_e32 vcc, s72, v10
	v_add_u32_e32 v25, 0xffffff81, v10
	v_cndmask_b32_e32 v34, 0, v34, vcc
	v_cmp_eq_u32_e32 vcc, 0, v10
	v_mov_b32_e32 v10, 0xffffff82
	v_cndmask_b32_e32 v10, v25, v10, vcc
	v_mov_b32_e32 v25, 0x78
	v_cndmask_b32_e32 v25, v34, v25, vcc
	v_or_b32_e32 v35, 0x800000, v2
	v_add_u32_e32 v34, 20, v25
	v_cndmask_b32_e32 v2, v35, v2, vcc
	v_lshlrev_b64 v[34:35], v34, -1
	v_not_b32_e32 v34, v34
	v_and_b32_e32 v48, v2, v34
	v_add_u32_e32 v34, 19, v25
	v_lshrrev_b64 v[2:3], v25, v[2:3]
	v_not_b32_e32 v35, v35
	v_lshlrev_b64 v[50:51], v34, 1
	v_lshrrev_b32_e32 v34, 23, v2
	v_and_b32_e32 v49, 0, v35
	v_add3_u32 v35, v25, v10, v34
	v_bfe_u32 v10, v2, 20, 1
	v_add_u32_e32 v10, -1, v10
	v_cmp_eq_u64_e32 vcc, v[48:49], v[50:51]
	v_cndmask_b32_e32 v10, 0, v10, vcc
	v_add_u32_e32 v10, v10, v2
	v_and_b32_e32 v10, 0xfffff, v10
	v_add_co_u32_e32 v2, vcc, v10, v2
	v_add_u32_e32 v34, 6, v35
	v_addc_co_u32_e32 v3, vcc, 0, v3, vcc
	v_cmp_ne_u32_e32 vcc, 0, v34
                                        ; implicit-def: $vgpr10
	s_and_saveexec_b64 s[18:19], vcc
	s_xor_b64 s[18:19], exec, s[18:19]
; %bb.4087:                             ;   in Loop: Header=BB4_2791 Depth=2
	v_cmp_lt_u64_e32 vcc, s[44:45], v[2:3]
	v_add_u32_e32 v10, 7, v35
	v_cndmask_b32_e64 v25, 0, 1, vcc
	v_cndmask_b32_e32 v10, v34, v10, vcc
	v_lshrrev_b64 v[2:3], v25, v[2:3]
; %bb.4088:                             ;   in Loop: Header=BB4_2791 Depth=2
	s_andn2_saveexec_b64 s[18:19], s[18:19]
; %bb.4089:                             ;   in Loop: Header=BB4_2791 Depth=2
	v_bfe_u32 v10, v2, 23, 1
; %bb.4090:                             ;   in Loop: Header=BB4_2791 Depth=2
	s_or_b64 exec, exec, s[18:19]
	v_lshrrev_b64 v[2:3], 20, v[2:3]
	v_cmp_gt_i32_e32 vcc, 16, v10
	v_cndmask_b32_e32 v3, 0, v3, vcc
	v_cndmask_b32_e32 v2, 7, v2, vcc
	v_cmp_eq_u64_e64 s[18:19], 0, v[2:3]
	v_min_i32_e32 v3, 15, v10
	v_cmp_eq_u32_e32 vcc, 0, v10
	v_lshlrev_b32_e32 v3, 3, v3
	v_and_or_b32 v2, v2, 7, v3
	s_and_b64 s[18:19], vcc, s[18:19]
	v_cndmask_b32_e64 v2, v2, 0, s[18:19]
	v_or_b32_e32 v10, v2, v26
.LBB4_4091:                             ;   in Loop: Header=BB4_2791 Depth=2
	s_or_b64 exec, exec, s[56:57]
.LBB4_4092:                             ;   in Loop: Header=BB4_2791 Depth=2
	s_or_b64 exec, exec, s[54:55]
                                        ; implicit-def: $vgpr34
                                        ; implicit-def: $vgpr2_vgpr3
.LBB4_4093:                             ;   in Loop: Header=BB4_2791 Depth=2
	s_andn2_saveexec_b64 s[18:19], s[52:53]
; %bb.4094:                             ;   in Loop: Header=BB4_2791 Depth=2
	v_or_b32_sdwa v25, v34, s69 dst_sel:DWORD dst_unused:UNUSED_PAD src0_sel:BYTE_3 src1_sel:DWORD
	v_cmp_eq_u64_e32 vcc, 0, v[2:3]
	v_cndmask_b32_e32 v10, v25, v10, vcc
; %bb.4095:                             ;   in Loop: Header=BB4_2791 Depth=2
	s_or_b64 exec, exec, s[18:19]
	v_lshrrev_b32_e32 v2, 16, v36
	v_cmp_ne_u16_sdwa vcc, v2, v37 src0_sel:BYTE_0 src1_sel:DWORD
	v_mov_b32_e32 v3, 0
	v_mov_b32_e32 v26, 0
	s_and_saveexec_b64 s[18:19], vcc
	s_cbranch_execz .LBB4_4101
; %bb.4096:                             ;   in Loop: Header=BB4_2791 Depth=2
	v_cmp_ne_u16_sdwa vcc, v2, s71 src0_sel:BYTE_0 src1_sel:DWORD
	v_bfrev_b32_e32 v26, 1
	s_and_saveexec_b64 s[52:53], vcc
	s_cbranch_execz .LBB4_4100
; %bb.4097:                             ;   in Loop: Header=BB4_2791 Depth=2
	v_bfe_u32 v34, v36, 16, 7
	v_cmp_ne_u32_e32 vcc, s69, v34
	v_mov_b32_e32 v26, 0x7f800001
	s_and_saveexec_b64 s[54:55], vcc
	s_cbranch_execz .LBB4_4099
; %bb.4098:                             ;   in Loop: Header=BB4_2791 Depth=2
	v_and_b32_e32 v25, 7, v2
	v_ffbh_u32_e32 v35, v25
	v_min_u32_e32 v35, 32, v35
	v_subrev_u32_e32 v39, 28, v35
	v_lshlrev_b64 v[48:49], v39, v[2:3]
	v_lshrrev_b32_e32 v26, 3, v34
	v_sub_u32_e32 v35, 29, v35
	v_and_b32_e32 v39, 7, v48
	v_cmp_gt_u32_e32 vcc, 8, v34
	v_cndmask_b32_e32 v26, v26, v35, vcc
	v_cndmask_b32_e32 v25, v25, v39, vcc
	v_lshlrev_b32_e32 v2, 24, v2
	v_lshlrev_b32_e32 v25, 20, v25
	v_and_b32_e32 v2, 0x80000000, v2
	v_lshl_add_u32 v26, v26, 23, v55
	v_or3_b32 v26, v2, v26, v25
.LBB4_4099:                             ;   in Loop: Header=BB4_2791 Depth=2
	s_or_b64 exec, exec, s[54:55]
.LBB4_4100:                             ;   in Loop: Header=BB4_2791 Depth=2
	s_or_b64 exec, exec, s[52:53]
.LBB4_4101:                             ;   in Loop: Header=BB4_2791 Depth=2
	s_or_b64 exec, exec, s[18:19]
	v_lshrrev_b32_e32 v2, 16, v13
	v_cmp_ne_u16_sdwa vcc, v2, v37 src0_sel:BYTE_0 src1_sel:DWORD
	s_and_saveexec_b64 s[18:19], vcc
	s_cbranch_execz .LBB4_4107
; %bb.4102:                             ;   in Loop: Header=BB4_2791 Depth=2
	v_cmp_ne_u16_sdwa vcc, v2, s71 src0_sel:BYTE_0 src1_sel:DWORD
	v_bfrev_b32_e32 v3, 1
	s_and_saveexec_b64 s[52:53], vcc
	s_cbranch_execz .LBB4_4106
; %bb.4103:                             ;   in Loop: Header=BB4_2791 Depth=2
	v_bfe_u32 v34, v13, 16, 7
	v_cmp_ne_u32_e32 vcc, s69, v34
	v_mov_b32_e32 v3, 0x7f800001
	s_and_saveexec_b64 s[54:55], vcc
	s_cbranch_execz .LBB4_4105
; %bb.4104:                             ;   in Loop: Header=BB4_2791 Depth=2
	v_and_b32_e32 v25, 7, v2
	v_ffbh_u32_e32 v3, v25
	v_min_u32_e32 v39, 32, v3
	v_subrev_u32_e32 v3, 28, v39
	v_lshlrev_b64 v[2:3], v3, v[2:3]
	v_lshrrev_b32_e32 v35, 3, v34
	v_sub_u32_e32 v3, 29, v39
	v_and_b32_e32 v2, 7, v2
	v_cmp_gt_u32_e32 vcc, 8, v34
	v_cndmask_b32_e32 v3, v35, v3, vcc
	v_cndmask_b32_e32 v2, v25, v2, vcc
	v_lshlrev_b32_e32 v25, 8, v13
	v_lshlrev_b32_e32 v2, 20, v2
	v_and_b32_e32 v25, 0x80000000, v25
	v_lshl_add_u32 v3, v3, 23, v55
	v_or3_b32 v3, v25, v3, v2
.LBB4_4105:                             ;   in Loop: Header=BB4_2791 Depth=2
	s_or_b64 exec, exec, s[54:55]
.LBB4_4106:                             ;   in Loop: Header=BB4_2791 Depth=2
	s_or_b64 exec, exec, s[52:53]
.LBB4_4107:                             ;   in Loop: Header=BB4_2791 Depth=2
	s_or_b64 exec, exec, s[18:19]
	v_add_f32_e32 v35, v26, v3
	v_and_b32_sdwa v34, v35, s71 dst_sel:DWORD dst_unused:UNUSED_PAD src0_sel:BYTE_3 src1_sel:DWORD
	v_and_b32_e32 v48, 0x7f800000, v35
	v_mov_b32_e32 v49, v37
	v_and_b32_e32 v2, 0x7fffff, v35
	v_mov_b32_e32 v3, v37
	v_or_b32_e32 v26, 0x7e, v34
	v_cmp_ne_u64_e32 vcc, s[38:39], v[48:49]
	s_and_saveexec_b64 s[18:19], vcc
	s_xor_b64 s[52:53], exec, s[18:19]
	s_cbranch_execz .LBB4_4117
; %bb.4108:                             ;   in Loop: Header=BB4_2791 Depth=2
	v_and_b32_e32 v48, 0x7fffffff, v35
	v_mov_b32_e32 v49, v37
	v_cmp_gt_u64_e32 vcc, s[40:41], v[48:49]
	s_and_saveexec_b64 s[54:55], vcc
	s_cbranch_execz .LBB4_4116
; %bb.4109:                             ;   in Loop: Header=BB4_2791 Depth=2
	v_cmp_ne_u32_e32 vcc, 0, v35
	v_mov_b32_e32 v26, 0
	s_and_saveexec_b64 s[56:57], vcc
	s_cbranch_execz .LBB4_4115
; %bb.4110:                             ;   in Loop: Header=BB4_2791 Depth=2
	v_bfe_u32 v25, v35, 23, 8
	v_sub_u32_e32 v35, 0x79, v25
	v_cmp_gt_u32_e32 vcc, s72, v25
	v_add_u32_e32 v26, 0xffffff81, v25
	v_cndmask_b32_e32 v35, 0, v35, vcc
	v_cmp_eq_u32_e32 vcc, 0, v25
	v_mov_b32_e32 v25, 0xffffff82
	v_cndmask_b32_e32 v25, v26, v25, vcc
	v_mov_b32_e32 v26, 0x78
	v_cndmask_b32_e32 v26, v35, v26, vcc
	v_add_u32_e32 v35, 20, v26
	v_or_b32_e32 v39, 0x800000, v2
	v_lshlrev_b64 v[48:49], v35, -1
	v_cndmask_b32_e32 v2, v39, v2, vcc
	v_not_b32_e32 v35, v49
	v_not_b32_e32 v39, v48
	v_and_b32_e32 v49, 0, v35
	v_and_b32_e32 v48, v2, v39
	v_add_u32_e32 v35, 19, v26
	v_lshrrev_b64 v[2:3], v26, v[2:3]
	v_lshlrev_b64 v[50:51], v35, 1
	v_lshrrev_b32_e32 v35, 23, v2
	v_add3_u32 v39, v26, v25, v35
	v_bfe_u32 v25, v2, 20, 1
	v_add_u32_e32 v25, -1, v25
	v_cmp_eq_u64_e32 vcc, v[48:49], v[50:51]
	v_cndmask_b32_e32 v25, 0, v25, vcc
	v_add_u32_e32 v25, v25, v2
	v_and_b32_e32 v25, 0xfffff, v25
	v_add_co_u32_e32 v2, vcc, v25, v2
	v_add_u32_e32 v35, 6, v39
	v_addc_co_u32_e32 v3, vcc, 0, v3, vcc
	v_cmp_ne_u32_e32 vcc, 0, v35
                                        ; implicit-def: $vgpr26
	s_and_saveexec_b64 s[18:19], vcc
	s_xor_b64 s[18:19], exec, s[18:19]
; %bb.4111:                             ;   in Loop: Header=BB4_2791 Depth=2
	v_add_u32_e32 v25, 7, v39
	v_cmp_lt_u64_e32 vcc, s[44:45], v[2:3]
	v_cndmask_b32_e32 v26, v35, v25, vcc
	v_cndmask_b32_e64 v25, 0, 1, vcc
	v_lshrrev_b64 v[2:3], v25, v[2:3]
; %bb.4112:                             ;   in Loop: Header=BB4_2791 Depth=2
	s_andn2_saveexec_b64 s[18:19], s[18:19]
; %bb.4113:                             ;   in Loop: Header=BB4_2791 Depth=2
	v_bfe_u32 v26, v2, 23, 1
; %bb.4114:                             ;   in Loop: Header=BB4_2791 Depth=2
	s_or_b64 exec, exec, s[18:19]
	v_lshrrev_b64 v[2:3], 20, v[2:3]
	v_cmp_gt_i32_e32 vcc, 16, v26
	v_cndmask_b32_e32 v3, 0, v3, vcc
	v_cndmask_b32_e32 v2, 7, v2, vcc
	v_cmp_eq_u64_e64 s[18:19], 0, v[2:3]
	v_min_i32_e32 v3, 15, v26
	v_lshlrev_b32_e32 v3, 3, v3
	v_cmp_eq_u32_e32 vcc, 0, v26
	v_and_b32_e32 v3, 0xf8, v3
	v_and_or_b32 v2, v2, 7, v3
	s_and_b64 s[18:19], vcc, s[18:19]
	v_cndmask_b32_e64 v2, v2, 0, s[18:19]
	v_or_b32_e32 v26, v2, v34
.LBB4_4115:                             ;   in Loop: Header=BB4_2791 Depth=2
	s_or_b64 exec, exec, s[56:57]
.LBB4_4116:                             ;   in Loop: Header=BB4_2791 Depth=2
	s_or_b64 exec, exec, s[54:55]
                                        ; implicit-def: $vgpr35
                                        ; implicit-def: $vgpr2_vgpr3
.LBB4_4117:                             ;   in Loop: Header=BB4_2791 Depth=2
	s_andn2_saveexec_b64 s[18:19], s[52:53]
; %bb.4118:                             ;   in Loop: Header=BB4_2791 Depth=2
	v_or_b32_sdwa v25, v35, s69 dst_sel:DWORD dst_unused:UNUSED_PAD src0_sel:BYTE_3 src1_sel:DWORD
	v_cmp_eq_u64_e32 vcc, 0, v[2:3]
	v_cndmask_b32_e32 v26, v25, v26, vcc
; %bb.4119:                             ;   in Loop: Header=BB4_2791 Depth=2
	s_or_b64 exec, exec, s[18:19]
	v_cmp_lt_u32_e32 vcc, s43, v36
	v_mov_b32_e32 v3, 0
	v_mov_b32_e32 v34, 0
	s_and_saveexec_b64 s[18:19], vcc
	s_cbranch_execz .LBB4_4125
; %bb.4120:                             ;   in Loop: Header=BB4_2791 Depth=2
	v_lshrrev_b32_e32 v2, 24, v36
	v_cmp_ne_u32_sdwa vcc, v36, s71 src0_sel:BYTE_3 src1_sel:DWORD
	v_bfrev_b32_e32 v34, 1
	s_and_saveexec_b64 s[52:53], vcc
	s_cbranch_execz .LBB4_4124
; %bb.4121:                             ;   in Loop: Header=BB4_2791 Depth=2
	v_bfe_u32 v35, v36, 24, 7
	v_cmp_ne_u32_e32 vcc, s69, v35
	v_mov_b32_e32 v34, 0x7f800001
	s_and_saveexec_b64 s[54:55], vcc
	s_cbranch_execz .LBB4_4123
; %bb.4122:                             ;   in Loop: Header=BB4_2791 Depth=2
	v_and_b32_e32 v25, 7, v2
	v_ffbh_u32_e32 v39, v25
	v_min_u32_e32 v39, 32, v39
	v_subrev_u32_e32 v48, 28, v39
	v_lshrrev_b32_e32 v34, 3, v35
	v_lshlrev_b64 v[48:49], v48, v[2:3]
	v_sub_u32_e32 v2, 29, v39
	v_cmp_gt_u32_e32 vcc, 8, v35
	v_and_b32_e32 v39, 7, v48
	v_cndmask_b32_e32 v2, v34, v2, vcc
	v_mov_b32_e32 v34, 24
	v_cndmask_b32_e32 v25, v25, v39, vcc
	v_lshlrev_b32_sdwa v34, v34, v36 dst_sel:DWORD dst_unused:UNUSED_PAD src0_sel:DWORD src1_sel:BYTE_3
	v_lshlrev_b32_e32 v25, 20, v25
	v_and_b32_e32 v34, 0x80000000, v34
	v_lshl_add_u32 v2, v2, 23, v55
	v_or3_b32 v34, v34, v2, v25
.LBB4_4123:                             ;   in Loop: Header=BB4_2791 Depth=2
	s_or_b64 exec, exec, s[54:55]
.LBB4_4124:                             ;   in Loop: Header=BB4_2791 Depth=2
	s_or_b64 exec, exec, s[52:53]
.LBB4_4125:                             ;   in Loop: Header=BB4_2791 Depth=2
	s_or_b64 exec, exec, s[18:19]
	v_cmp_lt_u64_e32 vcc, s[42:43], v[12:13]
	s_and_saveexec_b64 s[18:19], vcc
	s_cbranch_execz .LBB4_4131
; %bb.4126:                             ;   in Loop: Header=BB4_2791 Depth=2
	v_lshrrev_b32_e32 v2, 24, v13
	v_cmp_ne_u32_e32 vcc, s71, v2
	v_bfrev_b32_e32 v3, 1
	s_and_saveexec_b64 s[52:53], vcc
	s_cbranch_execz .LBB4_4130
; %bb.4127:                             ;   in Loop: Header=BB4_2791 Depth=2
	v_bfe_u32 v12, v13, 24, 7
	v_cmp_ne_u32_e32 vcc, s69, v12
	v_mov_b32_e32 v3, 0x7f800001
	s_and_saveexec_b64 s[54:55], vcc
	s_cbranch_execz .LBB4_4129
; %bb.4128:                             ;   in Loop: Header=BB4_2791 Depth=2
	v_and_b32_e32 v3, 7, v2
	v_ffbh_u32_e32 v25, v3
	v_min_u32_e32 v25, 32, v25
	v_subrev_u32_e32 v35, 28, v25
	v_lshlrev_b64 v[48:49], v35, v[2:3]
	v_lshrrev_b32_e32 v13, 3, v12
	v_sub_u32_e32 v25, 29, v25
	v_and_b32_e32 v35, 7, v48
	v_cmp_gt_u32_e32 vcc, 8, v12
	v_cndmask_b32_e32 v12, v13, v25, vcc
	v_cndmask_b32_e32 v3, v3, v35, vcc
	v_lshlrev_b32_e32 v2, 24, v2
	v_lshlrev_b32_e32 v3, 20, v3
	v_and_b32_e32 v2, 0x80000000, v2
	v_lshl_add_u32 v12, v12, 23, v55
	v_or3_b32 v3, v2, v12, v3
.LBB4_4129:                             ;   in Loop: Header=BB4_2791 Depth=2
	s_or_b64 exec, exec, s[54:55]
.LBB4_4130:                             ;   in Loop: Header=BB4_2791 Depth=2
	s_or_b64 exec, exec, s[52:53]
.LBB4_4131:                             ;   in Loop: Header=BB4_2791 Depth=2
	s_or_b64 exec, exec, s[18:19]
	v_add_f32_e32 v3, v34, v3
	v_and_b32_sdwa v12, v3, s71 dst_sel:DWORD dst_unused:UNUSED_PAD src0_sel:BYTE_3 src1_sel:DWORD
	v_and_b32_e32 v34, 0x7f800000, v3
	v_mov_b32_e32 v35, v37
	v_and_b32_e32 v36, 0x7fffff, v3
	v_or_b32_e32 v2, 0x7e, v12
	v_cmp_ne_u64_e32 vcc, s[38:39], v[34:35]
	s_and_saveexec_b64 s[18:19], vcc
	s_xor_b64 s[52:53], exec, s[18:19]
	s_cbranch_execz .LBB4_4141
; %bb.4132:                             ;   in Loop: Header=BB4_2791 Depth=2
	v_and_b32_e32 v34, 0x7fffffff, v3
	v_mov_b32_e32 v35, v37
	v_cmp_gt_u64_e32 vcc, s[40:41], v[34:35]
	s_and_saveexec_b64 s[54:55], vcc
	s_cbranch_execz .LBB4_4140
; %bb.4133:                             ;   in Loop: Header=BB4_2791 Depth=2
	v_cmp_ne_u32_e32 vcc, 0, v3
	v_mov_b32_e32 v2, 0
	s_and_saveexec_b64 s[56:57], vcc
	s_cbranch_execz .LBB4_4139
; %bb.4134:                             ;   in Loop: Header=BB4_2791 Depth=2
	v_bfe_u32 v2, v3, 23, 8
	v_sub_u32_e32 v13, 0x79, v2
	v_cmp_gt_u32_e32 vcc, s72, v2
	v_add_u32_e32 v3, 0xffffff81, v2
	v_cndmask_b32_e32 v13, 0, v13, vcc
	v_cmp_eq_u32_e32 vcc, 0, v2
	v_mov_b32_e32 v2, 0xffffff82
	v_cndmask_b32_e32 v34, v3, v2, vcc
	v_mov_b32_e32 v2, 0x78
	v_or_b32_e32 v25, 0x800000, v36
	v_cndmask_b32_e32 v13, v13, v2, vcc
	v_cndmask_b32_e32 v36, v25, v36, vcc
	v_add_u32_e32 v2, 20, v13
	v_lshlrev_b64 v[2:3], v2, -1
	v_add_u32_e32 v25, 19, v13
	v_lshrrev_b64 v[50:51], v13, v[36:37]
	v_not_b32_e32 v3, v3
	v_not_b32_e32 v2, v2
	v_lshlrev_b64 v[48:49], v25, 1
	v_lshrrev_b32_e32 v25, 23, v50
	v_and_b32_e32 v3, 0, v3
	v_and_b32_e32 v2, v36, v2
	v_add3_u32 v35, v13, v34, v25
	v_bfe_u32 v13, v50, 20, 1
	v_add_u32_e32 v13, -1, v13
	v_cmp_eq_u64_e32 vcc, v[2:3], v[48:49]
	v_cndmask_b32_e32 v2, 0, v13, vcc
	v_add_u32_e32 v2, v2, v50
	v_and_b32_e32 v2, 0xfffff, v2
	v_add_co_u32_e32 v2, vcc, v2, v50
	v_add_u32_e32 v34, 6, v35
	v_addc_co_u32_e32 v3, vcc, 0, v51, vcc
	v_cmp_ne_u32_e32 vcc, 0, v34
                                        ; implicit-def: $vgpr13
	s_and_saveexec_b64 s[18:19], vcc
	s_xor_b64 s[18:19], exec, s[18:19]
; %bb.4135:                             ;   in Loop: Header=BB4_2791 Depth=2
	v_cmp_lt_u64_e32 vcc, s[44:45], v[2:3]
	v_add_u32_e32 v13, 7, v35
	v_cndmask_b32_e64 v25, 0, 1, vcc
	v_cndmask_b32_e32 v13, v34, v13, vcc
	v_lshrrev_b64 v[2:3], v25, v[2:3]
; %bb.4136:                             ;   in Loop: Header=BB4_2791 Depth=2
	s_andn2_saveexec_b64 s[18:19], s[18:19]
; %bb.4137:                             ;   in Loop: Header=BB4_2791 Depth=2
	v_bfe_u32 v13, v2, 23, 1
; %bb.4138:                             ;   in Loop: Header=BB4_2791 Depth=2
	s_or_b64 exec, exec, s[18:19]
	v_lshrrev_b64 v[2:3], 20, v[2:3]
	v_cmp_gt_i32_e32 vcc, 16, v13
	v_cndmask_b32_e32 v3, 0, v3, vcc
	v_cndmask_b32_e32 v2, 7, v2, vcc
	v_cmp_eq_u64_e64 s[18:19], 0, v[2:3]
	v_min_i32_e32 v3, 15, v13
	v_lshlrev_b32_e32 v3, 3, v3
	v_cmp_eq_u32_e32 vcc, 0, v13
	v_and_b32_e32 v3, 0xf8, v3
	v_and_or_b32 v2, v2, 7, v3
	s_and_b64 s[18:19], vcc, s[18:19]
	v_cndmask_b32_e64 v2, v2, 0, s[18:19]
	v_or_b32_e32 v2, v2, v12
.LBB4_4139:                             ;   in Loop: Header=BB4_2791 Depth=2
	s_or_b64 exec, exec, s[56:57]
.LBB4_4140:                             ;   in Loop: Header=BB4_2791 Depth=2
	s_or_b64 exec, exec, s[54:55]
                                        ; implicit-def: $vgpr3
.LBB4_4141:                             ;   in Loop: Header=BB4_2791 Depth=2
	s_andn2_saveexec_b64 s[18:19], s[52:53]
	s_cbranch_execz .LBB4_2790
; %bb.4142:                             ;   in Loop: Header=BB4_2791 Depth=2
	v_or_b32_sdwa v3, v3, s69 dst_sel:DWORD dst_unused:UNUSED_PAD src0_sel:BYTE_3 src1_sel:DWORD
	v_cmp_eq_u64_e32 vcc, 0, v[36:37]
	v_cndmask_b32_e32 v2, v3, v2, vcc
	s_branch .LBB4_2790
.LBB4_4143:                             ;   in Loop: Header=BB4_2718 Depth=1
	s_or_b64 exec, exec, s[50:51]
	v_accvgpr_read_b32 v61, a41
	v_accvgpr_read_b32 v51, a19
	;; [unrolled: 1-line block ×9, first 2 shown]
.LBB4_4144:                             ;   in Loop: Header=BB4_2718 Depth=1
	s_or_b64 exec, exec, s[20:21]
	v_and_b32_e32 v3, 0x3ffff800, v41
	v_cmp_ne_u32_e32 vcc, v3, v41
	s_mov_b64 s[18:19], 0
	v_mov_b32_e32 v4, 0
                                        ; implicit-def: $vgpr5
                                        ; implicit-def: $vgpr6
                                        ; implicit-def: $vgpr2
	s_and_saveexec_b64 s[50:51], vcc
	s_cbranch_execz .LBB4_4832
; %bb.4145:                             ;   in Loop: Header=BB4_2718 Depth=1
	v_lshlrev_b32_e32 v0, 6, v53
	v_accvgpr_read_b32 v2, a27
	v_sub_u32_e32 v0, v2, v0
	v_ashrrev_i32_e32 v2, 31, v0
	v_lshrrev_b32_e32 v2, 26, v2
	v_add_u32_e32 v2, v0, v2
	v_ashrrev_i32_e32 v4, 6, v2
	v_and_b32_e32 v2, 0xffffffc0, v2
	v_and_b32_e32 v1, 0x7ff, v41
	v_sub_u32_e32 v0, v0, v2
	v_and_b32_e32 v6, 0x400, v41
	v_lshlrev_b32_e32 v2, 4, v0
	v_sub_u32_e32 v19, v1, v6
	v_lshl_add_u32 v2, v4, 10, v2
	v_bfe_u32 v5, v41, 10, 1
	v_cmp_lt_i32_e64 s[18:19], 15, v19
	v_sub_u32_e32 v26, v1, v2
	v_addc_co_u32_e64 v1, vcc, 0, v5, s[18:19]
	v_sub_u32_e32 v1, v1, v4
	v_cmp_lt_i32_e32 vcc, 15, v26
	s_mov_b64 s[52:53], exec
	s_and_b64 s[20:21], s[52:53], vcc
	v_accvgpr_read_b32 v52, a26
	v_accvgpr_read_b32 v53, a32
	s_mov_b64 exec, s[20:21]
	s_cbranch_execz .LBB4_4829
; %bb.4146:                             ;   in Loop: Header=BB4_2718 Depth=1
	s_trap 2
	ds_read_b128 v[4:7], v0
	ds_read_b64 v[14:15], v0
	v_add_u32_e32 v2, v2, v3
	v_ashrrev_i32_e32 v3, 31, v2
	v_accvgpr_write_b32 a19, v54
	s_waitcnt lgkmcnt(0)
	v_add_co_u32_e32 v16, vcc, v4, v2
	v_addc_co_u32_e32 v17, vcc, v5, v3, vcc
	v_add_co_u32_e32 v54, vcc, v6, v2
	s_waitcnt lgkmcnt(0)
	v_readfirstlane_b32 s20, v14
	v_addc_co_u32_e32 v55, vcc, v7, v3, vcc
	s_and_b32 s21, s20, 7
	v_mov_b32_e32 v58, v40
	v_add_co_u32_e32 v40, vcc, v14, v2
	s_flbit_i32_b32 s21, s21
	v_mov_b32_e32 v57, v41
	v_addc_co_u32_e32 v41, vcc, v15, v3, vcc
	s_min_u32 s21, s21, 32
	s_and_b32 vcc_lo, s20, 0x7f
	s_bfe_u32 vcc_hi, s20, 0x40003
	s_sub_i32 s54, s21, 28
	s_sub_i32 s21, 29, s21
	s_cmp_lt_u32 vcc_lo, 8
	s_cselect_b32 s21, s21, vcc_hi
	s_cselect_b32 vcc_hi, s54, 0
	s_lshl_b32 s20, s20, 24
	s_lshl_b32 s21, s21, 23
	v_lshlrev_b64 v[2:3], vcc_hi, v[14:15]
	s_and_b32 s20, s20, 0x80000000
	s_add_i32 s21, s21, 0x3c000000
	v_lshlrev_b32_e32 v2, 20, v2
	s_or_b32 s20, s20, s21
	v_and_b32_e32 v2, 0x700000, v2
	s_cmpk_lg_i32 vcc_lo, 0x7f
	v_or_b32_e32 v2, s20, v2
	s_cselect_b64 vcc, -1, 0
	v_mov_b32_e32 v3, 0x7f800001
	v_cndmask_b32_e32 v15, v3, v2, vcc
	s_mov_b64 s[54:55], 0
	s_branch .LBB4_4148
.LBB4_4147:                             ;   in Loop: Header=BB4_4148 Depth=2
	s_or_b64 exec, exec, s[20:21]
	v_lshlrev_b32_e32 v3, 8, v30
	v_perm_b32 v3, v3, v20, s73
	v_lshl_or_b32 v3, v31, 16, v3
	v_lshl_or_b32 v21, v24, 24, v3
	v_and_b32_e32 v3, 0xff, v18
	v_lshlrev_b32_e32 v7, 8, v7
	v_lshlrev_b32_e32 v12, 24, v23
	;; [unrolled: 1-line block ×3, first 2 shown]
	v_perm_b32 v4, v7, v4, s73
	v_or3_b32 v20, v12, v3, v4
	v_and_b32_e32 v3, 0xff, v22
	v_lshlrev_b32_e32 v4, 24, v6
	v_lshlrev_b32_e32 v6, 8, v11
	;; [unrolled: 1-line block ×3, first 2 shown]
	v_perm_b32 v6, v6, v8, s73
	v_or3_b32 v22, v4, v3, v6
	v_lshlrev_b32_e32 v3, 8, v9
	v_perm_b32 v3, v3, v5, s73
	v_lshl_or_b32 v3, v10, 16, v3
	v_lshl_or_b32 v23, v2, 24, v3
	v_accvgpr_read_b32 v2, a33
	v_add_co_u32_e32 v16, vcc, v16, v2
	v_accvgpr_read_b32 v3, a34
	v_addc_co_u32_e32 v17, vcc, v17, v3, vcc
	v_add_co_u32_e32 v54, vcc, v54, v2
	v_addc_co_u32_e32 v55, vcc, v55, v3, vcc
	global_store_dwordx4 v[40:41], v[20:23], off glc slc
	v_add_co_u32_e32 v40, vcc, v40, v2
	v_addc_co_u32_e32 v41, vcc, v41, v3, vcc
	v_sub_u32_e32 v26, v26, v53
	v_cmp_gt_i32_e32 vcc, 16, v26
	s_or_b64 s[54:55], vcc, s[54:55]
	v_sub_u32_e32 v1, v1, v52
	s_andn2_b64 exec, exec, s[54:55]
	s_cbranch_execz .LBB4_4828
.LBB4_4148:                             ;   Parent Loop BB4_2718 Depth=1
                                        ; =>  This Inner Loop Header: Depth=2
	v_cmp_lt_i16_sdwa s[20:21], v14, s71 src0_sel:BYTE_0 src1_sel:DWORD
	s_and_b64 vcc, exec, s[20:21]
	s_cbranch_vccnz .LBB4_4152
; %bb.4149:                             ;   in Loop: Header=BB4_4148 Depth=2
	v_cmp_eq_u16_sdwa vcc, v14, s71 src0_sel:BYTE_0 src1_sel:DWORD
	s_mov_b64 s[20:21], -1
	s_and_b64 vcc, exec, vcc
                                        ; implicit-def: $sgpr56
	s_cbranch_vccz .LBB4_4151
; %bb.4150:                             ;   in Loop: Header=BB4_4148 Depth=2
	s_mov_b64 s[20:21], 0
	s_brev_b32 s56, 1
.LBB4_4151:                             ;   in Loop: Header=BB4_4148 Depth=2
	s_branch .LBB4_4154
.LBB4_4152:                             ;   in Loop: Header=BB4_4148 Depth=2
	s_mov_b64 s[20:21], 0
                                        ; implicit-def: $sgpr56
	s_cbranch_execz .LBB4_4154
; %bb.4153:                             ;   in Loop: Header=BB4_4148 Depth=2
	v_cmp_ne_u16_sdwa s[20:21], v14, v37 src0_sel:BYTE_0 src1_sel:DWORD
	s_mov_b32 s56, 0
.LBB4_4154:                             ;   in Loop: Header=BB4_4148 Depth=2
	s_andn2_b64 vcc, exec, s[20:21]
	v_mov_b32_e32 v7, s56
	s_cbranch_vccnz .LBB4_4156
; %bb.4155:                             ;   in Loop: Header=BB4_4148 Depth=2
	v_mov_b32_e32 v7, v15
.LBB4_4156:                             ;   in Loop: Header=BB4_4148 Depth=2
	global_load_dwordx4 v[10:13], v[16:17], off glc slc
	v_mov_b32_e32 v2, 0
	s_waitcnt vmcnt(0)
	v_cmp_ne_u16_sdwa vcc, v10, v37 src0_sel:BYTE_0 src1_sel:DWORD
	s_and_saveexec_b64 s[20:21], vcc
	s_cbranch_execz .LBB4_4162
; %bb.4157:                             ;   in Loop: Header=BB4_4148 Depth=2
	v_cmp_ne_u16_sdwa vcc, v10, s71 src0_sel:BYTE_0 src1_sel:DWORD
	v_bfrev_b32_e32 v2, 1
	s_and_saveexec_b64 s[56:57], vcc
	s_cbranch_execz .LBB4_4161
; %bb.4158:                             ;   in Loop: Header=BB4_4148 Depth=2
	v_and_b32_e32 v3, 0x7f, v10
	v_cmp_ne_u32_e32 vcc, s69, v3
	v_mov_b32_e32 v2, 0x7f800001
	s_and_saveexec_b64 s[58:59], vcc
	s_cbranch_execz .LBB4_4160
; %bb.4159:                             ;   in Loop: Header=BB4_4148 Depth=2
	v_and_b32_e32 v2, 7, v10
	v_ffbh_u32_e32 v2, v2
	v_min_u32_e32 v2, 32, v2
	v_lshrrev_b32_e32 v4, 3, v3
	v_subrev_u32_e32 v5, 28, v2
	v_sub_u32_e32 v2, 29, v2
	v_cmp_gt_u32_e32 vcc, 8, v3
	v_cndmask_b32_e32 v4, v4, v2, vcc
	v_cndmask_b32_e32 v2, 0, v5, vcc
	v_lshlrev_b64 v[2:3], v2, v[10:11]
	v_lshlrev_b32_e32 v2, 20, v2
	v_lshlrev_b32_e32 v3, 24, v10
	v_bfrev_b32_e32 v5, 60
	v_and_b32_e32 v2, 0x700000, v2
	v_and_b32_e32 v3, 0x80000000, v3
	v_lshl_add_u32 v4, v4, 23, v5
	v_or3_b32 v2, v3, v4, v2
.LBB4_4160:                             ;   in Loop: Header=BB4_4148 Depth=2
	s_or_b64 exec, exec, s[58:59]
.LBB4_4161:                             ;   in Loop: Header=BB4_4148 Depth=2
	s_or_b64 exec, exec, s[56:57]
.LBB4_4162:                             ;   in Loop: Header=BB4_4148 Depth=2
	s_or_b64 exec, exec, s[20:21]
	v_mul_f32_e32 v2, v7, v2
	v_and_b32_sdwa v5, v2, s71 dst_sel:DWORD dst_unused:UNUSED_PAD src0_sel:BYTE_3 src1_sel:DWORD
	v_and_b32_e32 v8, 0x7f800000, v2
	v_mov_b32_e32 v9, v37
	v_and_b32_e32 v36, 0x7fffff, v2
	v_or_b32_e32 v4, 0x7e, v5
	v_cmp_ne_u64_e32 vcc, s[38:39], v[8:9]
	s_and_saveexec_b64 s[20:21], vcc
	s_xor_b64 s[56:57], exec, s[20:21]
	s_cbranch_execz .LBB4_4172
; %bb.4163:                             ;   in Loop: Header=BB4_4148 Depth=2
	v_and_b32_e32 v8, 0x7fffffff, v2
	v_mov_b32_e32 v9, v37
	v_cmp_gt_u64_e32 vcc, s[40:41], v[8:9]
	s_and_saveexec_b64 s[58:59], vcc
	s_cbranch_execz .LBB4_4171
; %bb.4164:                             ;   in Loop: Header=BB4_4148 Depth=2
	v_cmp_ne_u32_e32 vcc, 0, v2
	v_mov_b32_e32 v4, 0
	s_and_saveexec_b64 s[60:61], vcc
	s_cbranch_execz .LBB4_4170
; %bb.4165:                             ;   in Loop: Header=BB4_4148 Depth=2
	v_bfe_u32 v2, v2, 23, 8
	v_sub_u32_e32 v4, 0x79, v2
	v_cmp_gt_u32_e32 vcc, s72, v2
	v_add_u32_e32 v3, 0xffffff81, v2
	v_cndmask_b32_e32 v4, 0, v4, vcc
	v_cmp_eq_u32_e32 vcc, 0, v2
	v_mov_b32_e32 v2, 0xffffff82
	v_cndmask_b32_e32 v8, v3, v2, vcc
	v_mov_b32_e32 v2, 0x78
	v_or_b32_e32 v6, 0x800000, v36
	v_cndmask_b32_e32 v4, v4, v2, vcc
	v_cndmask_b32_e32 v36, v6, v36, vcc
	v_add_u32_e32 v2, 20, v4
	v_lshlrev_b64 v[2:3], v2, -1
	v_add_u32_e32 v6, 19, v4
	v_lshrrev_b64 v[22:23], v4, v[36:37]
	v_not_b32_e32 v3, v3
	v_not_b32_e32 v2, v2
	v_lshlrev_b64 v[20:21], v6, 1
	v_lshrrev_b32_e32 v6, 23, v22
	v_and_b32_e32 v3, 0, v3
	v_and_b32_e32 v2, v36, v2
	v_add3_u32 v8, v4, v8, v6
	v_bfe_u32 v4, v22, 20, 1
	v_add_u32_e32 v4, -1, v4
	v_cmp_eq_u64_e32 vcc, v[2:3], v[20:21]
	v_cndmask_b32_e32 v2, 0, v4, vcc
	v_add_u32_e32 v2, v2, v22
	v_and_b32_e32 v2, 0xfffff, v2
	v_add_co_u32_e32 v2, vcc, v2, v22
	v_add_u32_e32 v6, 6, v8
	v_addc_co_u32_e32 v3, vcc, 0, v23, vcc
	v_cmp_ne_u32_e32 vcc, 0, v6
                                        ; implicit-def: $vgpr4
	s_and_saveexec_b64 s[20:21], vcc
	s_xor_b64 s[20:21], exec, s[20:21]
; %bb.4166:                             ;   in Loop: Header=BB4_4148 Depth=2
	v_add_u32_e32 v4, 7, v8
	v_cmp_lt_u64_e32 vcc, s[44:45], v[2:3]
	v_cndmask_b32_e32 v4, v6, v4, vcc
	v_cndmask_b32_e64 v6, 0, 1, vcc
	v_lshrrev_b64 v[2:3], v6, v[2:3]
; %bb.4167:                             ;   in Loop: Header=BB4_4148 Depth=2
	s_andn2_saveexec_b64 s[20:21], s[20:21]
; %bb.4168:                             ;   in Loop: Header=BB4_4148 Depth=2
	v_bfe_u32 v4, v2, 23, 1
; %bb.4169:                             ;   in Loop: Header=BB4_4148 Depth=2
	s_or_b64 exec, exec, s[20:21]
	v_lshrrev_b64 v[2:3], 20, v[2:3]
	v_cmp_gt_i32_e32 vcc, 16, v4
	v_cndmask_b32_e32 v3, 0, v3, vcc
	v_cndmask_b32_e32 v2, 7, v2, vcc
	v_cmp_eq_u64_e64 s[20:21], 0, v[2:3]
	v_min_i32_e32 v3, 15, v4
	v_cmp_eq_u32_e32 vcc, 0, v4
	v_lshlrev_b32_e32 v3, 3, v3
	v_and_or_b32 v2, v2, 7, v3
	s_and_b64 s[20:21], vcc, s[20:21]
	v_cndmask_b32_e64 v2, v2, 0, s[20:21]
	v_or_b32_e32 v4, v2, v5
.LBB4_4170:                             ;   in Loop: Header=BB4_4148 Depth=2
	s_or_b64 exec, exec, s[60:61]
.LBB4_4171:                             ;   in Loop: Header=BB4_4148 Depth=2
	s_or_b64 exec, exec, s[58:59]
                                        ; implicit-def: $vgpr2
.LBB4_4172:                             ;   in Loop: Header=BB4_4148 Depth=2
	s_andn2_saveexec_b64 s[20:21], s[56:57]
; %bb.4173:                             ;   in Loop: Header=BB4_4148 Depth=2
	v_or_b32_sdwa v2, v2, s69 dst_sel:DWORD dst_unused:UNUSED_PAD src0_sel:BYTE_3 src1_sel:DWORD
	v_cmp_eq_u64_e32 vcc, 0, v[36:37]
	v_cndmask_b32_e32 v4, v2, v4, vcc
; %bb.4174:                             ;   in Loop: Header=BB4_4148 Depth=2
	s_or_b64 exec, exec, s[20:21]
	v_lshrrev_b16_e32 v2, 8, v10
	v_cmp_ne_u16_e32 vcc, 0, v2
	v_mov_b32_e32 v3, 0
	s_and_saveexec_b64 s[20:21], vcc
	s_cbranch_execz .LBB4_4180
; %bb.4175:                             ;   in Loop: Header=BB4_4148 Depth=2
	v_cmp_ne_u16_e32 vcc, s71, v2
	v_bfrev_b32_e32 v3, 1
	s_and_saveexec_b64 s[56:57], vcc
	s_cbranch_execz .LBB4_4179
; %bb.4176:                             ;   in Loop: Header=BB4_4148 Depth=2
	v_and_b32_e32 v5, 0x7f, v2
	v_cmp_ne_u32_e32 vcc, s69, v5
	v_mov_b32_e32 v3, 0x7f800001
	s_and_saveexec_b64 s[58:59], vcc
	s_cbranch_execz .LBB4_4178
; %bb.4177:                             ;   in Loop: Header=BB4_4148 Depth=2
	v_and_b32_e32 v6, 7, v2
	v_ffbh_u32_e32 v3, v6
	v_min_u32_e32 v9, 32, v3
	v_subrev_u32_e32 v3, 28, v9
	v_lshlrev_b64 v[2:3], v3, v[2:3]
	v_lshrrev_b32_e32 v8, 3, v5
	v_sub_u32_e32 v3, 29, v9
	v_and_b32_e32 v2, 7, v2
	v_cmp_gt_u32_e32 vcc, 8, v5
	v_cndmask_b32_e32 v3, v8, v3, vcc
	v_cndmask_b32_e32 v2, v6, v2, vcc
	v_lshlrev_b32_e32 v5, 16, v10
	v_bfrev_b32_e32 v6, 60
	v_lshlrev_b32_e32 v2, 20, v2
	v_and_b32_e32 v5, 0x80000000, v5
	v_lshl_add_u32 v3, v3, 23, v6
	v_or3_b32 v3, v5, v3, v2
.LBB4_4178:                             ;   in Loop: Header=BB4_4148 Depth=2
	s_or_b64 exec, exec, s[58:59]
.LBB4_4179:                             ;   in Loop: Header=BB4_4148 Depth=2
	s_or_b64 exec, exec, s[56:57]
.LBB4_4180:                             ;   in Loop: Header=BB4_4148 Depth=2
	s_or_b64 exec, exec, s[20:21]
	v_mul_f32_e32 v2, v7, v3
	v_and_b32_sdwa v5, v2, s71 dst_sel:DWORD dst_unused:UNUSED_PAD src0_sel:BYTE_3 src1_sel:DWORD
	v_and_b32_e32 v8, 0x7f800000, v2
	v_mov_b32_e32 v9, v37
	v_and_b32_e32 v36, 0x7fffff, v2
	v_or_b32_e32 v18, 0x7e, v5
	v_cmp_ne_u64_e32 vcc, s[38:39], v[8:9]
	s_and_saveexec_b64 s[20:21], vcc
	s_xor_b64 s[56:57], exec, s[20:21]
	s_cbranch_execz .LBB4_4190
; %bb.4181:                             ;   in Loop: Header=BB4_4148 Depth=2
	v_and_b32_e32 v8, 0x7fffffff, v2
	v_mov_b32_e32 v9, v37
	v_cmp_gt_u64_e32 vcc, s[40:41], v[8:9]
	s_and_saveexec_b64 s[58:59], vcc
	s_cbranch_execz .LBB4_4189
; %bb.4182:                             ;   in Loop: Header=BB4_4148 Depth=2
	v_cmp_ne_u32_e32 vcc, 0, v2
	v_mov_b32_e32 v18, 0
	s_and_saveexec_b64 s[60:61], vcc
	s_cbranch_execz .LBB4_4188
; %bb.4183:                             ;   in Loop: Header=BB4_4148 Depth=2
	v_bfe_u32 v2, v2, 23, 8
	v_sub_u32_e32 v6, 0x79, v2
	v_cmp_gt_u32_e32 vcc, s72, v2
	v_add_u32_e32 v3, 0xffffff81, v2
	v_cndmask_b32_e32 v6, 0, v6, vcc
	v_cmp_eq_u32_e32 vcc, 0, v2
	v_mov_b32_e32 v2, 0xffffff82
	v_cndmask_b32_e32 v9, v3, v2, vcc
	v_mov_b32_e32 v2, 0x78
	v_or_b32_e32 v8, 0x800000, v36
	v_cndmask_b32_e32 v6, v6, v2, vcc
	v_cndmask_b32_e32 v36, v8, v36, vcc
	v_add_u32_e32 v2, 20, v6
	v_lshlrev_b64 v[2:3], v2, -1
	v_add_u32_e32 v8, 19, v6
	v_lshrrev_b64 v[22:23], v6, v[36:37]
	v_not_b32_e32 v3, v3
	v_not_b32_e32 v2, v2
	v_lshlrev_b64 v[20:21], v8, 1
	v_lshrrev_b32_e32 v8, 23, v22
	v_and_b32_e32 v3, 0, v3
	v_and_b32_e32 v2, v36, v2
	v_add3_u32 v9, v6, v9, v8
	v_bfe_u32 v6, v22, 20, 1
	v_add_u32_e32 v6, -1, v6
	v_cmp_eq_u64_e32 vcc, v[2:3], v[20:21]
	v_cndmask_b32_e32 v2, 0, v6, vcc
	v_add_u32_e32 v2, v2, v22
	v_and_b32_e32 v2, 0xfffff, v2
	v_add_co_u32_e32 v2, vcc, v2, v22
	v_add_u32_e32 v8, 6, v9
	v_addc_co_u32_e32 v3, vcc, 0, v23, vcc
	v_cmp_ne_u32_e32 vcc, 0, v8
                                        ; implicit-def: $vgpr6
	s_and_saveexec_b64 s[20:21], vcc
	s_xor_b64 s[20:21], exec, s[20:21]
; %bb.4184:                             ;   in Loop: Header=BB4_4148 Depth=2
	v_add_u32_e32 v6, 7, v9
	v_cmp_lt_u64_e32 vcc, s[44:45], v[2:3]
	v_cndmask_b32_e32 v6, v8, v6, vcc
	v_cndmask_b32_e64 v8, 0, 1, vcc
	v_lshrrev_b64 v[2:3], v8, v[2:3]
; %bb.4185:                             ;   in Loop: Header=BB4_4148 Depth=2
	s_andn2_saveexec_b64 s[20:21], s[20:21]
; %bb.4186:                             ;   in Loop: Header=BB4_4148 Depth=2
	v_bfe_u32 v6, v2, 23, 1
; %bb.4187:                             ;   in Loop: Header=BB4_4148 Depth=2
	s_or_b64 exec, exec, s[20:21]
	v_lshrrev_b64 v[2:3], 20, v[2:3]
	v_cmp_gt_i32_e32 vcc, 16, v6
	v_cndmask_b32_e32 v3, 0, v3, vcc
	v_cndmask_b32_e32 v2, 7, v2, vcc
	v_cmp_eq_u64_e64 s[20:21], 0, v[2:3]
	v_min_i32_e32 v3, 15, v6
	v_cmp_eq_u32_e32 vcc, 0, v6
	v_lshlrev_b32_e32 v3, 3, v3
	v_and_or_b32 v2, v2, 7, v3
	s_and_b64 s[20:21], vcc, s[20:21]
	v_cndmask_b32_e64 v2, v2, 0, s[20:21]
	v_or_b32_e32 v18, v2, v5
.LBB4_4188:                             ;   in Loop: Header=BB4_4148 Depth=2
	s_or_b64 exec, exec, s[60:61]
.LBB4_4189:                             ;   in Loop: Header=BB4_4148 Depth=2
	s_or_b64 exec, exec, s[58:59]
                                        ; implicit-def: $vgpr2
.LBB4_4190:                             ;   in Loop: Header=BB4_4148 Depth=2
	s_andn2_saveexec_b64 s[20:21], s[56:57]
; %bb.4191:                             ;   in Loop: Header=BB4_4148 Depth=2
	v_or_b32_sdwa v2, v2, s69 dst_sel:DWORD dst_unused:UNUSED_PAD src0_sel:BYTE_3 src1_sel:DWORD
	v_cmp_eq_u64_e32 vcc, 0, v[36:37]
	v_cndmask_b32_e32 v18, v2, v18, vcc
; %bb.4192:                             ;   in Loop: Header=BB4_4148 Depth=2
	s_or_b64 exec, exec, s[20:21]
	v_lshrrev_b32_e32 v2, 16, v10
	v_cmp_ne_u16_sdwa vcc, v2, v37 src0_sel:BYTE_0 src1_sel:DWORD
	v_mov_b32_e32 v3, 0
	s_and_saveexec_b64 s[20:21], vcc
	s_cbranch_execz .LBB4_4198
; %bb.4193:                             ;   in Loop: Header=BB4_4148 Depth=2
	v_cmp_ne_u16_sdwa vcc, v2, s71 src0_sel:BYTE_0 src1_sel:DWORD
	v_bfrev_b32_e32 v3, 1
	s_and_saveexec_b64 s[56:57], vcc
	s_cbranch_execz .LBB4_4197
; %bb.4194:                             ;   in Loop: Header=BB4_4148 Depth=2
	v_bfe_u32 v5, v10, 16, 7
	v_cmp_ne_u32_e32 vcc, s69, v5
	v_mov_b32_e32 v3, 0x7f800001
	s_and_saveexec_b64 s[58:59], vcc
	s_cbranch_execz .LBB4_4196
; %bb.4195:                             ;   in Loop: Header=BB4_4148 Depth=2
	v_and_b32_e32 v3, 7, v2
	v_ffbh_u32_e32 v8, v3
	v_min_u32_e32 v20, 32, v8
	v_subrev_u32_e32 v8, 28, v20
	v_lshlrev_b64 v[8:9], v8, v[2:3]
	v_lshrrev_b32_e32 v6, 3, v5
	v_sub_u32_e32 v9, 29, v20
	v_and_b32_e32 v8, 7, v8
	v_cmp_gt_u32_e32 vcc, 8, v5
	v_cndmask_b32_e32 v5, v6, v9, vcc
	v_cndmask_b32_e32 v3, v3, v8, vcc
	v_lshlrev_b32_e32 v2, 24, v2
	v_bfrev_b32_e32 v6, 60
	v_lshlrev_b32_e32 v3, 20, v3
	v_and_b32_e32 v2, 0x80000000, v2
	v_lshl_add_u32 v5, v5, 23, v6
	v_or3_b32 v3, v2, v5, v3
.LBB4_4196:                             ;   in Loop: Header=BB4_4148 Depth=2
	s_or_b64 exec, exec, s[58:59]
.LBB4_4197:                             ;   in Loop: Header=BB4_4148 Depth=2
	s_or_b64 exec, exec, s[56:57]
.LBB4_4198:                             ;   in Loop: Header=BB4_4148 Depth=2
	s_or_b64 exec, exec, s[20:21]
	v_mul_f32_e32 v2, v7, v3
	v_and_b32_sdwa v5, v2, s71 dst_sel:DWORD dst_unused:UNUSED_PAD src0_sel:BYTE_3 src1_sel:DWORD
	v_and_b32_e32 v8, 0x7f800000, v2
	v_mov_b32_e32 v9, v37
	v_and_b32_e32 v36, 0x7fffff, v2
	v_or_b32_e32 v42, 0x7e, v5
	v_cmp_ne_u64_e32 vcc, s[38:39], v[8:9]
	s_and_saveexec_b64 s[20:21], vcc
	s_xor_b64 s[56:57], exec, s[20:21]
	s_cbranch_execz .LBB4_4208
; %bb.4199:                             ;   in Loop: Header=BB4_4148 Depth=2
	v_and_b32_e32 v8, 0x7fffffff, v2
	v_mov_b32_e32 v9, v37
	v_cmp_gt_u64_e32 vcc, s[40:41], v[8:9]
	s_and_saveexec_b64 s[58:59], vcc
	s_cbranch_execz .LBB4_4207
; %bb.4200:                             ;   in Loop: Header=BB4_4148 Depth=2
	v_cmp_ne_u32_e32 vcc, 0, v2
	v_mov_b32_e32 v42, 0
	s_and_saveexec_b64 s[60:61], vcc
	s_cbranch_execz .LBB4_4206
; %bb.4201:                             ;   in Loop: Header=BB4_4148 Depth=2
	v_bfe_u32 v2, v2, 23, 8
	v_sub_u32_e32 v6, 0x79, v2
	v_cmp_gt_u32_e32 vcc, s72, v2
	v_add_u32_e32 v3, 0xffffff81, v2
	v_cndmask_b32_e32 v6, 0, v6, vcc
	v_cmp_eq_u32_e32 vcc, 0, v2
	v_mov_b32_e32 v2, 0xffffff82
	v_cndmask_b32_e32 v9, v3, v2, vcc
	v_mov_b32_e32 v2, 0x78
	v_or_b32_e32 v8, 0x800000, v36
	v_cndmask_b32_e32 v6, v6, v2, vcc
	v_cndmask_b32_e32 v36, v8, v36, vcc
	v_add_u32_e32 v2, 20, v6
	v_lshlrev_b64 v[2:3], v2, -1
	v_add_u32_e32 v8, 19, v6
	v_lshrrev_b64 v[22:23], v6, v[36:37]
	v_not_b32_e32 v3, v3
	v_not_b32_e32 v2, v2
	v_lshlrev_b64 v[20:21], v8, 1
	v_lshrrev_b32_e32 v8, 23, v22
	v_and_b32_e32 v3, 0, v3
	v_and_b32_e32 v2, v36, v2
	v_add3_u32 v9, v6, v9, v8
	v_bfe_u32 v6, v22, 20, 1
	v_add_u32_e32 v6, -1, v6
	v_cmp_eq_u64_e32 vcc, v[2:3], v[20:21]
	v_cndmask_b32_e32 v2, 0, v6, vcc
	v_add_u32_e32 v2, v2, v22
	v_and_b32_e32 v2, 0xfffff, v2
	v_add_co_u32_e32 v2, vcc, v2, v22
	v_add_u32_e32 v8, 6, v9
	v_addc_co_u32_e32 v3, vcc, 0, v23, vcc
	v_cmp_ne_u32_e32 vcc, 0, v8
                                        ; implicit-def: $vgpr6
	s_and_saveexec_b64 s[20:21], vcc
	s_xor_b64 s[20:21], exec, s[20:21]
; %bb.4202:                             ;   in Loop: Header=BB4_4148 Depth=2
	v_add_u32_e32 v6, 7, v9
	v_cmp_lt_u64_e32 vcc, s[44:45], v[2:3]
	v_cndmask_b32_e32 v6, v8, v6, vcc
	v_cndmask_b32_e64 v8, 0, 1, vcc
	v_lshrrev_b64 v[2:3], v8, v[2:3]
; %bb.4203:                             ;   in Loop: Header=BB4_4148 Depth=2
	s_andn2_saveexec_b64 s[20:21], s[20:21]
; %bb.4204:                             ;   in Loop: Header=BB4_4148 Depth=2
	v_bfe_u32 v6, v2, 23, 1
; %bb.4205:                             ;   in Loop: Header=BB4_4148 Depth=2
	s_or_b64 exec, exec, s[20:21]
	v_lshrrev_b64 v[2:3], 20, v[2:3]
	v_cmp_gt_i32_e32 vcc, 16, v6
	v_cndmask_b32_e32 v3, 0, v3, vcc
	v_cndmask_b32_e32 v2, 7, v2, vcc
	v_cmp_eq_u64_e64 s[20:21], 0, v[2:3]
	v_min_i32_e32 v3, 15, v6
	v_cmp_eq_u32_e32 vcc, 0, v6
	v_lshlrev_b32_e32 v3, 3, v3
	v_and_or_b32 v2, v2, 7, v3
	s_and_b64 s[20:21], vcc, s[20:21]
	v_cndmask_b32_e64 v2, v2, 0, s[20:21]
	v_or_b32_e32 v42, v2, v5
.LBB4_4206:                             ;   in Loop: Header=BB4_4148 Depth=2
	s_or_b64 exec, exec, s[60:61]
.LBB4_4207:                             ;   in Loop: Header=BB4_4148 Depth=2
	s_or_b64 exec, exec, s[58:59]
                                        ; implicit-def: $vgpr2
.LBB4_4208:                             ;   in Loop: Header=BB4_4148 Depth=2
	s_andn2_saveexec_b64 s[20:21], s[56:57]
; %bb.4209:                             ;   in Loop: Header=BB4_4148 Depth=2
	v_or_b32_sdwa v2, v2, s69 dst_sel:DWORD dst_unused:UNUSED_PAD src0_sel:BYTE_3 src1_sel:DWORD
	v_cmp_eq_u64_e32 vcc, 0, v[36:37]
	v_cndmask_b32_e32 v42, v2, v42, vcc
; %bb.4210:                             ;   in Loop: Header=BB4_4148 Depth=2
	s_or_b64 exec, exec, s[20:21]
	v_cmp_lt_u32_e32 vcc, s43, v10
	v_mov_b32_e32 v3, 0
	s_and_saveexec_b64 s[20:21], vcc
	s_cbranch_execz .LBB4_4216
; %bb.4211:                             ;   in Loop: Header=BB4_4148 Depth=2
	v_lshrrev_b32_e32 v2, 24, v10
	v_cmp_ne_u32_e32 vcc, s71, v2
	v_bfrev_b32_e32 v3, 1
	s_and_saveexec_b64 s[56:57], vcc
	s_cbranch_execz .LBB4_4215
; %bb.4212:                             ;   in Loop: Header=BB4_4148 Depth=2
	v_bfe_u32 v5, v10, 24, 7
	v_cmp_ne_u32_e32 vcc, s69, v5
	v_mov_b32_e32 v3, 0x7f800001
	s_and_saveexec_b64 s[58:59], vcc
	s_cbranch_execz .LBB4_4214
; %bb.4213:                             ;   in Loop: Header=BB4_4148 Depth=2
	v_and_b32_e32 v3, 7, v2
	v_ffbh_u32_e32 v8, v3
	v_min_u32_e32 v20, 32, v8
	v_subrev_u32_e32 v8, 28, v20
	v_lshlrev_b64 v[8:9], v8, v[2:3]
	v_lshrrev_b32_e32 v6, 3, v5
	v_sub_u32_e32 v9, 29, v20
	v_and_b32_e32 v8, 7, v8
	v_cmp_gt_u32_e32 vcc, 8, v5
	v_cndmask_b32_e32 v5, v6, v9, vcc
	v_cndmask_b32_e32 v3, v3, v8, vcc
	v_lshlrev_b32_e32 v2, 24, v2
	v_bfrev_b32_e32 v6, 60
	v_lshlrev_b32_e32 v3, 20, v3
	v_and_b32_e32 v2, 0x80000000, v2
	v_lshl_add_u32 v5, v5, 23, v6
	v_or3_b32 v3, v2, v5, v3
.LBB4_4214:                             ;   in Loop: Header=BB4_4148 Depth=2
	s_or_b64 exec, exec, s[58:59]
.LBB4_4215:                             ;   in Loop: Header=BB4_4148 Depth=2
	s_or_b64 exec, exec, s[56:57]
.LBB4_4216:                             ;   in Loop: Header=BB4_4148 Depth=2
	s_or_b64 exec, exec, s[20:21]
	v_mul_f32_e32 v2, v7, v3
	v_and_b32_sdwa v5, v2, s71 dst_sel:DWORD dst_unused:UNUSED_PAD src0_sel:BYTE_3 src1_sel:DWORD
	v_and_b32_e32 v8, 0x7f800000, v2
	v_mov_b32_e32 v9, v37
	v_and_b32_e32 v36, 0x7fffff, v2
	v_or_b32_e32 v23, 0x7e, v5
	v_cmp_ne_u64_e32 vcc, s[38:39], v[8:9]
	s_and_saveexec_b64 s[20:21], vcc
	s_xor_b64 s[56:57], exec, s[20:21]
	s_cbranch_execz .LBB4_4226
; %bb.4217:                             ;   in Loop: Header=BB4_4148 Depth=2
	v_and_b32_e32 v8, 0x7fffffff, v2
	v_mov_b32_e32 v9, v37
	v_cmp_gt_u64_e32 vcc, s[40:41], v[8:9]
	s_and_saveexec_b64 s[58:59], vcc
	s_cbranch_execz .LBB4_4225
; %bb.4218:                             ;   in Loop: Header=BB4_4148 Depth=2
	v_cmp_ne_u32_e32 vcc, 0, v2
	v_mov_b32_e32 v23, 0
	s_and_saveexec_b64 s[60:61], vcc
	s_cbranch_execz .LBB4_4224
; %bb.4219:                             ;   in Loop: Header=BB4_4148 Depth=2
	v_bfe_u32 v2, v2, 23, 8
	v_sub_u32_e32 v6, 0x79, v2
	v_cmp_gt_u32_e32 vcc, s72, v2
	v_add_u32_e32 v3, 0xffffff81, v2
	v_cndmask_b32_e32 v6, 0, v6, vcc
	v_cmp_eq_u32_e32 vcc, 0, v2
	v_mov_b32_e32 v2, 0xffffff82
	v_cndmask_b32_e32 v9, v3, v2, vcc
	v_mov_b32_e32 v2, 0x78
	v_or_b32_e32 v8, 0x800000, v36
	v_cndmask_b32_e32 v6, v6, v2, vcc
	v_cndmask_b32_e32 v36, v8, v36, vcc
	v_add_u32_e32 v2, 20, v6
	v_lshlrev_b64 v[2:3], v2, -1
	v_add_u32_e32 v8, 19, v6
	v_lshrrev_b64 v[22:23], v6, v[36:37]
	v_not_b32_e32 v3, v3
	v_not_b32_e32 v2, v2
	v_lshlrev_b64 v[20:21], v8, 1
	v_lshrrev_b32_e32 v8, 23, v22
	v_and_b32_e32 v3, 0, v3
	v_and_b32_e32 v2, v36, v2
	v_add3_u32 v9, v6, v9, v8
	v_bfe_u32 v6, v22, 20, 1
	v_add_u32_e32 v6, -1, v6
	v_cmp_eq_u64_e32 vcc, v[2:3], v[20:21]
	v_cndmask_b32_e32 v2, 0, v6, vcc
	v_add_u32_e32 v2, v2, v22
	v_and_b32_e32 v2, 0xfffff, v2
	v_add_co_u32_e32 v2, vcc, v2, v22
	v_add_u32_e32 v8, 6, v9
	v_addc_co_u32_e32 v3, vcc, 0, v23, vcc
	v_cmp_ne_u32_e32 vcc, 0, v8
                                        ; implicit-def: $vgpr6
	s_and_saveexec_b64 s[20:21], vcc
	s_xor_b64 s[20:21], exec, s[20:21]
; %bb.4220:                             ;   in Loop: Header=BB4_4148 Depth=2
	v_add_u32_e32 v6, 7, v9
	v_cmp_lt_u64_e32 vcc, s[44:45], v[2:3]
	v_cndmask_b32_e32 v6, v8, v6, vcc
	v_cndmask_b32_e64 v8, 0, 1, vcc
	v_lshrrev_b64 v[2:3], v8, v[2:3]
; %bb.4221:                             ;   in Loop: Header=BB4_4148 Depth=2
	s_andn2_saveexec_b64 s[20:21], s[20:21]
; %bb.4222:                             ;   in Loop: Header=BB4_4148 Depth=2
	v_bfe_u32 v6, v2, 23, 1
; %bb.4223:                             ;   in Loop: Header=BB4_4148 Depth=2
	s_or_b64 exec, exec, s[20:21]
	v_lshrrev_b64 v[2:3], 20, v[2:3]
	v_cmp_gt_i32_e32 vcc, 16, v6
	v_cndmask_b32_e32 v3, 0, v3, vcc
	v_cndmask_b32_e32 v2, 7, v2, vcc
	v_cmp_eq_u64_e64 s[20:21], 0, v[2:3]
	v_min_i32_e32 v3, 15, v6
	v_cmp_eq_u32_e32 vcc, 0, v6
	v_lshlrev_b32_e32 v3, 3, v3
	v_and_or_b32 v2, v2, 7, v3
	s_and_b64 s[20:21], vcc, s[20:21]
	v_cndmask_b32_e64 v2, v2, 0, s[20:21]
	v_or_b32_e32 v23, v2, v5
.LBB4_4224:                             ;   in Loop: Header=BB4_4148 Depth=2
	s_or_b64 exec, exec, s[60:61]
.LBB4_4225:                             ;   in Loop: Header=BB4_4148 Depth=2
	s_or_b64 exec, exec, s[58:59]
                                        ; implicit-def: $vgpr2
.LBB4_4226:                             ;   in Loop: Header=BB4_4148 Depth=2
	s_andn2_saveexec_b64 s[20:21], s[56:57]
; %bb.4227:                             ;   in Loop: Header=BB4_4148 Depth=2
	v_or_b32_sdwa v2, v2, s69 dst_sel:DWORD dst_unused:UNUSED_PAD src0_sel:BYTE_3 src1_sel:DWORD
	v_cmp_eq_u64_e32 vcc, 0, v[36:37]
	v_cndmask_b32_e32 v23, v2, v23, vcc
; %bb.4228:                             ;   in Loop: Header=BB4_4148 Depth=2
	s_or_b64 exec, exec, s[20:21]
	v_mov_b32_e32 v36, v11
	v_cmp_ne_u16_sdwa vcc, v11, v37 src0_sel:BYTE_0 src1_sel:DWORD
	v_mov_b32_e32 v2, 0
	s_and_saveexec_b64 s[20:21], vcc
	s_cbranch_execz .LBB4_4234
; %bb.4229:                             ;   in Loop: Header=BB4_4148 Depth=2
	v_cmp_ne_u16_sdwa vcc, v11, s71 src0_sel:BYTE_0 src1_sel:DWORD
	v_bfrev_b32_e32 v2, 1
	s_and_saveexec_b64 s[56:57], vcc
	s_cbranch_execz .LBB4_4233
; %bb.4230:                             ;   in Loop: Header=BB4_4148 Depth=2
	v_and_b32_e32 v3, 0x7f, v11
	v_cmp_ne_u32_e32 vcc, s69, v3
	v_mov_b32_e32 v2, 0x7f800001
	s_and_saveexec_b64 s[58:59], vcc
	s_cbranch_execz .LBB4_4232
; %bb.4231:                             ;   in Loop: Header=BB4_4148 Depth=2
	v_and_b32_e32 v2, 7, v11
	v_ffbh_u32_e32 v2, v2
	v_min_u32_e32 v2, 32, v2
	v_lshrrev_b32_e32 v5, 3, v3
	v_subrev_u32_e32 v6, 28, v2
	v_sub_u32_e32 v2, 29, v2
	v_cmp_gt_u32_e32 vcc, 8, v3
	v_cndmask_b32_e32 v5, v5, v2, vcc
	v_cndmask_b32_e32 v2, 0, v6, vcc
	v_lshlrev_b64 v[2:3], v2, v[36:37]
	v_lshlrev_b32_e32 v2, 20, v2
	v_lshlrev_b32_e32 v3, 24, v36
	v_bfrev_b32_e32 v6, 60
	v_and_b32_e32 v2, 0x700000, v2
	v_and_b32_e32 v3, 0x80000000, v3
	v_lshl_add_u32 v5, v5, 23, v6
	v_or3_b32 v2, v3, v5, v2
.LBB4_4232:                             ;   in Loop: Header=BB4_4148 Depth=2
	s_or_b64 exec, exec, s[58:59]
.LBB4_4233:                             ;   in Loop: Header=BB4_4148 Depth=2
	s_or_b64 exec, exec, s[56:57]
.LBB4_4234:                             ;   in Loop: Header=BB4_4148 Depth=2
	s_or_b64 exec, exec, s[20:21]
	v_mul_f32_e32 v6, v7, v2
	v_and_b32_sdwa v5, v6, s71 dst_sel:DWORD dst_unused:UNUSED_PAD src0_sel:BYTE_3 src1_sel:DWORD
	v_and_b32_e32 v8, 0x7f800000, v6
	v_mov_b32_e32 v9, v37
	v_and_b32_e32 v2, 0x7fffff, v6
	v_mov_b32_e32 v3, v37
	v_or_b32_e32 v20, 0x7e, v5
	v_cmp_ne_u64_e32 vcc, s[38:39], v[8:9]
	s_and_saveexec_b64 s[20:21], vcc
	s_xor_b64 s[56:57], exec, s[20:21]
	s_cbranch_execz .LBB4_4244
; %bb.4235:                             ;   in Loop: Header=BB4_4148 Depth=2
	v_and_b32_e32 v8, 0x7fffffff, v6
	v_mov_b32_e32 v9, v37
	v_cmp_gt_u64_e32 vcc, s[40:41], v[8:9]
	s_and_saveexec_b64 s[58:59], vcc
	s_cbranch_execz .LBB4_4243
; %bb.4236:                             ;   in Loop: Header=BB4_4148 Depth=2
	v_cmp_ne_u32_e32 vcc, 0, v6
	v_mov_b32_e32 v20, 0
	s_and_saveexec_b64 s[60:61], vcc
	s_cbranch_execz .LBB4_4242
; %bb.4237:                             ;   in Loop: Header=BB4_4148 Depth=2
	v_bfe_u32 v6, v6, 23, 8
	v_sub_u32_e32 v9, 0x79, v6
	v_cmp_gt_u32_e32 vcc, s72, v6
	v_add_u32_e32 v8, 0xffffff81, v6
	v_cndmask_b32_e32 v9, 0, v9, vcc
	v_cmp_eq_u32_e32 vcc, 0, v6
	v_mov_b32_e32 v6, 0xffffff82
	v_cndmask_b32_e32 v6, v8, v6, vcc
	v_mov_b32_e32 v8, 0x78
	v_cndmask_b32_e32 v22, v9, v8, vcc
	v_add_u32_e32 v8, 20, v22
	v_or_b32_e32 v20, 0x800000, v2
	v_lshlrev_b64 v[8:9], v8, -1
	v_cndmask_b32_e32 v2, v20, v2, vcc
	v_not_b32_e32 v8, v8
	v_and_b32_e32 v20, v2, v8
	v_add_u32_e32 v8, 19, v22
	v_lshrrev_b64 v[2:3], v22, v[2:3]
	v_not_b32_e32 v9, v9
	v_lshlrev_b64 v[24:25], v8, 1
	v_lshrrev_b32_e32 v8, 23, v2
	v_and_b32_e32 v21, 0, v9
	v_add3_u32 v9, v22, v6, v8
	v_bfe_u32 v6, v2, 20, 1
	v_add_u32_e32 v6, -1, v6
	v_cmp_eq_u64_e32 vcc, v[20:21], v[24:25]
	v_cndmask_b32_e32 v6, 0, v6, vcc
	v_add_u32_e32 v6, v6, v2
	v_and_b32_e32 v6, 0xfffff, v6
	v_add_co_u32_e32 v2, vcc, v6, v2
	v_add_u32_e32 v8, 6, v9
	v_addc_co_u32_e32 v3, vcc, 0, v3, vcc
	v_cmp_ne_u32_e32 vcc, 0, v8
                                        ; implicit-def: $vgpr6
	s_and_saveexec_b64 s[20:21], vcc
	s_xor_b64 s[20:21], exec, s[20:21]
; %bb.4238:                             ;   in Loop: Header=BB4_4148 Depth=2
	v_add_u32_e32 v6, 7, v9
	v_cmp_lt_u64_e32 vcc, s[44:45], v[2:3]
	v_cndmask_b32_e32 v6, v8, v6, vcc
	v_cndmask_b32_e64 v8, 0, 1, vcc
	v_lshrrev_b64 v[2:3], v8, v[2:3]
; %bb.4239:                             ;   in Loop: Header=BB4_4148 Depth=2
	s_andn2_saveexec_b64 s[20:21], s[20:21]
; %bb.4240:                             ;   in Loop: Header=BB4_4148 Depth=2
	v_bfe_u32 v6, v2, 23, 1
; %bb.4241:                             ;   in Loop: Header=BB4_4148 Depth=2
	s_or_b64 exec, exec, s[20:21]
	v_lshrrev_b64 v[2:3], 20, v[2:3]
	v_cmp_gt_i32_e32 vcc, 16, v6
	v_cndmask_b32_e32 v3, 0, v3, vcc
	v_cndmask_b32_e32 v2, 7, v2, vcc
	v_cmp_eq_u64_e64 s[20:21], 0, v[2:3]
	v_min_i32_e32 v3, 15, v6
	v_cmp_eq_u32_e32 vcc, 0, v6
	v_lshlrev_b32_e32 v3, 3, v3
	v_and_or_b32 v2, v2, 7, v3
	s_and_b64 s[20:21], vcc, s[20:21]
	v_cndmask_b32_e64 v2, v2, 0, s[20:21]
	v_or_b32_e32 v20, v2, v5
.LBB4_4242:                             ;   in Loop: Header=BB4_4148 Depth=2
	s_or_b64 exec, exec, s[60:61]
.LBB4_4243:                             ;   in Loop: Header=BB4_4148 Depth=2
	s_or_b64 exec, exec, s[58:59]
                                        ; implicit-def: $vgpr6
                                        ; implicit-def: $vgpr2_vgpr3
.LBB4_4244:                             ;   in Loop: Header=BB4_4148 Depth=2
	s_andn2_saveexec_b64 s[20:21], s[56:57]
; %bb.4245:                             ;   in Loop: Header=BB4_4148 Depth=2
	v_or_b32_sdwa v5, v6, s69 dst_sel:DWORD dst_unused:UNUSED_PAD src0_sel:BYTE_3 src1_sel:DWORD
	v_cmp_eq_u64_e32 vcc, 0, v[2:3]
	v_cndmask_b32_e32 v20, v5, v20, vcc
; %bb.4246:                             ;   in Loop: Header=BB4_4148 Depth=2
	s_or_b64 exec, exec, s[20:21]
	v_lshrrev_b16_e32 v2, 8, v36
	v_cmp_ne_u16_e32 vcc, 0, v2
	v_mov_b32_e32 v3, 0
	s_and_saveexec_b64 s[20:21], vcc
	s_cbranch_execz .LBB4_4252
; %bb.4247:                             ;   in Loop: Header=BB4_4148 Depth=2
	v_cmp_ne_u16_e32 vcc, s71, v2
	v_bfrev_b32_e32 v3, 1
	s_and_saveexec_b64 s[56:57], vcc
	s_cbranch_execz .LBB4_4251
; %bb.4248:                             ;   in Loop: Header=BB4_4148 Depth=2
	v_and_b32_e32 v5, 0x7f, v2
	v_cmp_ne_u32_e32 vcc, s69, v5
	v_mov_b32_e32 v3, 0x7f800001
	s_and_saveexec_b64 s[58:59], vcc
	s_cbranch_execz .LBB4_4250
; %bb.4249:                             ;   in Loop: Header=BB4_4148 Depth=2
	v_and_b32_e32 v6, 7, v2
	v_ffbh_u32_e32 v3, v6
	v_min_u32_e32 v9, 32, v3
	v_subrev_u32_e32 v3, 28, v9
	v_lshlrev_b64 v[2:3], v3, v[2:3]
	v_lshrrev_b32_e32 v8, 3, v5
	v_sub_u32_e32 v3, 29, v9
	v_and_b32_e32 v2, 7, v2
	v_cmp_gt_u32_e32 vcc, 8, v5
	v_cndmask_b32_e32 v3, v8, v3, vcc
	v_cndmask_b32_e32 v2, v6, v2, vcc
	v_lshlrev_b32_e32 v5, 16, v36
	v_bfrev_b32_e32 v6, 60
	v_lshlrev_b32_e32 v2, 20, v2
	v_and_b32_e32 v5, 0x80000000, v5
	v_lshl_add_u32 v3, v3, 23, v6
	v_or3_b32 v3, v5, v3, v2
.LBB4_4250:                             ;   in Loop: Header=BB4_4148 Depth=2
	s_or_b64 exec, exec, s[58:59]
.LBB4_4251:                             ;   in Loop: Header=BB4_4148 Depth=2
	s_or_b64 exec, exec, s[56:57]
.LBB4_4252:                             ;   in Loop: Header=BB4_4148 Depth=2
	s_or_b64 exec, exec, s[20:21]
	v_mul_f32_e32 v2, v7, v3
	v_and_b32_sdwa v5, v2, s71 dst_sel:DWORD dst_unused:UNUSED_PAD src0_sel:BYTE_3 src1_sel:DWORD
	v_and_b32_e32 v8, 0x7f800000, v2
	v_mov_b32_e32 v9, v37
	v_and_b32_e32 v36, 0x7fffff, v2
	v_or_b32_e32 v30, 0x7e, v5
	v_cmp_ne_u64_e32 vcc, s[38:39], v[8:9]
	s_and_saveexec_b64 s[20:21], vcc
	s_xor_b64 s[56:57], exec, s[20:21]
	s_cbranch_execz .LBB4_4262
; %bb.4253:                             ;   in Loop: Header=BB4_4148 Depth=2
	v_and_b32_e32 v8, 0x7fffffff, v2
	v_mov_b32_e32 v9, v37
	v_cmp_gt_u64_e32 vcc, s[40:41], v[8:9]
	s_and_saveexec_b64 s[58:59], vcc
	s_cbranch_execz .LBB4_4261
; %bb.4254:                             ;   in Loop: Header=BB4_4148 Depth=2
	v_cmp_ne_u32_e32 vcc, 0, v2
	v_mov_b32_e32 v30, 0
	s_and_saveexec_b64 s[60:61], vcc
	s_cbranch_execz .LBB4_4260
; %bb.4255:                             ;   in Loop: Header=BB4_4148 Depth=2
	v_bfe_u32 v2, v2, 23, 8
	v_sub_u32_e32 v6, 0x79, v2
	v_cmp_gt_u32_e32 vcc, s72, v2
	v_add_u32_e32 v3, 0xffffff81, v2
	v_cndmask_b32_e32 v6, 0, v6, vcc
	v_cmp_eq_u32_e32 vcc, 0, v2
	v_mov_b32_e32 v2, 0xffffff82
	v_cndmask_b32_e32 v9, v3, v2, vcc
	v_mov_b32_e32 v2, 0x78
	v_or_b32_e32 v8, 0x800000, v36
	v_cndmask_b32_e32 v6, v6, v2, vcc
	v_cndmask_b32_e32 v36, v8, v36, vcc
	v_add_u32_e32 v2, 20, v6
	v_lshlrev_b64 v[2:3], v2, -1
	v_add_u32_e32 v8, 19, v6
	v_lshrrev_b64 v[30:31], v6, v[36:37]
	v_not_b32_e32 v3, v3
	v_not_b32_e32 v2, v2
	v_lshlrev_b64 v[24:25], v8, 1
	v_lshrrev_b32_e32 v8, 23, v30
	v_and_b32_e32 v3, 0, v3
	v_and_b32_e32 v2, v36, v2
	v_add3_u32 v9, v6, v9, v8
	v_bfe_u32 v6, v30, 20, 1
	v_add_u32_e32 v6, -1, v6
	v_cmp_eq_u64_e32 vcc, v[2:3], v[24:25]
	v_cndmask_b32_e32 v2, 0, v6, vcc
	v_add_u32_e32 v2, v2, v30
	v_and_b32_e32 v2, 0xfffff, v2
	v_add_co_u32_e32 v2, vcc, v2, v30
	v_add_u32_e32 v8, 6, v9
	v_addc_co_u32_e32 v3, vcc, 0, v31, vcc
	v_cmp_ne_u32_e32 vcc, 0, v8
                                        ; implicit-def: $vgpr6
	s_and_saveexec_b64 s[20:21], vcc
	s_xor_b64 s[20:21], exec, s[20:21]
; %bb.4256:                             ;   in Loop: Header=BB4_4148 Depth=2
	v_add_u32_e32 v6, 7, v9
	v_cmp_lt_u64_e32 vcc, s[44:45], v[2:3]
	v_cndmask_b32_e32 v6, v8, v6, vcc
	v_cndmask_b32_e64 v8, 0, 1, vcc
	v_lshrrev_b64 v[2:3], v8, v[2:3]
; %bb.4257:                             ;   in Loop: Header=BB4_4148 Depth=2
	s_andn2_saveexec_b64 s[20:21], s[20:21]
; %bb.4258:                             ;   in Loop: Header=BB4_4148 Depth=2
	v_bfe_u32 v6, v2, 23, 1
; %bb.4259:                             ;   in Loop: Header=BB4_4148 Depth=2
	s_or_b64 exec, exec, s[20:21]
	v_lshrrev_b64 v[2:3], 20, v[2:3]
	v_cmp_gt_i32_e32 vcc, 16, v6
	v_cndmask_b32_e32 v3, 0, v3, vcc
	v_cndmask_b32_e32 v2, 7, v2, vcc
	v_cmp_eq_u64_e64 s[20:21], 0, v[2:3]
	v_min_i32_e32 v3, 15, v6
	v_lshlrev_b32_e32 v3, 3, v3
	v_cmp_eq_u32_e32 vcc, 0, v6
	v_and_b32_e32 v3, 0xf8, v3
	v_and_or_b32 v2, v2, 7, v3
	s_and_b64 s[20:21], vcc, s[20:21]
	v_cndmask_b32_e64 v2, v2, 0, s[20:21]
	v_or_b32_e32 v30, v2, v5
.LBB4_4260:                             ;   in Loop: Header=BB4_4148 Depth=2
	s_or_b64 exec, exec, s[60:61]
.LBB4_4261:                             ;   in Loop: Header=BB4_4148 Depth=2
	s_or_b64 exec, exec, s[58:59]
                                        ; implicit-def: $vgpr2
.LBB4_4262:                             ;   in Loop: Header=BB4_4148 Depth=2
	s_andn2_saveexec_b64 s[20:21], s[56:57]
; %bb.4263:                             ;   in Loop: Header=BB4_4148 Depth=2
	v_or_b32_sdwa v2, v2, s69 dst_sel:DWORD dst_unused:UNUSED_PAD src0_sel:BYTE_3 src1_sel:DWORD
	v_cmp_eq_u64_e32 vcc, 0, v[36:37]
	v_cndmask_b32_e32 v30, v2, v30, vcc
; %bb.4264:                             ;   in Loop: Header=BB4_4148 Depth=2
	s_or_b64 exec, exec, s[20:21]
	v_lshrrev_b32_e32 v2, 16, v11
	v_cmp_ne_u16_sdwa vcc, v2, v37 src0_sel:BYTE_0 src1_sel:DWORD
	v_mov_b32_e32 v3, 0
	s_and_saveexec_b64 s[20:21], vcc
	s_cbranch_execz .LBB4_4270
; %bb.4265:                             ;   in Loop: Header=BB4_4148 Depth=2
	v_cmp_ne_u16_sdwa vcc, v2, s71 src0_sel:BYTE_0 src1_sel:DWORD
	v_bfrev_b32_e32 v3, 1
	s_and_saveexec_b64 s[56:57], vcc
	s_cbranch_execz .LBB4_4269
; %bb.4266:                             ;   in Loop: Header=BB4_4148 Depth=2
	v_bfe_u32 v5, v11, 16, 7
	v_cmp_ne_u32_e32 vcc, s69, v5
	v_mov_b32_e32 v3, 0x7f800001
	s_and_saveexec_b64 s[58:59], vcc
	s_cbranch_execz .LBB4_4268
; %bb.4267:                             ;   in Loop: Header=BB4_4148 Depth=2
	v_and_b32_e32 v3, 7, v2
	v_ffbh_u32_e32 v8, v3
	v_min_u32_e32 v21, 32, v8
	v_subrev_u32_e32 v8, 28, v21
	v_lshlrev_b64 v[8:9], v8, v[2:3]
	v_lshrrev_b32_e32 v6, 3, v5
	v_sub_u32_e32 v9, 29, v21
	v_and_b32_e32 v8, 7, v8
	v_cmp_gt_u32_e32 vcc, 8, v5
	v_cndmask_b32_e32 v5, v6, v9, vcc
	v_cndmask_b32_e32 v3, v3, v8, vcc
	v_lshlrev_b32_e32 v2, 24, v2
	v_bfrev_b32_e32 v6, 60
	v_lshlrev_b32_e32 v3, 20, v3
	v_and_b32_e32 v2, 0x80000000, v2
	v_lshl_add_u32 v5, v5, 23, v6
	v_or3_b32 v3, v2, v5, v3
.LBB4_4268:                             ;   in Loop: Header=BB4_4148 Depth=2
	s_or_b64 exec, exec, s[58:59]
.LBB4_4269:                             ;   in Loop: Header=BB4_4148 Depth=2
	s_or_b64 exec, exec, s[56:57]
.LBB4_4270:                             ;   in Loop: Header=BB4_4148 Depth=2
	s_or_b64 exec, exec, s[20:21]
	v_mul_f32_e32 v2, v7, v3
	v_and_b32_sdwa v5, v2, s71 dst_sel:DWORD dst_unused:UNUSED_PAD src0_sel:BYTE_3 src1_sel:DWORD
	v_and_b32_e32 v8, 0x7f800000, v2
	v_mov_b32_e32 v9, v37
	v_and_b32_e32 v36, 0x7fffff, v2
	v_or_b32_e32 v31, 0x7e, v5
	v_cmp_ne_u64_e32 vcc, s[38:39], v[8:9]
	s_and_saveexec_b64 s[20:21], vcc
	s_xor_b64 s[56:57], exec, s[20:21]
	s_cbranch_execz .LBB4_4280
; %bb.4271:                             ;   in Loop: Header=BB4_4148 Depth=2
	v_and_b32_e32 v8, 0x7fffffff, v2
	v_mov_b32_e32 v9, v37
	v_cmp_gt_u64_e32 vcc, s[40:41], v[8:9]
	s_and_saveexec_b64 s[58:59], vcc
	s_cbranch_execz .LBB4_4279
; %bb.4272:                             ;   in Loop: Header=BB4_4148 Depth=2
	v_cmp_ne_u32_e32 vcc, 0, v2
	v_mov_b32_e32 v31, 0
	s_and_saveexec_b64 s[60:61], vcc
	s_cbranch_execz .LBB4_4278
; %bb.4273:                             ;   in Loop: Header=BB4_4148 Depth=2
	v_bfe_u32 v2, v2, 23, 8
	v_sub_u32_e32 v6, 0x79, v2
	v_cmp_gt_u32_e32 vcc, s72, v2
	v_add_u32_e32 v3, 0xffffff81, v2
	v_cndmask_b32_e32 v6, 0, v6, vcc
	v_cmp_eq_u32_e32 vcc, 0, v2
	v_mov_b32_e32 v2, 0xffffff82
	v_cndmask_b32_e32 v9, v3, v2, vcc
	v_mov_b32_e32 v2, 0x78
	v_or_b32_e32 v8, 0x800000, v36
	v_cndmask_b32_e32 v6, v6, v2, vcc
	v_cndmask_b32_e32 v36, v8, v36, vcc
	v_add_u32_e32 v2, 20, v6
	v_lshlrev_b64 v[2:3], v2, -1
	v_add_u32_e32 v8, 19, v6
	v_lshrrev_b64 v[32:33], v6, v[36:37]
	v_not_b32_e32 v3, v3
	v_not_b32_e32 v2, v2
	v_lshlrev_b64 v[24:25], v8, 1
	v_lshrrev_b32_e32 v8, 23, v32
	v_and_b32_e32 v3, 0, v3
	v_and_b32_e32 v2, v36, v2
	v_add3_u32 v9, v6, v9, v8
	v_bfe_u32 v6, v32, 20, 1
	v_add_u32_e32 v6, -1, v6
	v_cmp_eq_u64_e32 vcc, v[2:3], v[24:25]
	v_cndmask_b32_e32 v2, 0, v6, vcc
	v_add_u32_e32 v2, v2, v32
	v_and_b32_e32 v2, 0xfffff, v2
	v_add_co_u32_e32 v2, vcc, v2, v32
	v_add_u32_e32 v8, 6, v9
	v_addc_co_u32_e32 v3, vcc, 0, v33, vcc
	v_cmp_ne_u32_e32 vcc, 0, v8
                                        ; implicit-def: $vgpr6
	s_and_saveexec_b64 s[20:21], vcc
	s_xor_b64 s[20:21], exec, s[20:21]
; %bb.4274:                             ;   in Loop: Header=BB4_4148 Depth=2
	v_add_u32_e32 v6, 7, v9
	v_cmp_lt_u64_e32 vcc, s[44:45], v[2:3]
	v_cndmask_b32_e32 v6, v8, v6, vcc
	v_cndmask_b32_e64 v8, 0, 1, vcc
	v_lshrrev_b64 v[2:3], v8, v[2:3]
; %bb.4275:                             ;   in Loop: Header=BB4_4148 Depth=2
	s_andn2_saveexec_b64 s[20:21], s[20:21]
; %bb.4276:                             ;   in Loop: Header=BB4_4148 Depth=2
	v_bfe_u32 v6, v2, 23, 1
; %bb.4277:                             ;   in Loop: Header=BB4_4148 Depth=2
	s_or_b64 exec, exec, s[20:21]
	v_lshrrev_b64 v[2:3], 20, v[2:3]
	v_cmp_gt_i32_e32 vcc, 16, v6
	v_cndmask_b32_e32 v3, 0, v3, vcc
	v_cndmask_b32_e32 v2, 7, v2, vcc
	v_cmp_eq_u64_e64 s[20:21], 0, v[2:3]
	v_min_i32_e32 v3, 15, v6
	v_lshlrev_b32_e32 v3, 3, v3
	v_cmp_eq_u32_e32 vcc, 0, v6
	v_and_b32_e32 v3, 0xf8, v3
	v_and_or_b32 v2, v2, 7, v3
	s_and_b64 s[20:21], vcc, s[20:21]
	v_cndmask_b32_e64 v2, v2, 0, s[20:21]
	v_or_b32_e32 v31, v2, v5
.LBB4_4278:                             ;   in Loop: Header=BB4_4148 Depth=2
	s_or_b64 exec, exec, s[60:61]
.LBB4_4279:                             ;   in Loop: Header=BB4_4148 Depth=2
	s_or_b64 exec, exec, s[58:59]
                                        ; implicit-def: $vgpr2
.LBB4_4280:                             ;   in Loop: Header=BB4_4148 Depth=2
	s_andn2_saveexec_b64 s[20:21], s[56:57]
; %bb.4281:                             ;   in Loop: Header=BB4_4148 Depth=2
	v_or_b32_sdwa v2, v2, s69 dst_sel:DWORD dst_unused:UNUSED_PAD src0_sel:BYTE_3 src1_sel:DWORD
	v_cmp_eq_u64_e32 vcc, 0, v[36:37]
	v_cndmask_b32_e32 v31, v2, v31, vcc
; %bb.4282:                             ;   in Loop: Header=BB4_4148 Depth=2
	s_or_b64 exec, exec, s[20:21]
	v_cmp_lt_u64_e32 vcc, s[42:43], v[10:11]
	v_mov_b32_e32 v3, 0
	s_and_saveexec_b64 s[20:21], vcc
	s_cbranch_execz .LBB4_4288
; %bb.4283:                             ;   in Loop: Header=BB4_4148 Depth=2
	v_lshrrev_b32_e32 v2, 24, v11
	v_cmp_ne_u32_e32 vcc, s71, v2
	v_bfrev_b32_e32 v3, 1
	s_and_saveexec_b64 s[56:57], vcc
	s_cbranch_execz .LBB4_4287
; %bb.4284:                             ;   in Loop: Header=BB4_4148 Depth=2
	v_bfe_u32 v5, v11, 24, 7
	v_cmp_ne_u32_e32 vcc, s69, v5
	v_mov_b32_e32 v3, 0x7f800001
	s_and_saveexec_b64 s[58:59], vcc
	s_cbranch_execz .LBB4_4286
; %bb.4285:                             ;   in Loop: Header=BB4_4148 Depth=2
	v_and_b32_e32 v3, 7, v2
	v_ffbh_u32_e32 v8, v3
	v_min_u32_e32 v10, 32, v8
	v_subrev_u32_e32 v8, 28, v10
	v_lshlrev_b64 v[8:9], v8, v[2:3]
	v_lshrrev_b32_e32 v6, 3, v5
	v_sub_u32_e32 v9, 29, v10
	v_and_b32_e32 v8, 7, v8
	v_cmp_gt_u32_e32 vcc, 8, v5
	v_cndmask_b32_e32 v5, v6, v9, vcc
	v_cndmask_b32_e32 v3, v3, v8, vcc
	v_lshlrev_b32_e32 v2, 24, v2
	v_bfrev_b32_e32 v6, 60
	v_lshlrev_b32_e32 v3, 20, v3
	v_and_b32_e32 v2, 0x80000000, v2
	v_lshl_add_u32 v5, v5, 23, v6
	v_or3_b32 v3, v2, v5, v3
.LBB4_4286:                             ;   in Loop: Header=BB4_4148 Depth=2
	s_or_b64 exec, exec, s[58:59]
.LBB4_4287:                             ;   in Loop: Header=BB4_4148 Depth=2
	s_or_b64 exec, exec, s[56:57]
.LBB4_4288:                             ;   in Loop: Header=BB4_4148 Depth=2
	s_or_b64 exec, exec, s[20:21]
	v_mul_f32_e32 v2, v7, v3
	v_and_b32_sdwa v5, v2, s71 dst_sel:DWORD dst_unused:UNUSED_PAD src0_sel:BYTE_3 src1_sel:DWORD
	v_and_b32_e32 v8, 0x7f800000, v2
	v_mov_b32_e32 v9, v37
	v_and_b32_e32 v36, 0x7fffff, v2
	v_or_b32_e32 v32, 0x7e, v5
	v_cmp_ne_u64_e32 vcc, s[38:39], v[8:9]
	s_and_saveexec_b64 s[20:21], vcc
	s_xor_b64 s[56:57], exec, s[20:21]
	s_cbranch_execz .LBB4_4298
; %bb.4289:                             ;   in Loop: Header=BB4_4148 Depth=2
	v_and_b32_e32 v8, 0x7fffffff, v2
	v_mov_b32_e32 v9, v37
	v_cmp_gt_u64_e32 vcc, s[40:41], v[8:9]
	s_and_saveexec_b64 s[58:59], vcc
	s_cbranch_execz .LBB4_4297
; %bb.4290:                             ;   in Loop: Header=BB4_4148 Depth=2
	v_cmp_ne_u32_e32 vcc, 0, v2
	v_mov_b32_e32 v32, 0
	s_and_saveexec_b64 s[60:61], vcc
	s_cbranch_execz .LBB4_4296
; %bb.4291:                             ;   in Loop: Header=BB4_4148 Depth=2
	v_bfe_u32 v2, v2, 23, 8
	v_sub_u32_e32 v6, 0x79, v2
	v_cmp_gt_u32_e32 vcc, s72, v2
	v_add_u32_e32 v3, 0xffffff81, v2
	v_cndmask_b32_e32 v6, 0, v6, vcc
	v_cmp_eq_u32_e32 vcc, 0, v2
	v_mov_b32_e32 v2, 0xffffff82
	v_cndmask_b32_e32 v9, v3, v2, vcc
	v_mov_b32_e32 v2, 0x78
	v_or_b32_e32 v8, 0x800000, v36
	v_cndmask_b32_e32 v6, v6, v2, vcc
	v_cndmask_b32_e32 v36, v8, v36, vcc
	v_add_u32_e32 v2, 20, v6
	v_lshlrev_b64 v[2:3], v2, -1
	v_add_u32_e32 v8, 19, v6
	v_lshrrev_b64 v[24:25], v6, v[36:37]
	v_not_b32_e32 v3, v3
	v_not_b32_e32 v2, v2
	v_lshlrev_b64 v[10:11], v8, 1
	v_lshrrev_b32_e32 v8, 23, v24
	v_and_b32_e32 v3, 0, v3
	v_and_b32_e32 v2, v36, v2
	v_add3_u32 v9, v6, v9, v8
	v_bfe_u32 v6, v24, 20, 1
	v_add_u32_e32 v6, -1, v6
	v_cmp_eq_u64_e32 vcc, v[2:3], v[10:11]
	v_cndmask_b32_e32 v2, 0, v6, vcc
	v_add_u32_e32 v2, v2, v24
	v_and_b32_e32 v2, 0xfffff, v2
	v_add_co_u32_e32 v2, vcc, v2, v24
	v_add_u32_e32 v8, 6, v9
	v_addc_co_u32_e32 v3, vcc, 0, v25, vcc
	v_cmp_ne_u32_e32 vcc, 0, v8
                                        ; implicit-def: $vgpr6
	s_and_saveexec_b64 s[20:21], vcc
	s_xor_b64 s[20:21], exec, s[20:21]
; %bb.4292:                             ;   in Loop: Header=BB4_4148 Depth=2
	v_add_u32_e32 v6, 7, v9
	v_cmp_lt_u64_e32 vcc, s[44:45], v[2:3]
	v_cndmask_b32_e32 v6, v8, v6, vcc
	v_cndmask_b32_e64 v8, 0, 1, vcc
	v_lshrrev_b64 v[2:3], v8, v[2:3]
; %bb.4293:                             ;   in Loop: Header=BB4_4148 Depth=2
	s_andn2_saveexec_b64 s[20:21], s[20:21]
; %bb.4294:                             ;   in Loop: Header=BB4_4148 Depth=2
	v_bfe_u32 v6, v2, 23, 1
; %bb.4295:                             ;   in Loop: Header=BB4_4148 Depth=2
	s_or_b64 exec, exec, s[20:21]
	v_lshrrev_b64 v[2:3], 20, v[2:3]
	v_cmp_gt_i32_e32 vcc, 16, v6
	v_cndmask_b32_e32 v3, 0, v3, vcc
	v_cndmask_b32_e32 v2, 7, v2, vcc
	v_cmp_eq_u64_e64 s[20:21], 0, v[2:3]
	v_min_i32_e32 v3, 15, v6
	v_lshlrev_b32_e32 v3, 3, v3
	v_cmp_eq_u32_e32 vcc, 0, v6
	v_and_b32_e32 v3, 0xf8, v3
	v_and_or_b32 v2, v2, 7, v3
	s_and_b64 s[20:21], vcc, s[20:21]
	v_cndmask_b32_e64 v2, v2, 0, s[20:21]
	v_or_b32_e32 v32, v2, v5
.LBB4_4296:                             ;   in Loop: Header=BB4_4148 Depth=2
	s_or_b64 exec, exec, s[60:61]
.LBB4_4297:                             ;   in Loop: Header=BB4_4148 Depth=2
	s_or_b64 exec, exec, s[58:59]
                                        ; implicit-def: $vgpr2
.LBB4_4298:                             ;   in Loop: Header=BB4_4148 Depth=2
	s_andn2_saveexec_b64 s[20:21], s[56:57]
; %bb.4299:                             ;   in Loop: Header=BB4_4148 Depth=2
	v_or_b32_sdwa v2, v2, s69 dst_sel:DWORD dst_unused:UNUSED_PAD src0_sel:BYTE_3 src1_sel:DWORD
	v_cmp_eq_u64_e32 vcc, 0, v[36:37]
	v_cndmask_b32_e32 v32, v2, v32, vcc
; %bb.4300:                             ;   in Loop: Header=BB4_4148 Depth=2
	s_or_b64 exec, exec, s[20:21]
	v_cmp_ne_u16_sdwa vcc, v12, v37 src0_sel:BYTE_0 src1_sel:DWORD
	v_mov_b32_e32 v2, 0
	s_and_saveexec_b64 s[20:21], vcc
	s_cbranch_execz .LBB4_4306
; %bb.4301:                             ;   in Loop: Header=BB4_4148 Depth=2
	v_cmp_ne_u16_sdwa vcc, v12, s71 src0_sel:BYTE_0 src1_sel:DWORD
	v_bfrev_b32_e32 v2, 1
	s_and_saveexec_b64 s[56:57], vcc
	s_cbranch_execz .LBB4_4305
; %bb.4302:                             ;   in Loop: Header=BB4_4148 Depth=2
	v_and_b32_e32 v3, 0x7f, v12
	v_cmp_ne_u32_e32 vcc, s69, v3
	v_mov_b32_e32 v2, 0x7f800001
	s_and_saveexec_b64 s[58:59], vcc
	s_cbranch_execz .LBB4_4304
; %bb.4303:                             ;   in Loop: Header=BB4_4148 Depth=2
	v_and_b32_e32 v2, 7, v12
	v_ffbh_u32_e32 v2, v2
	v_min_u32_e32 v2, 32, v2
	v_lshrrev_b32_e32 v5, 3, v3
	v_subrev_u32_e32 v6, 28, v2
	v_sub_u32_e32 v2, 29, v2
	v_cmp_gt_u32_e32 vcc, 8, v3
	v_cndmask_b32_e32 v5, v5, v2, vcc
	v_cndmask_b32_e32 v2, 0, v6, vcc
	v_lshlrev_b64 v[2:3], v2, v[12:13]
	v_lshlrev_b32_e32 v2, 20, v2
	v_lshlrev_b32_e32 v3, 24, v12
	v_bfrev_b32_e32 v6, 60
	v_and_b32_e32 v2, 0x700000, v2
	v_and_b32_e32 v3, 0x80000000, v3
	v_lshl_add_u32 v5, v5, 23, v6
	v_or3_b32 v2, v3, v5, v2
.LBB4_4304:                             ;   in Loop: Header=BB4_4148 Depth=2
	s_or_b64 exec, exec, s[58:59]
.LBB4_4305:                             ;   in Loop: Header=BB4_4148 Depth=2
	s_or_b64 exec, exec, s[56:57]
.LBB4_4306:                             ;   in Loop: Header=BB4_4148 Depth=2
	s_or_b64 exec, exec, s[20:21]
	v_mul_f32_e32 v2, v7, v2
	v_and_b32_sdwa v5, v2, s71 dst_sel:DWORD dst_unused:UNUSED_PAD src0_sel:BYTE_3 src1_sel:DWORD
	v_and_b32_e32 v10, 0x7f800000, v2
	v_mov_b32_e32 v11, v37
	v_and_b32_e32 v36, 0x7fffff, v2
	v_or_b32_e32 v8, 0x7e, v5
	v_cmp_ne_u64_e32 vcc, s[38:39], v[10:11]
	s_and_saveexec_b64 s[20:21], vcc
	s_xor_b64 s[56:57], exec, s[20:21]
	s_cbranch_execz .LBB4_4316
; %bb.4307:                             ;   in Loop: Header=BB4_4148 Depth=2
	v_and_b32_e32 v10, 0x7fffffff, v2
	v_mov_b32_e32 v11, v37
	v_cmp_gt_u64_e32 vcc, s[40:41], v[10:11]
	s_and_saveexec_b64 s[58:59], vcc
	s_cbranch_execz .LBB4_4315
; %bb.4308:                             ;   in Loop: Header=BB4_4148 Depth=2
	v_cmp_ne_u32_e32 vcc, 0, v2
	v_mov_b32_e32 v8, 0
	s_and_saveexec_b64 s[60:61], vcc
	s_cbranch_execz .LBB4_4314
; %bb.4309:                             ;   in Loop: Header=BB4_4148 Depth=2
	v_bfe_u32 v2, v2, 23, 8
	v_sub_u32_e32 v6, 0x79, v2
	v_cmp_gt_u32_e32 vcc, s72, v2
	v_add_u32_e32 v3, 0xffffff81, v2
	v_cndmask_b32_e32 v6, 0, v6, vcc
	v_cmp_eq_u32_e32 vcc, 0, v2
	v_mov_b32_e32 v2, 0xffffff82
	v_cndmask_b32_e32 v9, v3, v2, vcc
	v_mov_b32_e32 v2, 0x78
	v_or_b32_e32 v8, 0x800000, v36
	v_cndmask_b32_e32 v6, v6, v2, vcc
	v_cndmask_b32_e32 v36, v8, v36, vcc
	v_add_u32_e32 v2, 20, v6
	v_lshlrev_b64 v[2:3], v2, -1
	v_add_u32_e32 v8, 19, v6
	v_lshrrev_b64 v[24:25], v6, v[36:37]
	v_not_b32_e32 v3, v3
	v_not_b32_e32 v2, v2
	v_lshlrev_b64 v[10:11], v8, 1
	v_lshrrev_b32_e32 v8, 23, v24
	v_and_b32_e32 v3, 0, v3
	v_and_b32_e32 v2, v36, v2
	v_add3_u32 v9, v6, v9, v8
	v_bfe_u32 v6, v24, 20, 1
	v_add_u32_e32 v6, -1, v6
	v_cmp_eq_u64_e32 vcc, v[2:3], v[10:11]
	v_cndmask_b32_e32 v2, 0, v6, vcc
	v_add_u32_e32 v2, v2, v24
	v_and_b32_e32 v2, 0xfffff, v2
	v_add_co_u32_e32 v2, vcc, v2, v24
	v_add_u32_e32 v8, 6, v9
	v_addc_co_u32_e32 v3, vcc, 0, v25, vcc
	v_cmp_ne_u32_e32 vcc, 0, v8
                                        ; implicit-def: $vgpr6
	s_and_saveexec_b64 s[20:21], vcc
	s_xor_b64 s[20:21], exec, s[20:21]
; %bb.4310:                             ;   in Loop: Header=BB4_4148 Depth=2
	v_add_u32_e32 v6, 7, v9
	v_cmp_lt_u64_e32 vcc, s[44:45], v[2:3]
	v_cndmask_b32_e32 v6, v8, v6, vcc
	v_cndmask_b32_e64 v8, 0, 1, vcc
	v_lshrrev_b64 v[2:3], v8, v[2:3]
; %bb.4311:                             ;   in Loop: Header=BB4_4148 Depth=2
	s_andn2_saveexec_b64 s[20:21], s[20:21]
; %bb.4312:                             ;   in Loop: Header=BB4_4148 Depth=2
	v_bfe_u32 v6, v2, 23, 1
; %bb.4313:                             ;   in Loop: Header=BB4_4148 Depth=2
	s_or_b64 exec, exec, s[20:21]
	v_lshrrev_b64 v[2:3], 20, v[2:3]
	v_cmp_gt_i32_e32 vcc, 16, v6
	v_cndmask_b32_e32 v3, 0, v3, vcc
	v_cndmask_b32_e32 v2, 7, v2, vcc
	v_cmp_eq_u64_e64 s[20:21], 0, v[2:3]
	v_min_i32_e32 v3, 15, v6
	v_cmp_eq_u32_e32 vcc, 0, v6
	v_lshlrev_b32_e32 v3, 3, v3
	v_and_or_b32 v2, v2, 7, v3
	s_and_b64 s[20:21], vcc, s[20:21]
	v_cndmask_b32_e64 v2, v2, 0, s[20:21]
	v_or_b32_e32 v8, v2, v5
.LBB4_4314:                             ;   in Loop: Header=BB4_4148 Depth=2
	s_or_b64 exec, exec, s[60:61]
.LBB4_4315:                             ;   in Loop: Header=BB4_4148 Depth=2
	s_or_b64 exec, exec, s[58:59]
                                        ; implicit-def: $vgpr2
.LBB4_4316:                             ;   in Loop: Header=BB4_4148 Depth=2
	s_andn2_saveexec_b64 s[20:21], s[56:57]
; %bb.4317:                             ;   in Loop: Header=BB4_4148 Depth=2
	v_or_b32_sdwa v2, v2, s69 dst_sel:DWORD dst_unused:UNUSED_PAD src0_sel:BYTE_3 src1_sel:DWORD
	v_cmp_eq_u64_e32 vcc, 0, v[36:37]
	v_cndmask_b32_e32 v8, v2, v8, vcc
; %bb.4318:                             ;   in Loop: Header=BB4_4148 Depth=2
	s_or_b64 exec, exec, s[20:21]
	v_lshrrev_b16_e32 v2, 8, v12
	v_cmp_ne_u16_e32 vcc, 0, v2
	v_mov_b32_e32 v3, 0
	s_and_saveexec_b64 s[20:21], vcc
	s_cbranch_execz .LBB4_4324
; %bb.4319:                             ;   in Loop: Header=BB4_4148 Depth=2
	v_cmp_ne_u16_e32 vcc, s71, v2
	v_bfrev_b32_e32 v3, 1
	s_and_saveexec_b64 s[56:57], vcc
	s_cbranch_execz .LBB4_4323
; %bb.4320:                             ;   in Loop: Header=BB4_4148 Depth=2
	v_and_b32_e32 v5, 0x7f, v2
	v_cmp_ne_u32_e32 vcc, s69, v5
	v_mov_b32_e32 v3, 0x7f800001
	s_and_saveexec_b64 s[58:59], vcc
	s_cbranch_execz .LBB4_4322
; %bb.4321:                             ;   in Loop: Header=BB4_4148 Depth=2
	v_and_b32_e32 v6, 7, v2
	v_ffbh_u32_e32 v3, v6
	v_min_u32_e32 v10, 32, v3
	v_subrev_u32_e32 v3, 28, v10
	v_lshlrev_b64 v[2:3], v3, v[2:3]
	v_lshrrev_b32_e32 v9, 3, v5
	v_sub_u32_e32 v3, 29, v10
	v_and_b32_e32 v2, 7, v2
	v_cmp_gt_u32_e32 vcc, 8, v5
	v_cndmask_b32_e32 v3, v9, v3, vcc
	v_cndmask_b32_e32 v2, v6, v2, vcc
	v_lshlrev_b32_e32 v5, 16, v12
	v_bfrev_b32_e32 v6, 60
	v_lshlrev_b32_e32 v2, 20, v2
	v_and_b32_e32 v5, 0x80000000, v5
	v_lshl_add_u32 v3, v3, 23, v6
	v_or3_b32 v3, v5, v3, v2
.LBB4_4322:                             ;   in Loop: Header=BB4_4148 Depth=2
	s_or_b64 exec, exec, s[58:59]
.LBB4_4323:                             ;   in Loop: Header=BB4_4148 Depth=2
	s_or_b64 exec, exec, s[56:57]
.LBB4_4324:                             ;   in Loop: Header=BB4_4148 Depth=2
	s_or_b64 exec, exec, s[20:21]
	v_mul_f32_e32 v2, v7, v3
	v_and_b32_sdwa v5, v2, s71 dst_sel:DWORD dst_unused:UNUSED_PAD src0_sel:BYTE_3 src1_sel:DWORD
	v_and_b32_e32 v10, 0x7f800000, v2
	v_mov_b32_e32 v11, v37
	v_and_b32_e32 v36, 0x7fffff, v2
	v_or_b32_e32 v22, 0x7e, v5
	v_cmp_ne_u64_e32 vcc, s[38:39], v[10:11]
	s_and_saveexec_b64 s[20:21], vcc
	s_xor_b64 s[56:57], exec, s[20:21]
	s_cbranch_execz .LBB4_4334
; %bb.4325:                             ;   in Loop: Header=BB4_4148 Depth=2
	v_and_b32_e32 v10, 0x7fffffff, v2
	v_mov_b32_e32 v11, v37
	v_cmp_gt_u64_e32 vcc, s[40:41], v[10:11]
	s_and_saveexec_b64 s[58:59], vcc
	s_cbranch_execz .LBB4_4333
; %bb.4326:                             ;   in Loop: Header=BB4_4148 Depth=2
	v_cmp_ne_u32_e32 vcc, 0, v2
	v_mov_b32_e32 v22, 0
	s_and_saveexec_b64 s[60:61], vcc
	s_cbranch_execz .LBB4_4332
; %bb.4327:                             ;   in Loop: Header=BB4_4148 Depth=2
	v_bfe_u32 v2, v2, 23, 8
	v_sub_u32_e32 v6, 0x79, v2
	v_cmp_gt_u32_e32 vcc, s72, v2
	v_add_u32_e32 v3, 0xffffff81, v2
	v_cndmask_b32_e32 v6, 0, v6, vcc
	v_cmp_eq_u32_e32 vcc, 0, v2
	v_mov_b32_e32 v2, 0xffffff82
	v_cndmask_b32_e32 v10, v3, v2, vcc
	v_mov_b32_e32 v2, 0x78
	v_or_b32_e32 v9, 0x800000, v36
	v_cndmask_b32_e32 v6, v6, v2, vcc
	v_cndmask_b32_e32 v36, v9, v36, vcc
	v_add_u32_e32 v2, 20, v6
	v_lshlrev_b64 v[2:3], v2, -1
	v_add_u32_e32 v9, 19, v6
	v_lshrrev_b64 v[34:35], v6, v[36:37]
	v_not_b32_e32 v3, v3
	v_not_b32_e32 v2, v2
	v_lshlrev_b64 v[24:25], v9, 1
	v_lshrrev_b32_e32 v9, 23, v34
	v_and_b32_e32 v3, 0, v3
	v_and_b32_e32 v2, v36, v2
	v_add3_u32 v10, v6, v10, v9
	v_bfe_u32 v6, v34, 20, 1
	v_add_u32_e32 v6, -1, v6
	v_cmp_eq_u64_e32 vcc, v[2:3], v[24:25]
	v_cndmask_b32_e32 v2, 0, v6, vcc
	v_add_u32_e32 v2, v2, v34
	v_and_b32_e32 v2, 0xfffff, v2
	v_add_co_u32_e32 v2, vcc, v2, v34
	v_add_u32_e32 v9, 6, v10
	v_addc_co_u32_e32 v3, vcc, 0, v35, vcc
	v_cmp_ne_u32_e32 vcc, 0, v9
                                        ; implicit-def: $vgpr6
	s_and_saveexec_b64 s[20:21], vcc
	s_xor_b64 s[20:21], exec, s[20:21]
; %bb.4328:                             ;   in Loop: Header=BB4_4148 Depth=2
	v_add_u32_e32 v6, 7, v10
	v_cmp_lt_u64_e32 vcc, s[44:45], v[2:3]
	v_cndmask_b32_e32 v6, v9, v6, vcc
	v_cndmask_b32_e64 v9, 0, 1, vcc
	v_lshrrev_b64 v[2:3], v9, v[2:3]
; %bb.4329:                             ;   in Loop: Header=BB4_4148 Depth=2
	s_andn2_saveexec_b64 s[20:21], s[20:21]
; %bb.4330:                             ;   in Loop: Header=BB4_4148 Depth=2
	v_bfe_u32 v6, v2, 23, 1
; %bb.4331:                             ;   in Loop: Header=BB4_4148 Depth=2
	s_or_b64 exec, exec, s[20:21]
	v_lshrrev_b64 v[2:3], 20, v[2:3]
	v_cmp_gt_i32_e32 vcc, 16, v6
	v_cndmask_b32_e32 v3, 0, v3, vcc
	v_cndmask_b32_e32 v2, 7, v2, vcc
	v_cmp_eq_u64_e64 s[20:21], 0, v[2:3]
	v_min_i32_e32 v3, 15, v6
	v_cmp_eq_u32_e32 vcc, 0, v6
	v_lshlrev_b32_e32 v3, 3, v3
	v_and_or_b32 v2, v2, 7, v3
	s_and_b64 s[20:21], vcc, s[20:21]
	v_cndmask_b32_e64 v2, v2, 0, s[20:21]
	v_or_b32_e32 v22, v2, v5
.LBB4_4332:                             ;   in Loop: Header=BB4_4148 Depth=2
	s_or_b64 exec, exec, s[60:61]
.LBB4_4333:                             ;   in Loop: Header=BB4_4148 Depth=2
	s_or_b64 exec, exec, s[58:59]
                                        ; implicit-def: $vgpr2
.LBB4_4334:                             ;   in Loop: Header=BB4_4148 Depth=2
	s_andn2_saveexec_b64 s[20:21], s[56:57]
; %bb.4335:                             ;   in Loop: Header=BB4_4148 Depth=2
	v_or_b32_sdwa v2, v2, s69 dst_sel:DWORD dst_unused:UNUSED_PAD src0_sel:BYTE_3 src1_sel:DWORD
	v_cmp_eq_u64_e32 vcc, 0, v[36:37]
	v_cndmask_b32_e32 v22, v2, v22, vcc
; %bb.4336:                             ;   in Loop: Header=BB4_4148 Depth=2
	s_or_b64 exec, exec, s[20:21]
	v_lshrrev_b32_e32 v2, 16, v12
	v_cmp_ne_u16_sdwa vcc, v2, v37 src0_sel:BYTE_0 src1_sel:DWORD
	v_mov_b32_e32 v3, 0
	s_and_saveexec_b64 s[20:21], vcc
	s_cbranch_execz .LBB4_4342
; %bb.4337:                             ;   in Loop: Header=BB4_4148 Depth=2
	v_cmp_ne_u16_sdwa vcc, v2, s71 src0_sel:BYTE_0 src1_sel:DWORD
	v_bfrev_b32_e32 v3, 1
	s_and_saveexec_b64 s[56:57], vcc
	s_cbranch_execz .LBB4_4341
; %bb.4338:                             ;   in Loop: Header=BB4_4148 Depth=2
	v_bfe_u32 v5, v12, 16, 7
	v_cmp_ne_u32_e32 vcc, s69, v5
	v_mov_b32_e32 v3, 0x7f800001
	s_and_saveexec_b64 s[58:59], vcc
	s_cbranch_execz .LBB4_4340
; %bb.4339:                             ;   in Loop: Header=BB4_4148 Depth=2
	v_and_b32_e32 v3, 7, v2
	v_ffbh_u32_e32 v9, v3
	v_min_u32_e32 v9, 32, v9
	v_subrev_u32_e32 v10, 28, v9
	v_lshlrev_b64 v[10:11], v10, v[2:3]
	v_lshrrev_b32_e32 v6, 3, v5
	v_sub_u32_e32 v9, 29, v9
	v_and_b32_e32 v10, 7, v10
	v_cmp_gt_u32_e32 vcc, 8, v5
	v_cndmask_b32_e32 v5, v6, v9, vcc
	v_cndmask_b32_e32 v3, v3, v10, vcc
	v_lshlrev_b32_e32 v2, 24, v2
	v_bfrev_b32_e32 v6, 60
	v_lshlrev_b32_e32 v3, 20, v3
	v_and_b32_e32 v2, 0x80000000, v2
	v_lshl_add_u32 v5, v5, 23, v6
	v_or3_b32 v3, v2, v5, v3
.LBB4_4340:                             ;   in Loop: Header=BB4_4148 Depth=2
	s_or_b64 exec, exec, s[58:59]
.LBB4_4341:                             ;   in Loop: Header=BB4_4148 Depth=2
	s_or_b64 exec, exec, s[56:57]
.LBB4_4342:                             ;   in Loop: Header=BB4_4148 Depth=2
	s_or_b64 exec, exec, s[20:21]
	v_mul_f32_e32 v3, v7, v3
	v_and_b32_sdwa v5, v3, s71 dst_sel:DWORD dst_unused:UNUSED_PAD src0_sel:BYTE_3 src1_sel:DWORD
	v_and_b32_e32 v10, 0x7f800000, v3
	v_mov_b32_e32 v11, v37
	v_and_b32_e32 v36, 0x7fffff, v3
	v_or_b32_e32 v2, 0x7e, v5
	v_cmp_ne_u64_e32 vcc, s[38:39], v[10:11]
	s_and_saveexec_b64 s[20:21], vcc
	s_xor_b64 s[56:57], exec, s[20:21]
	s_cbranch_execz .LBB4_4352
; %bb.4343:                             ;   in Loop: Header=BB4_4148 Depth=2
	v_and_b32_e32 v10, 0x7fffffff, v3
	v_mov_b32_e32 v11, v37
	v_cmp_gt_u64_e32 vcc, s[40:41], v[10:11]
	s_and_saveexec_b64 s[58:59], vcc
	s_cbranch_execz .LBB4_4351
; %bb.4344:                             ;   in Loop: Header=BB4_4148 Depth=2
	v_cmp_ne_u32_e32 vcc, 0, v3
	v_mov_b32_e32 v2, 0
	s_and_saveexec_b64 s[60:61], vcc
	s_cbranch_execz .LBB4_4350
; %bb.4345:                             ;   in Loop: Header=BB4_4148 Depth=2
	v_bfe_u32 v2, v3, 23, 8
	v_sub_u32_e32 v6, 0x79, v2
	v_cmp_gt_u32_e32 vcc, s72, v2
	v_add_u32_e32 v3, 0xffffff81, v2
	v_cndmask_b32_e32 v6, 0, v6, vcc
	v_cmp_eq_u32_e32 vcc, 0, v2
	v_mov_b32_e32 v2, 0xffffff82
	v_cndmask_b32_e32 v10, v3, v2, vcc
	v_mov_b32_e32 v2, 0x78
	v_or_b32_e32 v9, 0x800000, v36
	v_cndmask_b32_e32 v6, v6, v2, vcc
	v_cndmask_b32_e32 v36, v9, v36, vcc
	v_add_u32_e32 v2, 20, v6
	v_lshlrev_b64 v[2:3], v2, -1
	v_add_u32_e32 v9, 19, v6
	v_lshrrev_b64 v[34:35], v6, v[36:37]
	v_not_b32_e32 v3, v3
	v_not_b32_e32 v2, v2
	v_lshlrev_b64 v[24:25], v9, 1
	v_lshrrev_b32_e32 v9, 23, v34
	v_and_b32_e32 v3, 0, v3
	v_and_b32_e32 v2, v36, v2
	v_add3_u32 v10, v6, v10, v9
	v_bfe_u32 v6, v34, 20, 1
	v_add_u32_e32 v6, -1, v6
	v_cmp_eq_u64_e32 vcc, v[2:3], v[24:25]
	v_cndmask_b32_e32 v2, 0, v6, vcc
	v_add_u32_e32 v2, v2, v34
	v_and_b32_e32 v2, 0xfffff, v2
	v_add_co_u32_e32 v2, vcc, v2, v34
	v_add_u32_e32 v9, 6, v10
	v_addc_co_u32_e32 v3, vcc, 0, v35, vcc
	v_cmp_ne_u32_e32 vcc, 0, v9
                                        ; implicit-def: $vgpr6
	s_and_saveexec_b64 s[20:21], vcc
	s_xor_b64 s[20:21], exec, s[20:21]
; %bb.4346:                             ;   in Loop: Header=BB4_4148 Depth=2
	v_add_u32_e32 v6, 7, v10
	v_cmp_lt_u64_e32 vcc, s[44:45], v[2:3]
	v_cndmask_b32_e32 v6, v9, v6, vcc
	v_cndmask_b32_e64 v9, 0, 1, vcc
	v_lshrrev_b64 v[2:3], v9, v[2:3]
; %bb.4347:                             ;   in Loop: Header=BB4_4148 Depth=2
	s_andn2_saveexec_b64 s[20:21], s[20:21]
; %bb.4348:                             ;   in Loop: Header=BB4_4148 Depth=2
	v_bfe_u32 v6, v2, 23, 1
; %bb.4349:                             ;   in Loop: Header=BB4_4148 Depth=2
	s_or_b64 exec, exec, s[20:21]
	v_lshrrev_b64 v[2:3], 20, v[2:3]
	v_cmp_gt_i32_e32 vcc, 16, v6
	v_cndmask_b32_e32 v3, 0, v3, vcc
	v_cndmask_b32_e32 v2, 7, v2, vcc
	v_cmp_eq_u64_e64 s[20:21], 0, v[2:3]
	v_min_i32_e32 v3, 15, v6
	v_cmp_eq_u32_e32 vcc, 0, v6
	v_lshlrev_b32_e32 v3, 3, v3
	v_and_or_b32 v2, v2, 7, v3
	s_and_b64 s[20:21], vcc, s[20:21]
	v_cndmask_b32_e64 v2, v2, 0, s[20:21]
	v_or_b32_e32 v2, v2, v5
.LBB4_4350:                             ;   in Loop: Header=BB4_4148 Depth=2
	s_or_b64 exec, exec, s[60:61]
.LBB4_4351:                             ;   in Loop: Header=BB4_4148 Depth=2
	s_or_b64 exec, exec, s[58:59]
                                        ; implicit-def: $vgpr3
.LBB4_4352:                             ;   in Loop: Header=BB4_4148 Depth=2
	s_andn2_saveexec_b64 s[20:21], s[56:57]
; %bb.4353:                             ;   in Loop: Header=BB4_4148 Depth=2
	v_or_b32_sdwa v3, v3, s69 dst_sel:DWORD dst_unused:UNUSED_PAD src0_sel:BYTE_3 src1_sel:DWORD
	v_cmp_eq_u64_e32 vcc, 0, v[36:37]
	v_cndmask_b32_e32 v2, v3, v2, vcc
; %bb.4354:                             ;   in Loop: Header=BB4_4148 Depth=2
	s_or_b64 exec, exec, s[20:21]
	v_cmp_lt_u32_e32 vcc, s43, v12
	v_mov_b32_e32 v3, 0
	s_and_saveexec_b64 s[20:21], vcc
	s_cbranch_execz .LBB4_4360
; %bb.4355:                             ;   in Loop: Header=BB4_4148 Depth=2
	v_lshrrev_b32_e32 v10, 24, v12
	v_cmp_ne_u32_e32 vcc, s71, v10
	v_bfrev_b32_e32 v3, 1
	s_and_saveexec_b64 s[56:57], vcc
	s_cbranch_execz .LBB4_4359
; %bb.4356:                             ;   in Loop: Header=BB4_4148 Depth=2
	v_bfe_u32 v5, v12, 24, 7
	v_cmp_ne_u32_e32 vcc, s69, v5
	v_mov_b32_e32 v3, 0x7f800001
	s_and_saveexec_b64 s[58:59], vcc
	s_cbranch_execz .LBB4_4358
; %bb.4357:                             ;   in Loop: Header=BB4_4148 Depth=2
	v_and_b32_e32 v3, 7, v10
	v_ffbh_u32_e32 v9, v3
	v_min_u32_e32 v9, 32, v9
	v_subrev_u32_e32 v11, 28, v9
	v_lshlrev_b64 v[24:25], v11, v[10:11]
	v_lshrrev_b32_e32 v6, 3, v5
	v_sub_u32_e32 v9, 29, v9
	v_and_b32_e32 v11, 7, v24
	v_cmp_gt_u32_e32 vcc, 8, v5
	v_cndmask_b32_e32 v5, v6, v9, vcc
	v_cndmask_b32_e32 v3, v3, v11, vcc
	v_lshlrev_b32_e32 v6, 24, v10
	v_bfrev_b32_e32 v9, 60
	v_lshlrev_b32_e32 v3, 20, v3
	v_and_b32_e32 v6, 0x80000000, v6
	v_lshl_add_u32 v5, v5, 23, v9
	v_or3_b32 v3, v6, v5, v3
.LBB4_4358:                             ;   in Loop: Header=BB4_4148 Depth=2
	s_or_b64 exec, exec, s[58:59]
.LBB4_4359:                             ;   in Loop: Header=BB4_4148 Depth=2
	s_or_b64 exec, exec, s[56:57]
.LBB4_4360:                             ;   in Loop: Header=BB4_4148 Depth=2
	s_or_b64 exec, exec, s[20:21]
	v_mul_f32_e32 v5, v7, v3
	v_and_b32_sdwa v3, v5, s71 dst_sel:DWORD dst_unused:UNUSED_PAD src0_sel:BYTE_3 src1_sel:DWORD
	v_and_b32_e32 v10, 0x7f800000, v5
	v_mov_b32_e32 v11, v37
	v_and_b32_e32 v36, 0x7fffff, v5
	v_or_b32_e32 v6, 0x7e, v3
	v_cmp_ne_u64_e32 vcc, s[38:39], v[10:11]
	s_and_saveexec_b64 s[20:21], vcc
	s_xor_b64 s[56:57], exec, s[20:21]
	s_cbranch_execz .LBB4_4370
; %bb.4361:                             ;   in Loop: Header=BB4_4148 Depth=2
	v_and_b32_e32 v10, 0x7fffffff, v5
	v_mov_b32_e32 v11, v37
	v_cmp_gt_u64_e32 vcc, s[40:41], v[10:11]
	s_and_saveexec_b64 s[58:59], vcc
	s_cbranch_execz .LBB4_4369
; %bb.4362:                             ;   in Loop: Header=BB4_4148 Depth=2
	v_cmp_ne_u32_e32 vcc, 0, v5
	v_mov_b32_e32 v6, 0
	s_and_saveexec_b64 s[60:61], vcc
	s_cbranch_execz .LBB4_4368
; %bb.4363:                             ;   in Loop: Header=BB4_4148 Depth=2
	v_bfe_u32 v5, v5, 23, 8
	v_sub_u32_e32 v9, 0x79, v5
	v_cmp_gt_u32_e32 vcc, s72, v5
	v_add_u32_e32 v6, 0xffffff81, v5
	v_cndmask_b32_e32 v9, 0, v9, vcc
	v_cmp_eq_u32_e32 vcc, 0, v5
	v_mov_b32_e32 v5, 0xffffff82
	v_cndmask_b32_e32 v5, v6, v5, vcc
	v_mov_b32_e32 v6, 0x78
	v_cndmask_b32_e32 v6, v9, v6, vcc
	v_or_b32_e32 v10, 0x800000, v36
	v_add_u32_e32 v9, 20, v6
	v_cndmask_b32_e32 v36, v10, v36, vcc
	v_lshlrev_b64 v[10:11], v9, -1
	v_not_b32_e32 v9, v11
	v_and_b32_e32 v11, 0, v9
	v_add_u32_e32 v9, 19, v6
	v_lshrrev_b64 v[34:35], v6, v[36:37]
	v_not_b32_e32 v10, v10
	v_lshlrev_b64 v[24:25], v9, 1
	v_lshrrev_b32_e32 v9, 23, v34
	v_and_b32_e32 v10, v36, v10
	v_add3_u32 v9, v6, v5, v9
	v_bfe_u32 v5, v34, 20, 1
	v_add_u32_e32 v5, -1, v5
	v_cmp_eq_u64_e32 vcc, v[10:11], v[24:25]
	v_cndmask_b32_e32 v5, 0, v5, vcc
	v_add_u32_e32 v5, v5, v34
	v_and_b32_e32 v5, 0xfffff, v5
	v_add_co_u32_e32 v10, vcc, v5, v34
	v_add_u32_e32 v6, 6, v9
	v_addc_co_u32_e32 v11, vcc, 0, v35, vcc
	v_cmp_ne_u32_e32 vcc, 0, v6
                                        ; implicit-def: $vgpr5
	s_and_saveexec_b64 s[20:21], vcc
	s_xor_b64 s[20:21], exec, s[20:21]
; %bb.4364:                             ;   in Loop: Header=BB4_4148 Depth=2
	v_add_u32_e32 v5, 7, v9
	v_cmp_lt_u64_e32 vcc, s[44:45], v[10:11]
	v_cndmask_b32_e32 v5, v6, v5, vcc
	v_cndmask_b32_e64 v6, 0, 1, vcc
	v_lshrrev_b64 v[10:11], v6, v[10:11]
; %bb.4365:                             ;   in Loop: Header=BB4_4148 Depth=2
	s_andn2_saveexec_b64 s[20:21], s[20:21]
; %bb.4366:                             ;   in Loop: Header=BB4_4148 Depth=2
	v_bfe_u32 v5, v10, 23, 1
; %bb.4367:                             ;   in Loop: Header=BB4_4148 Depth=2
	s_or_b64 exec, exec, s[20:21]
	v_lshrrev_b64 v[10:11], 20, v[10:11]
	v_cmp_gt_i32_e32 vcc, 16, v5
	v_cndmask_b32_e32 v11, 0, v11, vcc
	v_cndmask_b32_e32 v10, 7, v10, vcc
	v_cmp_eq_u32_e32 vcc, 0, v5
	v_min_i32_e32 v5, 15, v5
	v_cmp_eq_u64_e64 s[20:21], 0, v[10:11]
	v_lshlrev_b32_e32 v5, 3, v5
	v_and_or_b32 v5, v10, 7, v5
	s_and_b64 s[20:21], vcc, s[20:21]
	v_cndmask_b32_e64 v5, v5, 0, s[20:21]
	v_or_b32_e32 v6, v5, v3
.LBB4_4368:                             ;   in Loop: Header=BB4_4148 Depth=2
	s_or_b64 exec, exec, s[60:61]
.LBB4_4369:                             ;   in Loop: Header=BB4_4148 Depth=2
	s_or_b64 exec, exec, s[58:59]
                                        ; implicit-def: $vgpr5
.LBB4_4370:                             ;   in Loop: Header=BB4_4148 Depth=2
	s_andn2_saveexec_b64 s[20:21], s[56:57]
; %bb.4371:                             ;   in Loop: Header=BB4_4148 Depth=2
	v_or_b32_sdwa v3, v5, s69 dst_sel:DWORD dst_unused:UNUSED_PAD src0_sel:BYTE_3 src1_sel:DWORD
	v_cmp_eq_u64_e32 vcc, 0, v[36:37]
	v_cndmask_b32_e32 v6, v3, v6, vcc
; %bb.4372:                             ;   in Loop: Header=BB4_4148 Depth=2
	s_or_b64 exec, exec, s[20:21]
	v_mov_b32_e32 v36, v13
	v_cmp_ne_u16_sdwa vcc, v13, v37 src0_sel:BYTE_0 src1_sel:DWORD
	v_mov_b32_e32 v3, 0
	s_and_saveexec_b64 s[20:21], vcc
	s_cbranch_execz .LBB4_4378
; %bb.4373:                             ;   in Loop: Header=BB4_4148 Depth=2
	v_cmp_ne_u16_sdwa vcc, v13, s71 src0_sel:BYTE_0 src1_sel:DWORD
	v_bfrev_b32_e32 v3, 1
	s_and_saveexec_b64 s[56:57], vcc
	s_cbranch_execz .LBB4_4377
; %bb.4374:                             ;   in Loop: Header=BB4_4148 Depth=2
	v_and_b32_e32 v5, 0x7f, v13
	v_cmp_ne_u32_e32 vcc, s69, v5
	v_mov_b32_e32 v3, 0x7f800001
	s_and_saveexec_b64 s[58:59], vcc
	s_cbranch_execz .LBB4_4376
; %bb.4375:                             ;   in Loop: Header=BB4_4148 Depth=2
	v_and_b32_e32 v3, 7, v13
	v_ffbh_u32_e32 v3, v3
	v_min_u32_e32 v3, 32, v3
	v_subrev_u32_e32 v10, 28, v3
	v_cmp_gt_u32_e32 vcc, 8, v5
	v_lshrrev_b32_e32 v9, 3, v5
	v_cndmask_b32_e32 v5, 0, v10, vcc
	v_sub_u32_e32 v3, 29, v3
	v_lshlrev_b64 v[10:11], v5, v[36:37]
	v_cndmask_b32_e32 v3, v9, v3, vcc
	v_lshlrev_b32_e32 v5, 20, v10
	v_lshlrev_b32_e32 v9, 24, v36
	v_bfrev_b32_e32 v10, 60
	v_and_b32_e32 v5, 0x700000, v5
	v_and_b32_e32 v9, 0x80000000, v9
	v_lshl_add_u32 v3, v3, 23, v10
	v_or3_b32 v3, v9, v3, v5
.LBB4_4376:                             ;   in Loop: Header=BB4_4148 Depth=2
	s_or_b64 exec, exec, s[58:59]
.LBB4_4377:                             ;   in Loop: Header=BB4_4148 Depth=2
	s_or_b64 exec, exec, s[56:57]
.LBB4_4378:                             ;   in Loop: Header=BB4_4148 Depth=2
	s_or_b64 exec, exec, s[20:21]
	v_mul_f32_e32 v9, v7, v3
	v_and_b32_sdwa v3, v9, s71 dst_sel:DWORD dst_unused:UNUSED_PAD src0_sel:BYTE_3 src1_sel:DWORD
	v_and_b32_e32 v24, 0x7f800000, v9
	v_mov_b32_e32 v25, v37
	v_and_b32_e32 v10, 0x7fffff, v9
	v_mov_b32_e32 v11, v37
	v_or_b32_e32 v5, 0x7e, v3
	v_cmp_ne_u64_e32 vcc, s[38:39], v[24:25]
	s_and_saveexec_b64 s[20:21], vcc
	s_xor_b64 s[56:57], exec, s[20:21]
	s_cbranch_execz .LBB4_4388
; %bb.4379:                             ;   in Loop: Header=BB4_4148 Depth=2
	v_and_b32_e32 v24, 0x7fffffff, v9
	v_mov_b32_e32 v25, v37
	v_cmp_gt_u64_e32 vcc, s[40:41], v[24:25]
	s_and_saveexec_b64 s[58:59], vcc
	s_cbranch_execz .LBB4_4387
; %bb.4380:                             ;   in Loop: Header=BB4_4148 Depth=2
	v_cmp_ne_u32_e32 vcc, 0, v9
	v_mov_b32_e32 v5, 0
	s_and_saveexec_b64 s[60:61], vcc
	s_cbranch_execz .LBB4_4386
; %bb.4381:                             ;   in Loop: Header=BB4_4148 Depth=2
	v_bfe_u32 v5, v9, 23, 8
	v_sub_u32_e32 v21, 0x79, v5
	v_cmp_gt_u32_e32 vcc, s72, v5
	v_add_u32_e32 v9, 0xffffff81, v5
	v_cndmask_b32_e32 v21, 0, v21, vcc
	v_cmp_eq_u32_e32 vcc, 0, v5
	v_mov_b32_e32 v5, 0xffffff82
	v_cndmask_b32_e32 v5, v9, v5, vcc
	v_mov_b32_e32 v9, 0x78
	v_cndmask_b32_e32 v9, v21, v9, vcc
	v_or_b32_e32 v24, 0x800000, v10
	v_add_u32_e32 v21, 20, v9
	v_cndmask_b32_e32 v10, v24, v10, vcc
	v_lshlrev_b64 v[24:25], v21, -1
	v_not_b32_e32 v21, v25
	v_not_b32_e32 v24, v24
	v_and_b32_e32 v25, 0, v21
	v_and_b32_e32 v24, v10, v24
	v_add_u32_e32 v21, 19, v9
	v_lshrrev_b64 v[10:11], v9, v[10:11]
	v_lshlrev_b64 v[34:35], v21, 1
	v_lshrrev_b32_e32 v21, 23, v10
	v_add3_u32 v21, v9, v5, v21
	v_bfe_u32 v5, v10, 20, 1
	v_add_u32_e32 v5, -1, v5
	v_cmp_eq_u64_e32 vcc, v[24:25], v[34:35]
	v_cndmask_b32_e32 v5, 0, v5, vcc
	v_add_u32_e32 v5, v5, v10
	v_and_b32_e32 v5, 0xfffff, v5
	v_add_co_u32_e32 v10, vcc, v5, v10
	v_add_u32_e32 v9, 6, v21
	v_addc_co_u32_e32 v11, vcc, 0, v11, vcc
	v_cmp_ne_u32_e32 vcc, 0, v9
                                        ; implicit-def: $vgpr5
	s_and_saveexec_b64 s[20:21], vcc
	s_xor_b64 s[20:21], exec, s[20:21]
; %bb.4382:                             ;   in Loop: Header=BB4_4148 Depth=2
	v_add_u32_e32 v5, 7, v21
	v_cmp_lt_u64_e32 vcc, s[44:45], v[10:11]
	v_cndmask_b32_e32 v5, v9, v5, vcc
	v_cndmask_b32_e64 v9, 0, 1, vcc
	v_lshrrev_b64 v[10:11], v9, v[10:11]
; %bb.4383:                             ;   in Loop: Header=BB4_4148 Depth=2
	s_andn2_saveexec_b64 s[20:21], s[20:21]
; %bb.4384:                             ;   in Loop: Header=BB4_4148 Depth=2
	v_bfe_u32 v5, v10, 23, 1
; %bb.4385:                             ;   in Loop: Header=BB4_4148 Depth=2
	s_or_b64 exec, exec, s[20:21]
	v_lshrrev_b64 v[10:11], 20, v[10:11]
	v_cmp_gt_i32_e32 vcc, 16, v5
	v_cndmask_b32_e32 v11, 0, v11, vcc
	v_cndmask_b32_e32 v10, 7, v10, vcc
	v_cmp_eq_u32_e32 vcc, 0, v5
	v_min_i32_e32 v5, 15, v5
	v_cmp_eq_u64_e64 s[20:21], 0, v[10:11]
	v_lshlrev_b32_e32 v5, 3, v5
	v_and_or_b32 v5, v10, 7, v5
	s_and_b64 s[20:21], vcc, s[20:21]
	v_cndmask_b32_e64 v5, v5, 0, s[20:21]
	v_or_b32_e32 v5, v5, v3
.LBB4_4386:                             ;   in Loop: Header=BB4_4148 Depth=2
	s_or_b64 exec, exec, s[60:61]
.LBB4_4387:                             ;   in Loop: Header=BB4_4148 Depth=2
	s_or_b64 exec, exec, s[58:59]
                                        ; implicit-def: $vgpr9
                                        ; implicit-def: $vgpr10_vgpr11
.LBB4_4388:                             ;   in Loop: Header=BB4_4148 Depth=2
	s_andn2_saveexec_b64 s[20:21], s[56:57]
; %bb.4389:                             ;   in Loop: Header=BB4_4148 Depth=2
	v_or_b32_sdwa v3, v9, s69 dst_sel:DWORD dst_unused:UNUSED_PAD src0_sel:BYTE_3 src1_sel:DWORD
	v_cmp_eq_u64_e32 vcc, 0, v[10:11]
	v_cndmask_b32_e32 v5, v3, v5, vcc
; %bb.4390:                             ;   in Loop: Header=BB4_4148 Depth=2
	s_or_b64 exec, exec, s[20:21]
	v_lshrrev_b16_e32 v10, 8, v36
	v_cmp_ne_u16_e32 vcc, 0, v10
	v_mov_b32_e32 v3, 0
	s_and_saveexec_b64 s[20:21], vcc
	s_cbranch_execz .LBB4_4396
; %bb.4391:                             ;   in Loop: Header=BB4_4148 Depth=2
	v_cmp_ne_u16_e32 vcc, s71, v10
	v_bfrev_b32_e32 v3, 1
	s_and_saveexec_b64 s[56:57], vcc
	s_cbranch_execz .LBB4_4395
; %bb.4392:                             ;   in Loop: Header=BB4_4148 Depth=2
	v_and_b32_e32 v9, 0x7f, v10
	v_cmp_ne_u32_e32 vcc, s69, v9
	v_mov_b32_e32 v3, 0x7f800001
	s_and_saveexec_b64 s[58:59], vcc
	s_cbranch_execz .LBB4_4394
; %bb.4393:                             ;   in Loop: Header=BB4_4148 Depth=2
	v_and_b32_e32 v3, 7, v10
	v_ffbh_u32_e32 v11, v3
	v_min_u32_e32 v24, 32, v11
	v_subrev_u32_e32 v11, 28, v24
	v_lshlrev_b64 v[10:11], v11, v[10:11]
	v_lshrrev_b32_e32 v21, 3, v9
	v_sub_u32_e32 v11, 29, v24
	v_and_b32_e32 v10, 7, v10
	v_cmp_gt_u32_e32 vcc, 8, v9
	v_cndmask_b32_e32 v9, v21, v11, vcc
	v_cndmask_b32_e32 v3, v3, v10, vcc
	v_lshlrev_b32_e32 v10, 16, v36
	v_bfrev_b32_e32 v11, 60
	v_lshlrev_b32_e32 v3, 20, v3
	v_and_b32_e32 v10, 0x80000000, v10
	v_lshl_add_u32 v9, v9, 23, v11
	v_or3_b32 v3, v10, v9, v3
.LBB4_4394:                             ;   in Loop: Header=BB4_4148 Depth=2
	s_or_b64 exec, exec, s[58:59]
.LBB4_4395:                             ;   in Loop: Header=BB4_4148 Depth=2
	s_or_b64 exec, exec, s[56:57]
.LBB4_4396:                             ;   in Loop: Header=BB4_4148 Depth=2
	s_or_b64 exec, exec, s[20:21]
	v_mul_f32_e32 v10, v7, v3
	v_and_b32_sdwa v3, v10, s71 dst_sel:DWORD dst_unused:UNUSED_PAD src0_sel:BYTE_3 src1_sel:DWORD
	v_and_b32_e32 v24, 0x7f800000, v10
	v_mov_b32_e32 v25, v37
	v_and_b32_e32 v36, 0x7fffff, v10
	v_or_b32_e32 v9, 0x7e, v3
	v_cmp_ne_u64_e32 vcc, s[38:39], v[24:25]
	s_and_saveexec_b64 s[20:21], vcc
	s_xor_b64 s[56:57], exec, s[20:21]
	s_cbranch_execz .LBB4_4406
; %bb.4397:                             ;   in Loop: Header=BB4_4148 Depth=2
	v_and_b32_e32 v24, 0x7fffffff, v10
	v_mov_b32_e32 v25, v37
	v_cmp_gt_u64_e32 vcc, s[40:41], v[24:25]
	s_and_saveexec_b64 s[58:59], vcc
	s_cbranch_execz .LBB4_4405
; %bb.4398:                             ;   in Loop: Header=BB4_4148 Depth=2
	v_cmp_ne_u32_e32 vcc, 0, v10
	v_mov_b32_e32 v9, 0
	s_and_saveexec_b64 s[60:61], vcc
	s_cbranch_execz .LBB4_4404
; %bb.4399:                             ;   in Loop: Header=BB4_4148 Depth=2
	v_bfe_u32 v9, v10, 23, 8
	v_sub_u32_e32 v11, 0x79, v9
	v_cmp_gt_u32_e32 vcc, s72, v9
	v_add_u32_e32 v10, 0xffffff81, v9
	v_cndmask_b32_e32 v11, 0, v11, vcc
	v_cmp_eq_u32_e32 vcc, 0, v9
	v_mov_b32_e32 v9, 0xffffff82
	v_cndmask_b32_e32 v9, v10, v9, vcc
	v_mov_b32_e32 v10, 0x78
	v_or_b32_e32 v21, 0x800000, v36
	v_cndmask_b32_e32 v24, v11, v10, vcc
	v_cndmask_b32_e32 v36, v21, v36, vcc
	v_add_u32_e32 v10, 20, v24
	v_lshlrev_b64 v[10:11], v10, -1
	v_add_u32_e32 v21, 19, v24
	v_lshrrev_b64 v[38:39], v24, v[36:37]
	v_not_b32_e32 v11, v11
	v_not_b32_e32 v10, v10
	v_lshlrev_b64 v[34:35], v21, 1
	v_lshrrev_b32_e32 v21, 23, v38
	v_and_b32_e32 v11, 0, v11
	v_and_b32_e32 v10, v36, v10
	v_add3_u32 v24, v24, v9, v21
	v_bfe_u32 v9, v38, 20, 1
	v_add_u32_e32 v9, -1, v9
	v_cmp_eq_u64_e32 vcc, v[10:11], v[34:35]
	v_cndmask_b32_e32 v9, 0, v9, vcc
	v_add_u32_e32 v9, v9, v38
	v_and_b32_e32 v9, 0xfffff, v9
	v_add_co_u32_e32 v10, vcc, v9, v38
	v_add_u32_e32 v21, 6, v24
	v_addc_co_u32_e32 v11, vcc, 0, v39, vcc
	v_cmp_ne_u32_e32 vcc, 0, v21
                                        ; implicit-def: $vgpr9
	s_and_saveexec_b64 s[20:21], vcc
	s_xor_b64 s[20:21], exec, s[20:21]
; %bb.4400:                             ;   in Loop: Header=BB4_4148 Depth=2
	v_add_u32_e32 v9, 7, v24
	v_cmp_lt_u64_e32 vcc, s[44:45], v[10:11]
	v_cndmask_b32_e32 v9, v21, v9, vcc
	v_cndmask_b32_e64 v21, 0, 1, vcc
	v_lshrrev_b64 v[10:11], v21, v[10:11]
; %bb.4401:                             ;   in Loop: Header=BB4_4148 Depth=2
	s_andn2_saveexec_b64 s[20:21], s[20:21]
; %bb.4402:                             ;   in Loop: Header=BB4_4148 Depth=2
	v_bfe_u32 v9, v10, 23, 1
; %bb.4403:                             ;   in Loop: Header=BB4_4148 Depth=2
	s_or_b64 exec, exec, s[20:21]
	v_lshrrev_b64 v[10:11], 20, v[10:11]
	v_cmp_gt_i32_e32 vcc, 16, v9
	v_cndmask_b32_e32 v11, 0, v11, vcc
	v_cndmask_b32_e32 v10, 7, v10, vcc
	v_cmp_eq_u32_e32 vcc, 0, v9
	v_min_i32_e32 v9, 15, v9
	v_lshlrev_b32_e32 v9, 3, v9
	v_cmp_eq_u64_e64 s[20:21], 0, v[10:11]
	v_and_b32_e32 v9, 0xf8, v9
	v_and_or_b32 v9, v10, 7, v9
	s_and_b64 s[20:21], vcc, s[20:21]
	v_cndmask_b32_e64 v9, v9, 0, s[20:21]
	v_or_b32_e32 v9, v9, v3
.LBB4_4404:                             ;   in Loop: Header=BB4_4148 Depth=2
	s_or_b64 exec, exec, s[60:61]
.LBB4_4405:                             ;   in Loop: Header=BB4_4148 Depth=2
	s_or_b64 exec, exec, s[58:59]
                                        ; implicit-def: $vgpr10
.LBB4_4406:                             ;   in Loop: Header=BB4_4148 Depth=2
	s_andn2_saveexec_b64 s[20:21], s[56:57]
; %bb.4407:                             ;   in Loop: Header=BB4_4148 Depth=2
	v_or_b32_sdwa v3, v10, s69 dst_sel:DWORD dst_unused:UNUSED_PAD src0_sel:BYTE_3 src1_sel:DWORD
	v_cmp_eq_u64_e32 vcc, 0, v[36:37]
	v_cndmask_b32_e32 v9, v3, v9, vcc
; %bb.4408:                             ;   in Loop: Header=BB4_4148 Depth=2
	s_or_b64 exec, exec, s[20:21]
	v_lshrrev_b32_e32 v10, 16, v13
	v_cmp_ne_u16_sdwa vcc, v10, v37 src0_sel:BYTE_0 src1_sel:DWORD
	v_mov_b32_e32 v3, 0
	s_and_saveexec_b64 s[20:21], vcc
	s_cbranch_execz .LBB4_4414
; %bb.4409:                             ;   in Loop: Header=BB4_4148 Depth=2
	v_cmp_ne_u16_sdwa vcc, v10, s71 src0_sel:BYTE_0 src1_sel:DWORD
	v_bfrev_b32_e32 v3, 1
	s_and_saveexec_b64 s[56:57], vcc
	s_cbranch_execz .LBB4_4413
; %bb.4410:                             ;   in Loop: Header=BB4_4148 Depth=2
	v_bfe_u32 v11, v13, 16, 7
	v_cmp_ne_u32_e32 vcc, s69, v11
	v_mov_b32_e32 v3, 0x7f800001
	s_and_saveexec_b64 s[58:59], vcc
	s_cbranch_execz .LBB4_4412
; %bb.4411:                             ;   in Loop: Header=BB4_4148 Depth=2
	v_and_b32_e32 v3, 7, v10
	v_ffbh_u32_e32 v24, v3
	v_min_u32_e32 v27, 32, v24
	v_subrev_u32_e32 v24, 28, v27
	v_lshlrev_b64 v[24:25], v24, v[10:11]
	v_lshrrev_b32_e32 v21, 3, v11
	v_sub_u32_e32 v25, 29, v27
	v_and_b32_e32 v24, 7, v24
	v_cmp_gt_u32_e32 vcc, 8, v11
	v_cndmask_b32_e32 v11, v21, v25, vcc
	v_cndmask_b32_e32 v3, v3, v24, vcc
	v_lshlrev_b32_e32 v10, 24, v10
	v_bfrev_b32_e32 v21, 60
	v_lshlrev_b32_e32 v3, 20, v3
	v_and_b32_e32 v10, 0x80000000, v10
	v_lshl_add_u32 v11, v11, 23, v21
	v_or3_b32 v3, v10, v11, v3
.LBB4_4412:                             ;   in Loop: Header=BB4_4148 Depth=2
	s_or_b64 exec, exec, s[58:59]
.LBB4_4413:                             ;   in Loop: Header=BB4_4148 Depth=2
	s_or_b64 exec, exec, s[56:57]
.LBB4_4414:                             ;   in Loop: Header=BB4_4148 Depth=2
	s_or_b64 exec, exec, s[20:21]
	v_mul_f32_e32 v10, v7, v3
	v_and_b32_sdwa v3, v10, s71 dst_sel:DWORD dst_unused:UNUSED_PAD src0_sel:BYTE_3 src1_sel:DWORD
	v_and_b32_e32 v24, 0x7f800000, v10
	v_mov_b32_e32 v25, v37
	v_and_b32_e32 v36, 0x7fffff, v10
	v_or_b32_e32 v21, 0x7e, v3
	v_cmp_ne_u64_e32 vcc, s[38:39], v[24:25]
	s_and_saveexec_b64 s[20:21], vcc
	s_xor_b64 s[56:57], exec, s[20:21]
	s_cbranch_execz .LBB4_4424
; %bb.4415:                             ;   in Loop: Header=BB4_4148 Depth=2
	v_and_b32_e32 v24, 0x7fffffff, v10
	v_mov_b32_e32 v25, v37
	v_cmp_gt_u64_e32 vcc, s[40:41], v[24:25]
	s_and_saveexec_b64 s[58:59], vcc
	s_cbranch_execz .LBB4_4423
; %bb.4416:                             ;   in Loop: Header=BB4_4148 Depth=2
	v_cmp_ne_u32_e32 vcc, 0, v10
	v_mov_b32_e32 v21, 0
	s_and_saveexec_b64 s[60:61], vcc
	s_cbranch_execz .LBB4_4422
; %bb.4417:                             ;   in Loop: Header=BB4_4148 Depth=2
	v_bfe_u32 v10, v10, 23, 8
	v_sub_u32_e32 v21, 0x79, v10
	v_cmp_gt_u32_e32 vcc, s72, v10
	v_add_u32_e32 v11, 0xffffff81, v10
	v_cndmask_b32_e32 v21, 0, v21, vcc
	v_cmp_eq_u32_e32 vcc, 0, v10
	v_mov_b32_e32 v10, 0xffffff82
	v_cndmask_b32_e32 v25, v11, v10, vcc
	v_mov_b32_e32 v10, 0x78
	v_or_b32_e32 v24, 0x800000, v36
	v_cndmask_b32_e32 v21, v21, v10, vcc
	v_cndmask_b32_e32 v36, v24, v36, vcc
	v_add_u32_e32 v10, 20, v21
	v_lshlrev_b64 v[10:11], v10, -1
	v_add_u32_e32 v24, 19, v21
	v_lshrrev_b64 v[38:39], v21, v[36:37]
	v_not_b32_e32 v11, v11
	v_not_b32_e32 v10, v10
	v_lshlrev_b64 v[34:35], v24, 1
	v_lshrrev_b32_e32 v24, 23, v38
	v_and_b32_e32 v11, 0, v11
	v_and_b32_e32 v10, v36, v10
	v_add3_u32 v27, v21, v25, v24
	v_bfe_u32 v21, v38, 20, 1
	v_add_u32_e32 v21, -1, v21
	v_cmp_eq_u64_e32 vcc, v[10:11], v[34:35]
	v_cndmask_b32_e32 v10, 0, v21, vcc
	v_add_u32_e32 v10, v10, v38
	v_and_b32_e32 v10, 0xfffff, v10
	v_add_co_u32_e32 v10, vcc, v10, v38
	v_add_u32_e32 v24, 6, v27
	v_addc_co_u32_e32 v11, vcc, 0, v39, vcc
	v_cmp_ne_u32_e32 vcc, 0, v24
                                        ; implicit-def: $vgpr21
	s_and_saveexec_b64 s[20:21], vcc
	s_xor_b64 s[20:21], exec, s[20:21]
; %bb.4418:                             ;   in Loop: Header=BB4_4148 Depth=2
	v_add_u32_e32 v21, 7, v27
	v_cmp_lt_u64_e32 vcc, s[44:45], v[10:11]
	v_cndmask_b32_e32 v21, v24, v21, vcc
	v_cndmask_b32_e64 v24, 0, 1, vcc
	v_lshrrev_b64 v[10:11], v24, v[10:11]
; %bb.4419:                             ;   in Loop: Header=BB4_4148 Depth=2
	s_andn2_saveexec_b64 s[20:21], s[20:21]
; %bb.4420:                             ;   in Loop: Header=BB4_4148 Depth=2
	v_bfe_u32 v21, v10, 23, 1
; %bb.4421:                             ;   in Loop: Header=BB4_4148 Depth=2
	s_or_b64 exec, exec, s[20:21]
	v_lshrrev_b64 v[10:11], 20, v[10:11]
	v_cmp_gt_i32_e32 vcc, 16, v21
	v_cndmask_b32_e32 v11, 0, v11, vcc
	v_cndmask_b32_e32 v10, 7, v10, vcc
	v_cmp_eq_u64_e64 s[20:21], 0, v[10:11]
	v_min_i32_e32 v11, 15, v21
	v_lshlrev_b32_e32 v11, 3, v11
	v_cmp_eq_u32_e32 vcc, 0, v21
	v_and_b32_e32 v11, 0xf8, v11
	v_and_or_b32 v10, v10, 7, v11
	s_and_b64 s[20:21], vcc, s[20:21]
	v_cndmask_b32_e64 v10, v10, 0, s[20:21]
	v_or_b32_e32 v21, v10, v3
.LBB4_4422:                             ;   in Loop: Header=BB4_4148 Depth=2
	s_or_b64 exec, exec, s[60:61]
.LBB4_4423:                             ;   in Loop: Header=BB4_4148 Depth=2
	s_or_b64 exec, exec, s[58:59]
                                        ; implicit-def: $vgpr10
.LBB4_4424:                             ;   in Loop: Header=BB4_4148 Depth=2
	s_andn2_saveexec_b64 s[20:21], s[56:57]
; %bb.4425:                             ;   in Loop: Header=BB4_4148 Depth=2
	v_or_b32_sdwa v3, v10, s69 dst_sel:DWORD dst_unused:UNUSED_PAD src0_sel:BYTE_3 src1_sel:DWORD
	v_cmp_eq_u64_e32 vcc, 0, v[36:37]
	v_cndmask_b32_e32 v21, v3, v21, vcc
; %bb.4426:                             ;   in Loop: Header=BB4_4148 Depth=2
	s_or_b64 exec, exec, s[20:21]
	v_cmp_lt_u64_e32 vcc, s[42:43], v[12:13]
	v_mov_b32_e32 v3, 0
	s_and_saveexec_b64 s[20:21], vcc
	s_cbranch_execz .LBB4_4432
; %bb.4427:                             ;   in Loop: Header=BB4_4148 Depth=2
	v_lshrrev_b32_e32 v10, 24, v13
	v_cmp_ne_u32_e32 vcc, s71, v10
	v_bfrev_b32_e32 v3, 1
	s_and_saveexec_b64 s[56:57], vcc
	s_cbranch_execz .LBB4_4431
; %bb.4428:                             ;   in Loop: Header=BB4_4148 Depth=2
	v_bfe_u32 v11, v13, 24, 7
	v_cmp_ne_u32_e32 vcc, s69, v11
	v_mov_b32_e32 v3, 0x7f800001
	s_and_saveexec_b64 s[58:59], vcc
	s_cbranch_execz .LBB4_4430
; %bb.4429:                             ;   in Loop: Header=BB4_4148 Depth=2
	v_and_b32_e32 v3, 7, v10
	v_ffbh_u32_e32 v12, v3
	v_min_u32_e32 v25, 32, v12
	v_subrev_u32_e32 v12, 28, v25
	v_lshlrev_b64 v[12:13], v12, v[10:11]
	v_lshrrev_b32_e32 v24, 3, v11
	v_sub_u32_e32 v13, 29, v25
	v_and_b32_e32 v12, 7, v12
	v_cmp_gt_u32_e32 vcc, 8, v11
	v_cndmask_b32_e32 v11, v24, v13, vcc
	v_cndmask_b32_e32 v3, v3, v12, vcc
	v_lshlrev_b32_e32 v10, 24, v10
	v_bfrev_b32_e32 v12, 60
	v_lshlrev_b32_e32 v3, 20, v3
	v_and_b32_e32 v10, 0x80000000, v10
	v_lshl_add_u32 v11, v11, 23, v12
	v_or3_b32 v3, v10, v11, v3
.LBB4_4430:                             ;   in Loop: Header=BB4_4148 Depth=2
	s_or_b64 exec, exec, s[58:59]
.LBB4_4431:                             ;   in Loop: Header=BB4_4148 Depth=2
	s_or_b64 exec, exec, s[56:57]
.LBB4_4432:                             ;   in Loop: Header=BB4_4148 Depth=2
	s_or_b64 exec, exec, s[20:21]
	v_mul_f32_e32 v7, v7, v3
	v_and_b32_sdwa v3, v7, s71 dst_sel:DWORD dst_unused:UNUSED_PAD src0_sel:BYTE_3 src1_sel:DWORD
	v_and_b32_e32 v10, 0x7f800000, v7
	v_mov_b32_e32 v11, v37
	v_and_b32_e32 v36, 0x7fffff, v7
	v_or_b32_e32 v27, 0x7e, v3
	v_cmp_ne_u64_e32 vcc, s[38:39], v[10:11]
	s_and_saveexec_b64 s[20:21], vcc
	s_xor_b64 s[56:57], exec, s[20:21]
	s_cbranch_execz .LBB4_4442
; %bb.4433:                             ;   in Loop: Header=BB4_4148 Depth=2
	v_and_b32_e32 v10, 0x7fffffff, v7
	v_mov_b32_e32 v11, v37
	v_cmp_gt_u64_e32 vcc, s[40:41], v[10:11]
	s_and_saveexec_b64 s[58:59], vcc
	s_cbranch_execz .LBB4_4441
; %bb.4434:                             ;   in Loop: Header=BB4_4148 Depth=2
	v_cmp_ne_u32_e32 vcc, 0, v7
	v_mov_b32_e32 v27, 0
	s_and_saveexec_b64 s[60:61], vcc
	s_cbranch_execz .LBB4_4440
; %bb.4435:                             ;   in Loop: Header=BB4_4148 Depth=2
	v_bfe_u32 v7, v7, 23, 8
	v_sub_u32_e32 v11, 0x79, v7
	v_cmp_gt_u32_e32 vcc, s72, v7
	v_add_u32_e32 v10, 0xffffff81, v7
	v_cndmask_b32_e32 v11, 0, v11, vcc
	v_cmp_eq_u32_e32 vcc, 0, v7
	v_mov_b32_e32 v7, 0xffffff82
	v_cndmask_b32_e32 v7, v10, v7, vcc
	v_mov_b32_e32 v10, 0x78
	v_or_b32_e32 v12, 0x800000, v36
	v_cndmask_b32_e32 v13, v11, v10, vcc
	v_cndmask_b32_e32 v36, v12, v36, vcc
	v_add_u32_e32 v10, 20, v13
	v_lshlrev_b64 v[10:11], v10, -1
	v_add_u32_e32 v12, 19, v13
	v_lshrrev_b64 v[34:35], v13, v[36:37]
	v_not_b32_e32 v11, v11
	v_not_b32_e32 v10, v10
	v_lshlrev_b64 v[24:25], v12, 1
	v_lshrrev_b32_e32 v12, 23, v34
	v_and_b32_e32 v11, 0, v11
	v_and_b32_e32 v10, v36, v10
	v_add3_u32 v13, v13, v7, v12
	v_bfe_u32 v7, v34, 20, 1
	v_add_u32_e32 v7, -1, v7
	v_cmp_eq_u64_e32 vcc, v[10:11], v[24:25]
	v_cndmask_b32_e32 v7, 0, v7, vcc
	v_add_u32_e32 v7, v7, v34
	v_and_b32_e32 v7, 0xfffff, v7
	v_add_co_u32_e32 v10, vcc, v7, v34
	v_add_u32_e32 v12, 6, v13
	v_addc_co_u32_e32 v11, vcc, 0, v35, vcc
	v_cmp_ne_u32_e32 vcc, 0, v12
                                        ; implicit-def: $vgpr7
	s_and_saveexec_b64 s[20:21], vcc
	s_xor_b64 s[20:21], exec, s[20:21]
; %bb.4436:                             ;   in Loop: Header=BB4_4148 Depth=2
	v_add_u32_e32 v7, 7, v13
	v_cmp_lt_u64_e32 vcc, s[44:45], v[10:11]
	v_cndmask_b32_e32 v7, v12, v7, vcc
	v_cndmask_b32_e64 v12, 0, 1, vcc
	v_lshrrev_b64 v[10:11], v12, v[10:11]
; %bb.4437:                             ;   in Loop: Header=BB4_4148 Depth=2
	s_andn2_saveexec_b64 s[20:21], s[20:21]
; %bb.4438:                             ;   in Loop: Header=BB4_4148 Depth=2
	v_bfe_u32 v7, v10, 23, 1
; %bb.4439:                             ;   in Loop: Header=BB4_4148 Depth=2
	s_or_b64 exec, exec, s[20:21]
	v_lshrrev_b64 v[10:11], 20, v[10:11]
	v_cmp_gt_i32_e32 vcc, 16, v7
	v_cndmask_b32_e32 v11, 0, v11, vcc
	v_cndmask_b32_e32 v10, 7, v10, vcc
	v_cmp_eq_u32_e32 vcc, 0, v7
	v_min_i32_e32 v7, 15, v7
	v_lshlrev_b32_e32 v7, 3, v7
	v_cmp_eq_u64_e64 s[20:21], 0, v[10:11]
	v_and_b32_e32 v7, 0xf8, v7
	v_and_or_b32 v7, v10, 7, v7
	s_and_b64 s[20:21], vcc, s[20:21]
	v_cndmask_b32_e64 v7, v7, 0, s[20:21]
	v_or_b32_e32 v27, v7, v3
.LBB4_4440:                             ;   in Loop: Header=BB4_4148 Depth=2
	s_or_b64 exec, exec, s[60:61]
.LBB4_4441:                             ;   in Loop: Header=BB4_4148 Depth=2
	s_or_b64 exec, exec, s[58:59]
                                        ; implicit-def: $vgpr7
.LBB4_4442:                             ;   in Loop: Header=BB4_4148 Depth=2
	s_andn2_saveexec_b64 s[20:21], s[56:57]
; %bb.4443:                             ;   in Loop: Header=BB4_4148 Depth=2
	v_or_b32_sdwa v3, v7, s69 dst_sel:DWORD dst_unused:UNUSED_PAD src0_sel:BYTE_3 src1_sel:DWORD
	v_cmp_eq_u64_e32 vcc, 0, v[36:37]
	v_cndmask_b32_e32 v27, v3, v27, vcc
; %bb.4444:                             ;   in Loop: Header=BB4_4148 Depth=2
	s_or_b64 exec, exec, s[20:21]
	global_load_dwordx4 v[10:13], v[54:55], off glc slc
	v_lshlrev_b32_e32 v3, 8, v18
	v_cmp_ne_u16_sdwa vcc, v4, v37 src0_sel:BYTE_0 src1_sel:DWORD
	v_mov_b32_e32 v7, 0
	v_mov_b32_e32 v18, 0
	s_and_saveexec_b64 s[20:21], vcc
	s_cbranch_execz .LBB4_4450
; %bb.4445:                             ;   in Loop: Header=BB4_4148 Depth=2
	v_cmp_ne_u16_sdwa vcc, v4, s71 src0_sel:BYTE_0 src1_sel:DWORD
	v_bfrev_b32_e32 v18, 1
	s_and_saveexec_b64 s[56:57], vcc
	s_cbranch_execz .LBB4_4449
; %bb.4446:                             ;   in Loop: Header=BB4_4148 Depth=2
	v_and_b32_e32 v24, 0x7f, v4
	v_cmp_ne_u32_e32 vcc, s69, v24
	v_mov_b32_e32 v18, 0x7f800001
	s_and_saveexec_b64 s[58:59], vcc
	s_cbranch_execz .LBB4_4448
; %bb.4447:                             ;   in Loop: Header=BB4_4148 Depth=2
	v_and_b32_e32 v25, 7, v4
	v_ffbh_u32_e32 v25, v25
	v_min_u32_e32 v25, 32, v25
	v_subrev_u32_e32 v34, 28, v25
	v_cmp_gt_u32_e32 vcc, 8, v24
	v_lshrrev_b32_e32 v33, 3, v24
	v_perm_b32 v18, v3, v4, s73
	v_sub_u32_e32 v25, 29, v25
	v_cndmask_b32_e32 v24, 0, v34, vcc
	v_cndmask_b32_e32 v33, v33, v25, vcc
	v_lshlrev_b64 v[24:25], v24, v[18:19]
	v_lshlrev_b32_e32 v18, 20, v24
	v_lshlrev_b32_e32 v4, 24, v4
	v_bfrev_b32_e32 v24, 60
	v_and_b32_e32 v18, 0x700000, v18
	v_and_b32_e32 v4, 0x80000000, v4
	v_lshl_add_u32 v24, v33, 23, v24
	v_or3_b32 v18, v4, v24, v18
.LBB4_4448:                             ;   in Loop: Header=BB4_4148 Depth=2
	s_or_b64 exec, exec, s[58:59]
.LBB4_4449:                             ;   in Loop: Header=BB4_4148 Depth=2
	s_or_b64 exec, exec, s[56:57]
.LBB4_4450:                             ;   in Loop: Header=BB4_4148 Depth=2
	s_or_b64 exec, exec, s[20:21]
	s_waitcnt vmcnt(0)
	v_cmp_ne_u16_sdwa vcc, v10, v37 src0_sel:BYTE_0 src1_sel:DWORD
	s_and_saveexec_b64 s[20:21], vcc
	s_cbranch_execz .LBB4_4456
; %bb.4451:                             ;   in Loop: Header=BB4_4148 Depth=2
	v_cmp_ne_u16_sdwa vcc, v10, s71 src0_sel:BYTE_0 src1_sel:DWORD
	v_bfrev_b32_e32 v7, 1
	s_and_saveexec_b64 s[56:57], vcc
	s_cbranch_execz .LBB4_4455
; %bb.4452:                             ;   in Loop: Header=BB4_4148 Depth=2
	v_and_b32_e32 v4, 0x7f, v10
	v_cmp_ne_u32_e32 vcc, s69, v4
	v_mov_b32_e32 v7, 0x7f800001
	s_and_saveexec_b64 s[58:59], vcc
	s_cbranch_execz .LBB4_4454
; %bb.4453:                             ;   in Loop: Header=BB4_4148 Depth=2
	v_and_b32_e32 v7, 7, v10
	v_ffbh_u32_e32 v7, v7
	v_min_u32_e32 v7, 32, v7
	v_lshrrev_b32_e32 v24, 3, v4
	v_subrev_u32_e32 v25, 28, v7
	v_sub_u32_e32 v7, 29, v7
	v_cmp_gt_u32_e32 vcc, 8, v4
	v_cndmask_b32_e32 v4, v24, v7, vcc
	v_cndmask_b32_e32 v7, 0, v25, vcc
	v_lshlrev_b64 v[24:25], v7, v[10:11]
	v_lshlrev_b32_e32 v7, 20, v24
	v_lshlrev_b32_e32 v24, 24, v10
	v_bfrev_b32_e32 v25, 60
	v_and_b32_e32 v7, 0x700000, v7
	v_and_b32_e32 v24, 0x80000000, v24
	v_lshl_add_u32 v4, v4, 23, v25
	v_or3_b32 v7, v24, v4, v7
.LBB4_4454:                             ;   in Loop: Header=BB4_4148 Depth=2
	s_or_b64 exec, exec, s[58:59]
.LBB4_4455:                             ;   in Loop: Header=BB4_4148 Depth=2
	s_or_b64 exec, exec, s[56:57]
.LBB4_4456:                             ;   in Loop: Header=BB4_4148 Depth=2
	s_or_b64 exec, exec, s[20:21]
	v_add_f32_e32 v18, v18, v7
	v_and_b32_sdwa v7, v18, s71 dst_sel:DWORD dst_unused:UNUSED_PAD src0_sel:BYTE_3 src1_sel:DWORD
	v_and_b32_e32 v24, 0x7f800000, v18
	v_mov_b32_e32 v25, v37
	v_and_b32_e32 v36, 0x7fffff, v18
	v_or_b32_e32 v4, 0x7e, v7
	v_cmp_ne_u64_e32 vcc, s[38:39], v[24:25]
	s_and_saveexec_b64 s[20:21], vcc
	s_xor_b64 s[56:57], exec, s[20:21]
	s_cbranch_execz .LBB4_4466
; %bb.4457:                             ;   in Loop: Header=BB4_4148 Depth=2
	v_and_b32_e32 v24, 0x7fffffff, v18
	v_mov_b32_e32 v25, v37
	v_cmp_gt_u64_e32 vcc, s[40:41], v[24:25]
	s_and_saveexec_b64 s[58:59], vcc
	s_cbranch_execz .LBB4_4465
; %bb.4458:                             ;   in Loop: Header=BB4_4148 Depth=2
	v_cmp_ne_u32_e32 vcc, 0, v18
	v_mov_b32_e32 v4, 0
	s_and_saveexec_b64 s[60:61], vcc
	s_cbranch_execz .LBB4_4464
; %bb.4459:                             ;   in Loop: Header=BB4_4148 Depth=2
	v_bfe_u32 v4, v18, 23, 8
	v_sub_u32_e32 v24, 0x79, v4
	v_cmp_gt_u32_e32 vcc, s72, v4
	v_add_u32_e32 v18, 0xffffff81, v4
	v_cndmask_b32_e32 v24, 0, v24, vcc
	v_cmp_eq_u32_e32 vcc, 0, v4
	v_mov_b32_e32 v4, 0xffffff82
	v_cndmask_b32_e32 v4, v18, v4, vcc
	v_mov_b32_e32 v18, 0x78
	v_cndmask_b32_e32 v18, v24, v18, vcc
	v_or_b32_e32 v25, 0x800000, v36
	v_add_u32_e32 v24, 20, v18
	v_cndmask_b32_e32 v36, v25, v36, vcc
	v_lshlrev_b64 v[24:25], v24, -1
	v_not_b32_e32 v24, v24
	v_and_b32_e32 v34, v36, v24
	v_add_u32_e32 v24, 19, v18
	v_lshrrev_b64 v[48:49], v18, v[36:37]
	v_not_b32_e32 v25, v25
	v_lshlrev_b64 v[38:39], v24, 1
	v_lshrrev_b32_e32 v24, 23, v48
	v_and_b32_e32 v35, 0, v25
	v_add3_u32 v24, v18, v4, v24
	v_bfe_u32 v4, v48, 20, 1
	v_add_u32_e32 v4, -1, v4
	v_cmp_eq_u64_e32 vcc, v[34:35], v[38:39]
	v_cndmask_b32_e32 v4, 0, v4, vcc
	v_add_u32_e32 v4, v4, v48
	v_and_b32_e32 v4, 0xfffff, v4
	v_add_co_u32_e32 v44, vcc, v4, v48
	v_add_u32_e32 v18, 6, v24
	v_addc_co_u32_e32 v45, vcc, 0, v49, vcc
	v_cmp_ne_u32_e32 vcc, 0, v18
                                        ; implicit-def: $vgpr4
	s_and_saveexec_b64 s[20:21], vcc
	s_xor_b64 s[20:21], exec, s[20:21]
; %bb.4460:                             ;   in Loop: Header=BB4_4148 Depth=2
	v_add_u32_e32 v4, 7, v24
	v_cmp_lt_u64_e32 vcc, s[44:45], v[44:45]
	v_cndmask_b32_e32 v4, v18, v4, vcc
	v_cndmask_b32_e64 v18, 0, 1, vcc
	v_lshrrev_b64 v[44:45], v18, v[44:45]
; %bb.4461:                             ;   in Loop: Header=BB4_4148 Depth=2
	s_andn2_saveexec_b64 s[20:21], s[20:21]
; %bb.4462:                             ;   in Loop: Header=BB4_4148 Depth=2
	v_bfe_u32 v4, v44, 23, 1
; %bb.4463:                             ;   in Loop: Header=BB4_4148 Depth=2
	s_or_b64 exec, exec, s[20:21]
	v_lshrrev_b64 v[24:25], 20, v[44:45]
	v_cmp_gt_i32_e32 vcc, 16, v4
	v_cndmask_b32_e32 v25, 0, v25, vcc
	v_cndmask_b32_e32 v24, 7, v24, vcc
	v_cmp_eq_u32_e32 vcc, 0, v4
	v_min_i32_e32 v4, 15, v4
	v_cmp_eq_u64_e64 s[20:21], 0, v[24:25]
	v_lshlrev_b32_e32 v4, 3, v4
	v_and_or_b32 v4, v24, 7, v4
	s_and_b64 s[20:21], vcc, s[20:21]
	v_cndmask_b32_e64 v4, v4, 0, s[20:21]
	v_or_b32_e32 v4, v4, v7
.LBB4_4464:                             ;   in Loop: Header=BB4_4148 Depth=2
	s_or_b64 exec, exec, s[60:61]
.LBB4_4465:                             ;   in Loop: Header=BB4_4148 Depth=2
	s_or_b64 exec, exec, s[58:59]
                                        ; implicit-def: $vgpr18
.LBB4_4466:                             ;   in Loop: Header=BB4_4148 Depth=2
	s_andn2_saveexec_b64 s[20:21], s[56:57]
; %bb.4467:                             ;   in Loop: Header=BB4_4148 Depth=2
	v_or_b32_sdwa v7, v18, s69 dst_sel:DWORD dst_unused:UNUSED_PAD src0_sel:BYTE_3 src1_sel:DWORD
	v_cmp_eq_u64_e32 vcc, 0, v[36:37]
	v_cndmask_b32_e32 v4, v7, v4, vcc
; %bb.4468:                             ;   in Loop: Header=BB4_4148 Depth=2
	s_or_b64 exec, exec, s[20:21]
	v_lshrrev_b16_e32 v24, 8, v3
	v_cmp_ne_u16_e32 vcc, 0, v24
	v_mov_b32_e32 v7, 0
	v_mov_b32_e32 v18, 0
	s_and_saveexec_b64 s[20:21], vcc
	s_cbranch_execz .LBB4_4474
; %bb.4469:                             ;   in Loop: Header=BB4_4148 Depth=2
	v_cmp_ne_u16_e32 vcc, s71, v24
	v_bfrev_b32_e32 v18, 1
	s_and_saveexec_b64 s[56:57], vcc
	s_cbranch_execz .LBB4_4473
; %bb.4470:                             ;   in Loop: Header=BB4_4148 Depth=2
	v_and_b32_e32 v33, 0x7f, v24
	v_cmp_ne_u32_e32 vcc, s69, v33
	v_mov_b32_e32 v18, 0x7f800001
	s_and_saveexec_b64 s[58:59], vcc
	s_cbranch_execz .LBB4_4472
; %bb.4471:                             ;   in Loop: Header=BB4_4148 Depth=2
	v_and_b32_e32 v18, 7, v24
	v_ffbh_u32_e32 v25, v18
	v_min_u32_e32 v35, 32, v25
	v_subrev_u32_e32 v25, 28, v35
	v_lshlrev_b64 v[24:25], v25, v[24:25]
	v_lshrrev_b32_e32 v34, 3, v33
	v_sub_u32_e32 v25, 29, v35
	v_and_b32_e32 v24, 7, v24
	v_cmp_gt_u32_e32 vcc, 8, v33
	v_cndmask_b32_e32 v25, v34, v25, vcc
	v_cndmask_b32_e32 v18, v18, v24, vcc
	v_lshlrev_b32_e32 v3, 16, v3
	v_bfrev_b32_e32 v24, 60
	v_lshlrev_b32_e32 v18, 20, v18
	v_and_b32_e32 v3, 0x80000000, v3
	v_lshl_add_u32 v24, v25, 23, v24
	v_or3_b32 v18, v3, v24, v18
.LBB4_4472:                             ;   in Loop: Header=BB4_4148 Depth=2
	s_or_b64 exec, exec, s[58:59]
.LBB4_4473:                             ;   in Loop: Header=BB4_4148 Depth=2
	s_or_b64 exec, exec, s[56:57]
.LBB4_4474:                             ;   in Loop: Header=BB4_4148 Depth=2
	s_or_b64 exec, exec, s[20:21]
	v_lshrrev_b16_e32 v24, 8, v10
	v_cmp_ne_u16_e32 vcc, 0, v24
	s_and_saveexec_b64 s[20:21], vcc
	s_cbranch_execz .LBB4_4480
; %bb.4475:                             ;   in Loop: Header=BB4_4148 Depth=2
	v_cmp_ne_u16_e32 vcc, s71, v24
	v_bfrev_b32_e32 v7, 1
	s_and_saveexec_b64 s[56:57], vcc
	s_cbranch_execz .LBB4_4479
; %bb.4476:                             ;   in Loop: Header=BB4_4148 Depth=2
	v_and_b32_e32 v3, 0x7f, v24
	v_cmp_ne_u32_e32 vcc, s69, v3
	v_mov_b32_e32 v7, 0x7f800001
	s_and_saveexec_b64 s[58:59], vcc
	s_cbranch_execz .LBB4_4478
; %bb.4477:                             ;   in Loop: Header=BB4_4148 Depth=2
	v_and_b32_e32 v7, 7, v24
	v_ffbh_u32_e32 v25, v7
	v_min_u32_e32 v34, 32, v25
	v_subrev_u32_e32 v25, 28, v34
	v_lshlrev_b64 v[24:25], v25, v[24:25]
	v_lshrrev_b32_e32 v33, 3, v3
	v_sub_u32_e32 v25, 29, v34
	v_and_b32_e32 v24, 7, v24
	v_cmp_gt_u32_e32 vcc, 8, v3
	v_cndmask_b32_e32 v3, v33, v25, vcc
	v_cndmask_b32_e32 v7, v7, v24, vcc
	v_lshlrev_b32_e32 v24, 16, v10
	v_bfrev_b32_e32 v25, 60
	v_lshlrev_b32_e32 v7, 20, v7
	v_and_b32_e32 v24, 0x80000000, v24
	v_lshl_add_u32 v3, v3, 23, v25
	v_or3_b32 v7, v24, v3, v7
.LBB4_4478:                             ;   in Loop: Header=BB4_4148 Depth=2
	s_or_b64 exec, exec, s[58:59]
.LBB4_4479:                             ;   in Loop: Header=BB4_4148 Depth=2
	s_or_b64 exec, exec, s[56:57]
.LBB4_4480:                             ;   in Loop: Header=BB4_4148 Depth=2
	s_or_b64 exec, exec, s[20:21]
	v_add_f32_e32 v18, v18, v7
	v_and_b32_sdwa v3, v18, s71 dst_sel:DWORD dst_unused:UNUSED_PAD src0_sel:BYTE_3 src1_sel:DWORD
	v_and_b32_e32 v24, 0x7f800000, v18
	v_mov_b32_e32 v25, v37
	v_and_b32_e32 v36, 0x7fffff, v18
	v_or_b32_e32 v7, 0x7e, v3
	v_cmp_ne_u64_e32 vcc, s[38:39], v[24:25]
	s_and_saveexec_b64 s[20:21], vcc
	s_xor_b64 s[56:57], exec, s[20:21]
	s_cbranch_execz .LBB4_4490
; %bb.4481:                             ;   in Loop: Header=BB4_4148 Depth=2
	v_and_b32_e32 v24, 0x7fffffff, v18
	v_mov_b32_e32 v25, v37
	v_cmp_gt_u64_e32 vcc, s[40:41], v[24:25]
	s_and_saveexec_b64 s[58:59], vcc
	s_cbranch_execz .LBB4_4489
; %bb.4482:                             ;   in Loop: Header=BB4_4148 Depth=2
	v_cmp_ne_u32_e32 vcc, 0, v18
	v_mov_b32_e32 v7, 0
	s_and_saveexec_b64 s[60:61], vcc
	s_cbranch_execz .LBB4_4488
; %bb.4483:                             ;   in Loop: Header=BB4_4148 Depth=2
	v_bfe_u32 v7, v18, 23, 8
	v_sub_u32_e32 v24, 0x79, v7
	v_cmp_gt_u32_e32 vcc, s72, v7
	v_add_u32_e32 v18, 0xffffff81, v7
	v_cndmask_b32_e32 v24, 0, v24, vcc
	v_cmp_eq_u32_e32 vcc, 0, v7
	v_mov_b32_e32 v7, 0xffffff82
	v_cndmask_b32_e32 v7, v18, v7, vcc
	v_mov_b32_e32 v18, 0x78
	v_cndmask_b32_e32 v18, v24, v18, vcc
	v_or_b32_e32 v25, 0x800000, v36
	v_add_u32_e32 v24, 20, v18
	v_cndmask_b32_e32 v36, v25, v36, vcc
	v_lshlrev_b64 v[24:25], v24, -1
	v_not_b32_e32 v24, v24
	v_and_b32_e32 v34, v36, v24
	v_add_u32_e32 v24, 19, v18
	v_lshrrev_b64 v[48:49], v18, v[36:37]
	v_not_b32_e32 v25, v25
	v_lshlrev_b64 v[38:39], v24, 1
	v_lshrrev_b32_e32 v24, 23, v48
	v_and_b32_e32 v35, 0, v25
	v_add3_u32 v24, v18, v7, v24
	v_bfe_u32 v7, v48, 20, 1
	v_add_u32_e32 v7, -1, v7
	v_cmp_eq_u64_e32 vcc, v[34:35], v[38:39]
	v_cndmask_b32_e32 v7, 0, v7, vcc
	v_add_u32_e32 v7, v7, v48
	v_and_b32_e32 v7, 0xfffff, v7
	v_add_co_u32_e32 v44, vcc, v7, v48
	v_add_u32_e32 v18, 6, v24
	v_addc_co_u32_e32 v45, vcc, 0, v49, vcc
	v_cmp_ne_u32_e32 vcc, 0, v18
                                        ; implicit-def: $vgpr7
	s_and_saveexec_b64 s[20:21], vcc
	s_xor_b64 s[20:21], exec, s[20:21]
; %bb.4484:                             ;   in Loop: Header=BB4_4148 Depth=2
	v_add_u32_e32 v7, 7, v24
	v_cmp_lt_u64_e32 vcc, s[44:45], v[44:45]
	v_cndmask_b32_e32 v7, v18, v7, vcc
	v_cndmask_b32_e64 v18, 0, 1, vcc
	v_lshrrev_b64 v[44:45], v18, v[44:45]
; %bb.4485:                             ;   in Loop: Header=BB4_4148 Depth=2
	s_andn2_saveexec_b64 s[20:21], s[20:21]
; %bb.4486:                             ;   in Loop: Header=BB4_4148 Depth=2
	v_bfe_u32 v7, v44, 23, 1
; %bb.4487:                             ;   in Loop: Header=BB4_4148 Depth=2
	s_or_b64 exec, exec, s[20:21]
	v_lshrrev_b64 v[24:25], 20, v[44:45]
	v_cmp_gt_i32_e32 vcc, 16, v7
	v_cndmask_b32_e32 v25, 0, v25, vcc
	v_cndmask_b32_e32 v24, 7, v24, vcc
	v_cmp_eq_u32_e32 vcc, 0, v7
	v_min_i32_e32 v7, 15, v7
	v_cmp_eq_u64_e64 s[20:21], 0, v[24:25]
	v_lshlrev_b32_e32 v7, 3, v7
	v_and_or_b32 v7, v24, 7, v7
	s_and_b64 s[20:21], vcc, s[20:21]
	v_cndmask_b32_e64 v7, v7, 0, s[20:21]
	v_or_b32_e32 v7, v7, v3
.LBB4_4488:                             ;   in Loop: Header=BB4_4148 Depth=2
	s_or_b64 exec, exec, s[60:61]
.LBB4_4489:                             ;   in Loop: Header=BB4_4148 Depth=2
	s_or_b64 exec, exec, s[58:59]
                                        ; implicit-def: $vgpr18
.LBB4_4490:                             ;   in Loop: Header=BB4_4148 Depth=2
	s_andn2_saveexec_b64 s[20:21], s[56:57]
; %bb.4491:                             ;   in Loop: Header=BB4_4148 Depth=2
	v_or_b32_sdwa v3, v18, s69 dst_sel:DWORD dst_unused:UNUSED_PAD src0_sel:BYTE_3 src1_sel:DWORD
	v_cmp_eq_u64_e32 vcc, 0, v[36:37]
	v_cndmask_b32_e32 v7, v3, v7, vcc
; %bb.4492:                             ;   in Loop: Header=BB4_4148 Depth=2
	s_or_b64 exec, exec, s[20:21]
	v_cmp_ne_u16_sdwa vcc, v42, v37 src0_sel:BYTE_0 src1_sel:DWORD
	v_mov_b32_e32 v3, 0
	v_mov_b32_e32 v18, 0
	s_and_saveexec_b64 s[20:21], vcc
	s_cbranch_execz .LBB4_4498
; %bb.4493:                             ;   in Loop: Header=BB4_4148 Depth=2
	v_cmp_ne_u16_sdwa vcc, v42, s71 src0_sel:BYTE_0 src1_sel:DWORD
	v_bfrev_b32_e32 v18, 1
	s_and_saveexec_b64 s[56:57], vcc
	s_cbranch_execz .LBB4_4497
; %bb.4494:                             ;   in Loop: Header=BB4_4148 Depth=2
	v_and_b32_e32 v24, 0x7f, v42
	v_cmp_ne_u32_e32 vcc, s69, v24
	v_mov_b32_e32 v18, 0x7f800001
	s_and_saveexec_b64 s[58:59], vcc
	s_cbranch_execz .LBB4_4496
; %bb.4495:                             ;   in Loop: Header=BB4_4148 Depth=2
	v_and_b32_e32 v18, 7, v42
	v_ffbh_u32_e32 v33, v18
	v_min_u32_e32 v33, 32, v33
	v_subrev_u32_e32 v34, 28, v33
	v_lshlrev_b64 v[34:35], v34, v[42:43]
	v_lshrrev_b32_e32 v25, 3, v24
	v_sub_u32_e32 v33, 29, v33
	v_and_b32_e32 v34, 7, v34
	v_cmp_gt_u32_e32 vcc, 8, v24
	v_cndmask_b32_e32 v24, v25, v33, vcc
	v_cndmask_b32_e32 v18, v18, v34, vcc
	v_lshlrev_b32_e32 v25, 24, v42
	v_bfrev_b32_e32 v33, 60
	v_lshlrev_b32_e32 v18, 20, v18
	v_and_b32_e32 v25, 0x80000000, v25
	v_lshl_add_u32 v24, v24, 23, v33
	v_or3_b32 v18, v25, v24, v18
.LBB4_4496:                             ;   in Loop: Header=BB4_4148 Depth=2
	s_or_b64 exec, exec, s[58:59]
.LBB4_4497:                             ;   in Loop: Header=BB4_4148 Depth=2
	s_or_b64 exec, exec, s[56:57]
.LBB4_4498:                             ;   in Loop: Header=BB4_4148 Depth=2
	s_or_b64 exec, exec, s[20:21]
	v_lshrrev_b32_e32 v24, 16, v10
	v_cmp_ne_u16_sdwa vcc, v24, v37 src0_sel:BYTE_0 src1_sel:DWORD
	s_and_saveexec_b64 s[20:21], vcc
	s_cbranch_execz .LBB4_4504
; %bb.4499:                             ;   in Loop: Header=BB4_4148 Depth=2
	v_cmp_ne_u16_sdwa vcc, v24, s71 src0_sel:BYTE_0 src1_sel:DWORD
	v_bfrev_b32_e32 v3, 1
	s_and_saveexec_b64 s[56:57], vcc
	s_cbranch_execz .LBB4_4503
; %bb.4500:                             ;   in Loop: Header=BB4_4148 Depth=2
	v_bfe_u32 v33, v10, 16, 7
	v_cmp_ne_u32_e32 vcc, s69, v33
	v_mov_b32_e32 v3, 0x7f800001
	s_and_saveexec_b64 s[58:59], vcc
	s_cbranch_execz .LBB4_4502
; %bb.4501:                             ;   in Loop: Header=BB4_4148 Depth=2
	v_and_b32_e32 v3, 7, v24
	v_ffbh_u32_e32 v25, v3
	v_min_u32_e32 v35, 32, v25
	v_subrev_u32_e32 v25, 28, v35
	v_lshlrev_b64 v[24:25], v25, v[24:25]
	v_lshrrev_b32_e32 v34, 3, v33
	v_sub_u32_e32 v25, 29, v35
	v_and_b32_e32 v24, 7, v24
	v_cmp_gt_u32_e32 vcc, 8, v33
	v_cndmask_b32_e32 v25, v34, v25, vcc
	v_cndmask_b32_e32 v3, v3, v24, vcc
	v_lshlrev_b32_e32 v24, 8, v10
	v_bfrev_b32_e32 v33, 60
	v_lshlrev_b32_e32 v3, 20, v3
	v_and_b32_e32 v24, 0x80000000, v24
	v_lshl_add_u32 v25, v25, 23, v33
	v_or3_b32 v3, v24, v25, v3
.LBB4_4502:                             ;   in Loop: Header=BB4_4148 Depth=2
	s_or_b64 exec, exec, s[58:59]
.LBB4_4503:                             ;   in Loop: Header=BB4_4148 Depth=2
	s_or_b64 exec, exec, s[56:57]
.LBB4_4504:                             ;   in Loop: Header=BB4_4148 Depth=2
	s_or_b64 exec, exec, s[20:21]
	v_add_f32_e32 v24, v18, v3
	v_and_b32_sdwa v3, v24, s71 dst_sel:DWORD dst_unused:UNUSED_PAD src0_sel:BYTE_3 src1_sel:DWORD
	v_and_b32_e32 v34, 0x7f800000, v24
	v_mov_b32_e32 v35, v37
	v_and_b32_e32 v36, 0x7fffff, v24
	v_or_b32_e32 v18, 0x7e, v3
	v_cmp_ne_u64_e32 vcc, s[38:39], v[34:35]
	s_and_saveexec_b64 s[20:21], vcc
	s_xor_b64 s[56:57], exec, s[20:21]
	s_cbranch_execz .LBB4_4514
; %bb.4505:                             ;   in Loop: Header=BB4_4148 Depth=2
	v_and_b32_e32 v34, 0x7fffffff, v24
	v_mov_b32_e32 v35, v37
	v_cmp_gt_u64_e32 vcc, s[40:41], v[34:35]
	s_and_saveexec_b64 s[58:59], vcc
	s_cbranch_execz .LBB4_4513
; %bb.4506:                             ;   in Loop: Header=BB4_4148 Depth=2
	v_cmp_ne_u32_e32 vcc, 0, v24
	v_mov_b32_e32 v18, 0
	s_and_saveexec_b64 s[60:61], vcc
	s_cbranch_execz .LBB4_4512
; %bb.4507:                             ;   in Loop: Header=BB4_4148 Depth=2
	v_bfe_u32 v18, v24, 23, 8
	v_sub_u32_e32 v25, 0x79, v18
	v_cmp_gt_u32_e32 vcc, s72, v18
	v_add_u32_e32 v24, 0xffffff81, v18
	v_cndmask_b32_e32 v25, 0, v25, vcc
	v_cmp_eq_u32_e32 vcc, 0, v18
	v_mov_b32_e32 v18, 0xffffff82
	v_cndmask_b32_e32 v18, v24, v18, vcc
	v_mov_b32_e32 v24, 0x78
	v_cndmask_b32_e32 v50, v25, v24, vcc
	v_add_u32_e32 v24, 20, v50
	v_or_b32_e32 v33, 0x800000, v36
	v_lshlrev_b64 v[24:25], v24, -1
	v_cndmask_b32_e32 v36, v33, v36, vcc
	v_not_b32_e32 v24, v24
	v_and_b32_e32 v34, v36, v24
	v_add_u32_e32 v24, 19, v50
	v_lshrrev_b64 v[48:49], v50, v[36:37]
	v_not_b32_e32 v25, v25
	v_lshlrev_b64 v[38:39], v24, 1
	v_lshrrev_b32_e32 v24, 23, v48
	v_and_b32_e32 v35, 0, v25
	v_add3_u32 v33, v50, v18, v24
	v_bfe_u32 v18, v48, 20, 1
	v_add_u32_e32 v18, -1, v18
	v_cmp_eq_u64_e32 vcc, v[34:35], v[38:39]
	v_cndmask_b32_e32 v18, 0, v18, vcc
	v_add_u32_e32 v18, v18, v48
	v_and_b32_e32 v18, 0xfffff, v18
	v_add_co_u32_e32 v42, vcc, v18, v48
	v_add_u32_e32 v24, 6, v33
	v_addc_co_u32_e32 v43, vcc, 0, v49, vcc
	v_cmp_ne_u32_e32 vcc, 0, v24
                                        ; implicit-def: $vgpr18
	s_and_saveexec_b64 s[20:21], vcc
	s_xor_b64 s[20:21], exec, s[20:21]
; %bb.4508:                             ;   in Loop: Header=BB4_4148 Depth=2
	v_add_u32_e32 v18, 7, v33
	v_cmp_lt_u64_e32 vcc, s[44:45], v[42:43]
	v_cndmask_b32_e32 v18, v24, v18, vcc
	v_cndmask_b32_e64 v24, 0, 1, vcc
	v_lshrrev_b64 v[42:43], v24, v[42:43]
; %bb.4509:                             ;   in Loop: Header=BB4_4148 Depth=2
	s_andn2_saveexec_b64 s[20:21], s[20:21]
; %bb.4510:                             ;   in Loop: Header=BB4_4148 Depth=2
	v_bfe_u32 v18, v42, 23, 1
; %bb.4511:                             ;   in Loop: Header=BB4_4148 Depth=2
	s_or_b64 exec, exec, s[20:21]
	v_lshrrev_b64 v[24:25], 20, v[42:43]
	v_cmp_gt_i32_e32 vcc, 16, v18
	v_cndmask_b32_e32 v25, 0, v25, vcc
	v_cndmask_b32_e32 v24, 7, v24, vcc
	v_cmp_eq_u32_e32 vcc, 0, v18
	v_min_i32_e32 v18, 15, v18
	v_cmp_eq_u64_e64 s[20:21], 0, v[24:25]
	v_lshlrev_b32_e32 v18, 3, v18
	v_and_or_b32 v18, v24, 7, v18
	s_and_b64 s[20:21], vcc, s[20:21]
	v_cndmask_b32_e64 v18, v18, 0, s[20:21]
	v_or_b32_e32 v18, v18, v3
.LBB4_4512:                             ;   in Loop: Header=BB4_4148 Depth=2
	s_or_b64 exec, exec, s[60:61]
.LBB4_4513:                             ;   in Loop: Header=BB4_4148 Depth=2
	s_or_b64 exec, exec, s[58:59]
                                        ; implicit-def: $vgpr24
.LBB4_4514:                             ;   in Loop: Header=BB4_4148 Depth=2
	s_andn2_saveexec_b64 s[20:21], s[56:57]
; %bb.4515:                             ;   in Loop: Header=BB4_4148 Depth=2
	v_or_b32_sdwa v3, v24, s69 dst_sel:DWORD dst_unused:UNUSED_PAD src0_sel:BYTE_3 src1_sel:DWORD
	v_cmp_eq_u64_e32 vcc, 0, v[36:37]
	v_cndmask_b32_e32 v18, v3, v18, vcc
; %bb.4516:                             ;   in Loop: Header=BB4_4148 Depth=2
	s_or_b64 exec, exec, s[20:21]
	v_lshlrev_b32_e32 v3, 8, v23
	v_and_b32_e32 v24, 0xff00, v3
	v_cmp_ne_u32_e32 vcc, 0, v24
	v_mov_b32_e32 v3, 0
	v_mov_b32_e32 v23, 0
	s_and_saveexec_b64 s[20:21], vcc
	s_cbranch_execz .LBB4_4522
; %bb.4517:                             ;   in Loop: Header=BB4_4148 Depth=2
	v_cmp_ne_u32_e32 vcc, s74, v24
	v_bfrev_b32_e32 v23, 1
	s_and_saveexec_b64 s[56:57], vcc
	s_cbranch_execz .LBB4_4521
; %bb.4518:                             ;   in Loop: Header=BB4_4148 Depth=2
	v_bfe_u32 v33, v24, 8, 7
	v_cmp_ne_u32_e32 vcc, s69, v33
	v_mov_b32_e32 v23, 0x7f800001
	s_and_saveexec_b64 s[58:59], vcc
	s_cbranch_execz .LBB4_4520
; %bb.4519:                             ;   in Loop: Header=BB4_4148 Depth=2
	v_lshrrev_b32_e32 v34, 8, v24
	v_and_b32_e32 v23, 7, v34
	v_ffbh_u32_e32 v35, v23
	v_min_u32_e32 v36, 32, v35
	v_subrev_u32_e32 v35, 28, v36
	v_lshlrev_b64 v[34:35], v35, v[34:35]
	v_lshrrev_b32_e32 v25, 3, v33
	v_sub_u32_e32 v35, 29, v36
	v_and_b32_e32 v34, 7, v34
	v_cmp_gt_u32_e32 vcc, 8, v33
	v_cndmask_b32_e32 v25, v25, v35, vcc
	v_cndmask_b32_e32 v23, v23, v34, vcc
	v_lshlrev_b32_e32 v24, 16, v24
	v_bfrev_b32_e32 v33, 60
	v_lshlrev_b32_e32 v23, 20, v23
	v_and_b32_e32 v24, 0x80000000, v24
	v_lshl_add_u32 v25, v25, 23, v33
	v_or3_b32 v23, v24, v25, v23
.LBB4_4520:                             ;   in Loop: Header=BB4_4148 Depth=2
	s_or_b64 exec, exec, s[58:59]
.LBB4_4521:                             ;   in Loop: Header=BB4_4148 Depth=2
	s_or_b64 exec, exec, s[56:57]
.LBB4_4522:                             ;   in Loop: Header=BB4_4148 Depth=2
	s_or_b64 exec, exec, s[20:21]
	v_cmp_lt_u32_e32 vcc, s43, v10
	s_and_saveexec_b64 s[20:21], vcc
	s_cbranch_execz .LBB4_4528
; %bb.4523:                             ;   in Loop: Header=BB4_4148 Depth=2
	v_lshrrev_b32_e32 v24, 24, v10
	v_cmp_ne_u32_e32 vcc, s71, v24
	v_bfrev_b32_e32 v3, 1
	s_and_saveexec_b64 s[56:57], vcc
	s_cbranch_execz .LBB4_4527
; %bb.4524:                             ;   in Loop: Header=BB4_4148 Depth=2
	v_bfe_u32 v33, v10, 24, 7
	v_cmp_ne_u32_e32 vcc, s69, v33
	v_mov_b32_e32 v3, 0x7f800001
	s_and_saveexec_b64 s[58:59], vcc
	s_cbranch_execz .LBB4_4526
; %bb.4525:                             ;   in Loop: Header=BB4_4148 Depth=2
	v_and_b32_e32 v3, 7, v24
	v_ffbh_u32_e32 v34, v3
	v_min_u32_e32 v36, 32, v34
	v_lshrrev_b32_e32 v25, 3, v33
	v_subrev_u32_e32 v34, 28, v36
	v_lshlrev_b64 v[34:35], v34, v[24:25]
	v_sub_u32_e32 v35, 29, v36
	v_and_b32_e32 v34, 7, v34
	v_cmp_gt_u32_e32 vcc, 8, v33
	v_cndmask_b32_e32 v25, v25, v35, vcc
	v_cndmask_b32_e32 v3, v3, v34, vcc
	v_lshlrev_b32_e32 v24, 24, v24
	v_bfrev_b32_e32 v33, 60
	v_lshlrev_b32_e32 v3, 20, v3
	v_and_b32_e32 v24, 0x80000000, v24
	v_lshl_add_u32 v25, v25, 23, v33
	v_or3_b32 v3, v24, v25, v3
.LBB4_4526:                             ;   in Loop: Header=BB4_4148 Depth=2
	s_or_b64 exec, exec, s[58:59]
.LBB4_4527:                             ;   in Loop: Header=BB4_4148 Depth=2
	s_or_b64 exec, exec, s[56:57]
.LBB4_4528:                             ;   in Loop: Header=BB4_4148 Depth=2
	s_or_b64 exec, exec, s[20:21]
	v_add_f32_e32 v24, v23, v3
	v_and_b32_sdwa v3, v24, s71 dst_sel:DWORD dst_unused:UNUSED_PAD src0_sel:BYTE_3 src1_sel:DWORD
	v_and_b32_e32 v34, 0x7f800000, v24
	v_mov_b32_e32 v35, v37
	v_and_b32_e32 v36, 0x7fffff, v24
	v_or_b32_e32 v23, 0x7e, v3
	v_cmp_ne_u64_e32 vcc, s[38:39], v[34:35]
	s_and_saveexec_b64 s[20:21], vcc
	s_xor_b64 s[56:57], exec, s[20:21]
	s_cbranch_execz .LBB4_4538
; %bb.4529:                             ;   in Loop: Header=BB4_4148 Depth=2
	v_and_b32_e32 v34, 0x7fffffff, v24
	v_mov_b32_e32 v35, v37
	v_cmp_gt_u64_e32 vcc, s[40:41], v[34:35]
	s_and_saveexec_b64 s[58:59], vcc
	s_cbranch_execz .LBB4_4537
; %bb.4530:                             ;   in Loop: Header=BB4_4148 Depth=2
	v_cmp_ne_u32_e32 vcc, 0, v24
	v_mov_b32_e32 v23, 0
	s_and_saveexec_b64 s[60:61], vcc
	s_cbranch_execz .LBB4_4536
; %bb.4531:                             ;   in Loop: Header=BB4_4148 Depth=2
	v_bfe_u32 v23, v24, 23, 8
	v_sub_u32_e32 v25, 0x79, v23
	v_cmp_gt_u32_e32 vcc, s72, v23
	v_add_u32_e32 v24, 0xffffff81, v23
	v_cndmask_b32_e32 v25, 0, v25, vcc
	v_cmp_eq_u32_e32 vcc, 0, v23
	v_mov_b32_e32 v23, 0xffffff82
	v_cndmask_b32_e32 v23, v24, v23, vcc
	v_mov_b32_e32 v24, 0x78
	v_cndmask_b32_e32 v50, v25, v24, vcc
	v_add_u32_e32 v24, 20, v50
	v_or_b32_e32 v33, 0x800000, v36
	v_lshlrev_b64 v[24:25], v24, -1
	v_cndmask_b32_e32 v36, v33, v36, vcc
	v_not_b32_e32 v24, v24
	v_and_b32_e32 v34, v36, v24
	v_add_u32_e32 v24, 19, v50
	v_lshrrev_b64 v[48:49], v50, v[36:37]
	v_not_b32_e32 v25, v25
	v_lshlrev_b64 v[38:39], v24, 1
	v_lshrrev_b32_e32 v24, 23, v48
	v_and_b32_e32 v35, 0, v25
	v_add3_u32 v33, v50, v23, v24
	v_bfe_u32 v23, v48, 20, 1
	v_add_u32_e32 v23, -1, v23
	v_cmp_eq_u64_e32 vcc, v[34:35], v[38:39]
	v_cndmask_b32_e32 v23, 0, v23, vcc
	v_add_u32_e32 v23, v23, v48
	v_and_b32_e32 v23, 0xfffff, v23
	v_add_co_u32_e32 v42, vcc, v23, v48
	v_add_u32_e32 v24, 6, v33
	v_addc_co_u32_e32 v43, vcc, 0, v49, vcc
	v_cmp_ne_u32_e32 vcc, 0, v24
                                        ; implicit-def: $vgpr23
	s_and_saveexec_b64 s[20:21], vcc
	s_xor_b64 s[20:21], exec, s[20:21]
; %bb.4532:                             ;   in Loop: Header=BB4_4148 Depth=2
	v_add_u32_e32 v23, 7, v33
	v_cmp_lt_u64_e32 vcc, s[44:45], v[42:43]
	v_cndmask_b32_e32 v23, v24, v23, vcc
	v_cndmask_b32_e64 v24, 0, 1, vcc
	v_lshrrev_b64 v[42:43], v24, v[42:43]
; %bb.4533:                             ;   in Loop: Header=BB4_4148 Depth=2
	s_andn2_saveexec_b64 s[20:21], s[20:21]
; %bb.4534:                             ;   in Loop: Header=BB4_4148 Depth=2
	v_bfe_u32 v23, v42, 23, 1
; %bb.4535:                             ;   in Loop: Header=BB4_4148 Depth=2
	s_or_b64 exec, exec, s[20:21]
	v_lshrrev_b64 v[24:25], 20, v[42:43]
	v_cmp_gt_i32_e32 vcc, 16, v23
	v_cndmask_b32_e32 v25, 0, v25, vcc
	v_cndmask_b32_e32 v24, 7, v24, vcc
	v_cmp_eq_u32_e32 vcc, 0, v23
	v_min_i32_e32 v23, 15, v23
	v_cmp_eq_u64_e64 s[20:21], 0, v[24:25]
	v_lshlrev_b32_e32 v23, 3, v23
	v_and_or_b32 v23, v24, 7, v23
	s_and_b64 s[20:21], vcc, s[20:21]
	v_cndmask_b32_e64 v23, v23, 0, s[20:21]
	v_or_b32_e32 v23, v23, v3
.LBB4_4536:                             ;   in Loop: Header=BB4_4148 Depth=2
	s_or_b64 exec, exec, s[60:61]
.LBB4_4537:                             ;   in Loop: Header=BB4_4148 Depth=2
	s_or_b64 exec, exec, s[58:59]
                                        ; implicit-def: $vgpr24
.LBB4_4538:                             ;   in Loop: Header=BB4_4148 Depth=2
	s_andn2_saveexec_b64 s[20:21], s[56:57]
; %bb.4539:                             ;   in Loop: Header=BB4_4148 Depth=2
	v_or_b32_sdwa v3, v24, s69 dst_sel:DWORD dst_unused:UNUSED_PAD src0_sel:BYTE_3 src1_sel:DWORD
	v_cmp_eq_u64_e32 vcc, 0, v[36:37]
	v_cndmask_b32_e32 v23, v3, v23, vcc
; %bb.4540:                             ;   in Loop: Header=BB4_4148 Depth=2
	s_or_b64 exec, exec, s[20:21]
	v_lshlrev_b32_e32 v3, 8, v30
	v_lshlrev_b32_e32 v24, 24, v32
	v_perm_b32 v25, v31, v20, s75
	v_or3_b32 v36, v25, v24, v3
	v_cmp_ne_u16_sdwa vcc, v20, v37 src0_sel:BYTE_0 src1_sel:DWORD
	v_mov_b32_e32 v30, 0
	v_mov_b32_e32 v24, 0
	s_and_saveexec_b64 s[20:21], vcc
	s_cbranch_execz .LBB4_4546
; %bb.4541:                             ;   in Loop: Header=BB4_4148 Depth=2
	v_cmp_ne_u16_sdwa vcc, v20, s71 src0_sel:BYTE_0 src1_sel:DWORD
	v_bfrev_b32_e32 v24, 1
	s_and_saveexec_b64 s[56:57], vcc
	s_cbranch_execz .LBB4_4545
; %bb.4542:                             ;   in Loop: Header=BB4_4148 Depth=2
	v_and_b32_e32 v31, 0x7f, v20
	v_cmp_ne_u32_e32 vcc, s69, v31
	v_mov_b32_e32 v24, 0x7f800001
	s_and_saveexec_b64 s[58:59], vcc
	s_cbranch_execz .LBB4_4544
; %bb.4543:                             ;   in Loop: Header=BB4_4148 Depth=2
	v_and_b32_e32 v20, 7, v20
	v_ffbh_u32_e32 v20, v20
	v_min_u32_e32 v20, 32, v20
	v_lshrrev_b32_e32 v24, 3, v31
	v_subrev_u32_e32 v25, 28, v20
	v_sub_u32_e32 v20, 29, v20
	v_cmp_gt_u32_e32 vcc, 8, v31
	v_cndmask_b32_e32 v20, v24, v20, vcc
	v_cndmask_b32_e32 v24, 0, v25, vcc
	v_lshlrev_b64 v[24:25], v24, v[36:37]
	v_lshlrev_b32_e32 v24, 20, v24
	v_lshlrev_b32_e32 v25, 24, v36
	v_bfrev_b32_e32 v31, 60
	v_and_b32_e32 v24, 0x700000, v24
	v_and_b32_e32 v25, 0x80000000, v25
	v_lshl_add_u32 v20, v20, 23, v31
	v_or3_b32 v24, v25, v20, v24
.LBB4_4544:                             ;   in Loop: Header=BB4_4148 Depth=2
	s_or_b64 exec, exec, s[58:59]
.LBB4_4545:                             ;   in Loop: Header=BB4_4148 Depth=2
	s_or_b64 exec, exec, s[56:57]
.LBB4_4546:                             ;   in Loop: Header=BB4_4148 Depth=2
	s_or_b64 exec, exec, s[20:21]
	v_cmp_ne_u16_sdwa vcc, v11, v37 src0_sel:BYTE_0 src1_sel:DWORD
	s_and_saveexec_b64 s[20:21], vcc
	s_cbranch_execz .LBB4_4552
; %bb.4547:                             ;   in Loop: Header=BB4_4148 Depth=2
	v_cmp_ne_u16_sdwa vcc, v11, s71 src0_sel:BYTE_0 src1_sel:DWORD
	v_bfrev_b32_e32 v30, 1
	s_and_saveexec_b64 s[56:57], vcc
	s_cbranch_execz .LBB4_4551
; %bb.4548:                             ;   in Loop: Header=BB4_4148 Depth=2
	v_and_b32_e32 v20, 0x7f, v11
	v_cmp_ne_u32_e32 vcc, s69, v20
	v_mov_b32_e32 v30, 0x7f800001
	s_and_saveexec_b64 s[58:59], vcc
	s_cbranch_execz .LBB4_4550
; %bb.4549:                             ;   in Loop: Header=BB4_4148 Depth=2
	v_and_b32_e32 v25, 7, v11
	v_ffbh_u32_e32 v25, v25
	v_min_u32_e32 v25, 32, v25
	v_lshrrev_b32_e32 v32, 3, v20
	v_subrev_u32_e32 v33, 28, v25
	v_sub_u32_e32 v25, 29, v25
	v_cmp_gt_u32_e32 vcc, 8, v20
	v_mov_b32_e32 v30, v11
	v_mov_b32_e32 v31, v37
	v_cndmask_b32_e32 v20, v32, v25, vcc
	v_cndmask_b32_e32 v25, 0, v33, vcc
	v_lshlrev_b64 v[32:33], v25, v[30:31]
	v_lshlrev_b32_e32 v25, 20, v32
	v_lshlrev_b32_e32 v30, 24, v30
	v_bfrev_b32_e32 v31, 60
	v_and_b32_e32 v25, 0x700000, v25
	v_and_b32_e32 v30, 0x80000000, v30
	v_lshl_add_u32 v20, v20, 23, v31
	v_or3_b32 v30, v30, v20, v25
.LBB4_4550:                             ;   in Loop: Header=BB4_4148 Depth=2
	s_or_b64 exec, exec, s[58:59]
.LBB4_4551:                             ;   in Loop: Header=BB4_4148 Depth=2
	s_or_b64 exec, exec, s[56:57]
.LBB4_4552:                             ;   in Loop: Header=BB4_4148 Depth=2
	s_or_b64 exec, exec, s[20:21]
	v_add_f32_e32 v30, v24, v30
	v_and_b32_sdwa v24, v30, s71 dst_sel:DWORD dst_unused:UNUSED_PAD src0_sel:BYTE_3 src1_sel:DWORD
	v_and_b32_e32 v32, 0x7f800000, v30
	v_mov_b32_e32 v33, v37
	v_and_b32_e32 v42, 0x7fffff, v30
	v_mov_b32_e32 v43, v37
	v_or_b32_e32 v20, 0x7e, v24
	v_cmp_ne_u64_e32 vcc, s[38:39], v[32:33]
	s_and_saveexec_b64 s[20:21], vcc
	s_xor_b64 s[56:57], exec, s[20:21]
	s_cbranch_execz .LBB4_4562
; %bb.4553:                             ;   in Loop: Header=BB4_4148 Depth=2
	v_and_b32_e32 v32, 0x7fffffff, v30
	v_mov_b32_e32 v33, v37
	v_cmp_gt_u64_e32 vcc, s[40:41], v[32:33]
	s_and_saveexec_b64 s[58:59], vcc
	s_cbranch_execz .LBB4_4561
; %bb.4554:                             ;   in Loop: Header=BB4_4148 Depth=2
	v_cmp_ne_u32_e32 vcc, 0, v30
	v_mov_b32_e32 v20, 0
	s_and_saveexec_b64 s[60:61], vcc
	s_cbranch_execz .LBB4_4560
; %bb.4555:                             ;   in Loop: Header=BB4_4148 Depth=2
	v_bfe_u32 v20, v30, 23, 8
	v_sub_u32_e32 v30, 0x79, v20
	v_cmp_gt_u32_e32 vcc, s72, v20
	v_add_u32_e32 v25, 0xffffff81, v20
	v_cndmask_b32_e32 v30, 0, v30, vcc
	v_cmp_eq_u32_e32 vcc, 0, v20
	v_mov_b32_e32 v20, 0xffffff82
	v_cndmask_b32_e32 v20, v25, v20, vcc
	v_mov_b32_e32 v25, 0x78
	v_cndmask_b32_e32 v25, v30, v25, vcc
	v_or_b32_e32 v31, 0x800000, v42
	v_add_u32_e32 v30, 20, v25
	v_cndmask_b32_e32 v42, v31, v42, vcc
	v_lshlrev_b64 v[30:31], v30, -1
	v_not_b32_e32 v30, v30
	v_and_b32_e32 v32, v42, v30
	v_add_u32_e32 v30, 19, v25
	v_lshrrev_b64 v[38:39], v25, v[42:43]
	v_not_b32_e32 v31, v31
	v_lshlrev_b64 v[34:35], v30, 1
	v_lshrrev_b32_e32 v30, 23, v38
	v_and_b32_e32 v33, 0, v31
	v_add3_u32 v31, v25, v20, v30
	v_bfe_u32 v20, v38, 20, 1
	v_add_u32_e32 v20, -1, v20
	v_cmp_eq_u64_e32 vcc, v[32:33], v[34:35]
	v_cndmask_b32_e32 v20, 0, v20, vcc
	v_add_u32_e32 v20, v20, v38
	v_and_b32_e32 v20, 0xfffff, v20
	v_add_co_u32_e32 v42, vcc, v20, v38
	v_add_u32_e32 v30, 6, v31
	v_addc_co_u32_e32 v43, vcc, 0, v39, vcc
	v_cmp_ne_u32_e32 vcc, 0, v30
                                        ; implicit-def: $vgpr20
	s_and_saveexec_b64 s[20:21], vcc
	s_xor_b64 s[20:21], exec, s[20:21]
; %bb.4556:                             ;   in Loop: Header=BB4_4148 Depth=2
	v_cmp_lt_u64_e32 vcc, s[44:45], v[42:43]
	v_add_u32_e32 v20, 7, v31
	v_cndmask_b32_e64 v25, 0, 1, vcc
	v_cndmask_b32_e32 v20, v30, v20, vcc
	v_lshrrev_b64 v[42:43], v25, v[42:43]
; %bb.4557:                             ;   in Loop: Header=BB4_4148 Depth=2
	s_andn2_saveexec_b64 s[20:21], s[20:21]
; %bb.4558:                             ;   in Loop: Header=BB4_4148 Depth=2
	v_bfe_u32 v20, v42, 23, 1
; %bb.4559:                             ;   in Loop: Header=BB4_4148 Depth=2
	s_or_b64 exec, exec, s[20:21]
	v_lshrrev_b64 v[30:31], 20, v[42:43]
	v_cmp_gt_i32_e32 vcc, 16, v20
	v_cndmask_b32_e32 v31, 0, v31, vcc
	v_cndmask_b32_e32 v30, 7, v30, vcc
	v_cmp_eq_u32_e32 vcc, 0, v20
	v_min_i32_e32 v20, 15, v20
	v_cmp_eq_u64_e64 s[20:21], 0, v[30:31]
	v_lshlrev_b32_e32 v20, 3, v20
	v_and_or_b32 v20, v30, 7, v20
	s_and_b64 s[20:21], vcc, s[20:21]
	v_cndmask_b32_e64 v20, v20, 0, s[20:21]
	v_or_b32_e32 v20, v20, v24
.LBB4_4560:                             ;   in Loop: Header=BB4_4148 Depth=2
	s_or_b64 exec, exec, s[60:61]
.LBB4_4561:                             ;   in Loop: Header=BB4_4148 Depth=2
	s_or_b64 exec, exec, s[58:59]
                                        ; implicit-def: $vgpr30
                                        ; implicit-def: $vgpr42_vgpr43
.LBB4_4562:                             ;   in Loop: Header=BB4_4148 Depth=2
	s_andn2_saveexec_b64 s[20:21], s[56:57]
; %bb.4563:                             ;   in Loop: Header=BB4_4148 Depth=2
	v_or_b32_sdwa v24, v30, s69 dst_sel:DWORD dst_unused:UNUSED_PAD src0_sel:BYTE_3 src1_sel:DWORD
	v_cmp_eq_u64_e32 vcc, 0, v[42:43]
	v_cndmask_b32_e32 v20, v24, v20, vcc
; %bb.4564:                             ;   in Loop: Header=BB4_4148 Depth=2
	s_or_b64 exec, exec, s[20:21]
	v_lshrrev_b16_e32 v24, 8, v3
	v_cmp_ne_u16_e32 vcc, 0, v24
	v_mov_b32_e32 v30, 0
	v_mov_b32_e32 v31, 0
	s_and_saveexec_b64 s[20:21], vcc
	s_cbranch_execz .LBB4_4570
; %bb.4565:                             ;   in Loop: Header=BB4_4148 Depth=2
	v_cmp_ne_u16_e32 vcc, s71, v24
	v_bfrev_b32_e32 v31, 1
	s_and_saveexec_b64 s[56:57], vcc
	s_cbranch_execz .LBB4_4569
; %bb.4566:                             ;   in Loop: Header=BB4_4148 Depth=2
	v_and_b32_e32 v32, 0x7f, v24
	v_cmp_ne_u32_e32 vcc, s69, v32
	v_mov_b32_e32 v31, 0x7f800001
	s_and_saveexec_b64 s[58:59], vcc
	s_cbranch_execz .LBB4_4568
; %bb.4567:                             ;   in Loop: Header=BB4_4148 Depth=2
	v_and_b32_e32 v31, 7, v24
	v_ffbh_u32_e32 v25, v31
	v_min_u32_e32 v34, 32, v25
	v_subrev_u32_e32 v25, 28, v34
	v_lshlrev_b64 v[24:25], v25, v[24:25]
	v_lshrrev_b32_e32 v33, 3, v32
	v_sub_u32_e32 v25, 29, v34
	v_and_b32_e32 v24, 7, v24
	v_cmp_gt_u32_e32 vcc, 8, v32
	v_cndmask_b32_e32 v25, v33, v25, vcc
	v_cndmask_b32_e32 v24, v31, v24, vcc
	v_lshlrev_b32_e32 v3, 16, v3
	v_bfrev_b32_e32 v31, 60
	v_lshlrev_b32_e32 v24, 20, v24
	v_and_b32_e32 v3, 0x80000000, v3
	v_lshl_add_u32 v25, v25, 23, v31
	v_or3_b32 v31, v3, v25, v24
.LBB4_4568:                             ;   in Loop: Header=BB4_4148 Depth=2
	s_or_b64 exec, exec, s[58:59]
.LBB4_4569:                             ;   in Loop: Header=BB4_4148 Depth=2
	s_or_b64 exec, exec, s[56:57]
.LBB4_4570:                             ;   in Loop: Header=BB4_4148 Depth=2
	s_or_b64 exec, exec, s[20:21]
	v_mov_b32_e32 v24, v11
	v_lshrrev_b16_e32 v42, 8, v24
	v_cmp_ne_u16_e32 vcc, 0, v42
	s_and_saveexec_b64 s[20:21], vcc
	s_cbranch_execz .LBB4_4576
; %bb.4571:                             ;   in Loop: Header=BB4_4148 Depth=2
	v_cmp_ne_u16_e32 vcc, s71, v42
	v_bfrev_b32_e32 v30, 1
	s_and_saveexec_b64 s[56:57], vcc
	s_cbranch_execz .LBB4_4575
; %bb.4572:                             ;   in Loop: Header=BB4_4148 Depth=2
	v_and_b32_e32 v3, 0x7f, v42
	v_cmp_ne_u32_e32 vcc, s69, v3
	v_mov_b32_e32 v30, 0x7f800001
	s_and_saveexec_b64 s[58:59], vcc
	s_cbranch_execz .LBB4_4574
; %bb.4573:                             ;   in Loop: Header=BB4_4148 Depth=2
	v_and_b32_e32 v25, 7, v42
	v_ffbh_u32_e32 v32, v25
	v_min_u32_e32 v34, 32, v32
	v_subrev_u32_e32 v32, 28, v34
	v_lshlrev_b64 v[32:33], v32, v[42:43]
	v_lshrrev_b32_e32 v30, 3, v3
	v_sub_u32_e32 v33, 29, v34
	v_and_b32_e32 v32, 7, v32
	v_cmp_gt_u32_e32 vcc, 8, v3
	v_cndmask_b32_e32 v3, v30, v33, vcc
	v_cndmask_b32_e32 v25, v25, v32, vcc
	v_lshlrev_b32_e32 v24, 16, v24
	v_bfrev_b32_e32 v30, 60
	v_lshlrev_b32_e32 v25, 20, v25
	v_and_b32_e32 v24, 0x80000000, v24
	v_lshl_add_u32 v3, v3, 23, v30
	v_or3_b32 v30, v24, v3, v25
.LBB4_4574:                             ;   in Loop: Header=BB4_4148 Depth=2
	s_or_b64 exec, exec, s[58:59]
.LBB4_4575:                             ;   in Loop: Header=BB4_4148 Depth=2
	s_or_b64 exec, exec, s[56:57]
.LBB4_4576:                             ;   in Loop: Header=BB4_4148 Depth=2
	s_or_b64 exec, exec, s[20:21]
	v_add_f32_e32 v24, v31, v30
	v_and_b32_sdwa v3, v24, s71 dst_sel:DWORD dst_unused:UNUSED_PAD src0_sel:BYTE_3 src1_sel:DWORD
	v_and_b32_e32 v32, 0x7f800000, v24
	v_mov_b32_e32 v33, v37
	v_and_b32_e32 v42, 0x7fffff, v24
	v_mov_b32_e32 v43, v37
	v_or_b32_e32 v30, 0x7e, v3
	v_cmp_ne_u64_e32 vcc, s[38:39], v[32:33]
	s_and_saveexec_b64 s[20:21], vcc
	s_xor_b64 s[56:57], exec, s[20:21]
	s_cbranch_execz .LBB4_4586
; %bb.4577:                             ;   in Loop: Header=BB4_4148 Depth=2
	v_and_b32_e32 v32, 0x7fffffff, v24
	v_mov_b32_e32 v33, v37
	v_cmp_gt_u64_e32 vcc, s[40:41], v[32:33]
	s_and_saveexec_b64 s[58:59], vcc
	s_cbranch_execz .LBB4_4585
; %bb.4578:                             ;   in Loop: Header=BB4_4148 Depth=2
	v_cmp_ne_u32_e32 vcc, 0, v24
	v_mov_b32_e32 v30, 0
	s_and_saveexec_b64 s[60:61], vcc
	s_cbranch_execz .LBB4_4584
; %bb.4579:                             ;   in Loop: Header=BB4_4148 Depth=2
	v_bfe_u32 v24, v24, 23, 8
	v_sub_u32_e32 v30, 0x79, v24
	v_cmp_gt_u32_e32 vcc, s72, v24
	v_add_u32_e32 v25, 0xffffff81, v24
	v_cndmask_b32_e32 v30, 0, v30, vcc
	v_cmp_eq_u32_e32 vcc, 0, v24
	v_mov_b32_e32 v24, 0xffffff82
	v_cndmask_b32_e32 v38, v25, v24, vcc
	v_mov_b32_e32 v24, 0x78
	v_or_b32_e32 v31, 0x800000, v42
	v_cndmask_b32_e32 v30, v30, v24, vcc
	v_cndmask_b32_e32 v42, v31, v42, vcc
	v_add_u32_e32 v24, 20, v30
	v_lshlrev_b64 v[24:25], v24, -1
	v_add_u32_e32 v31, 19, v30
	v_lshrrev_b64 v[34:35], v30, v[42:43]
	v_not_b32_e32 v25, v25
	v_not_b32_e32 v24, v24
	v_lshlrev_b64 v[32:33], v31, 1
	v_lshrrev_b32_e32 v31, 23, v34
	v_and_b32_e32 v25, 0, v25
	v_and_b32_e32 v24, v42, v24
	v_add3_u32 v31, v30, v38, v31
	v_bfe_u32 v38, v34, 20, 1
	v_add_u32_e32 v38, -1, v38
	v_cmp_eq_u64_e32 vcc, v[24:25], v[32:33]
	v_cndmask_b32_e32 v24, 0, v38, vcc
	v_add_u32_e32 v24, v24, v34
	v_and_b32_e32 v24, 0xfffff, v24
	v_add_co_u32_e32 v42, vcc, v24, v34
	v_add_u32_e32 v30, 6, v31
	v_addc_co_u32_e32 v43, vcc, 0, v35, vcc
	v_cmp_ne_u32_e32 vcc, 0, v30
                                        ; implicit-def: $vgpr24
	s_and_saveexec_b64 s[20:21], vcc
	s_xor_b64 s[20:21], exec, s[20:21]
; %bb.4580:                             ;   in Loop: Header=BB4_4148 Depth=2
	v_cmp_lt_u64_e32 vcc, s[44:45], v[42:43]
	v_add_u32_e32 v24, 7, v31
	v_cndmask_b32_e64 v25, 0, 1, vcc
	v_cndmask_b32_e32 v24, v30, v24, vcc
	v_lshrrev_b64 v[42:43], v25, v[42:43]
; %bb.4581:                             ;   in Loop: Header=BB4_4148 Depth=2
	s_andn2_saveexec_b64 s[20:21], s[20:21]
; %bb.4582:                             ;   in Loop: Header=BB4_4148 Depth=2
	v_bfe_u32 v24, v42, 23, 1
; %bb.4583:                             ;   in Loop: Header=BB4_4148 Depth=2
	s_or_b64 exec, exec, s[20:21]
	v_lshrrev_b64 v[30:31], 20, v[42:43]
	v_cmp_gt_i32_e32 vcc, 16, v24
	v_cndmask_b32_e32 v31, 0, v31, vcc
	v_cndmask_b32_e32 v30, 7, v30, vcc
	v_cmp_eq_u32_e32 vcc, 0, v24
	v_min_i32_e32 v24, 15, v24
	v_cmp_eq_u64_e64 s[20:21], 0, v[30:31]
	v_lshlrev_b32_e32 v24, 3, v24
	v_and_or_b32 v24, v30, 7, v24
	s_and_b64 s[20:21], vcc, s[20:21]
	v_cndmask_b32_e64 v24, v24, 0, s[20:21]
	v_or_b32_e32 v30, v24, v3
.LBB4_4584:                             ;   in Loop: Header=BB4_4148 Depth=2
	s_or_b64 exec, exec, s[60:61]
.LBB4_4585:                             ;   in Loop: Header=BB4_4148 Depth=2
	s_or_b64 exec, exec, s[58:59]
                                        ; implicit-def: $vgpr24
                                        ; implicit-def: $vgpr42_vgpr43
.LBB4_4586:                             ;   in Loop: Header=BB4_4148 Depth=2
	s_andn2_saveexec_b64 s[20:21], s[56:57]
; %bb.4587:                             ;   in Loop: Header=BB4_4148 Depth=2
	v_or_b32_sdwa v3, v24, s69 dst_sel:DWORD dst_unused:UNUSED_PAD src0_sel:BYTE_3 src1_sel:DWORD
	v_cmp_eq_u64_e32 vcc, 0, v[42:43]
	v_cndmask_b32_e32 v30, v3, v30, vcc
; %bb.4588:                             ;   in Loop: Header=BB4_4148 Depth=2
	s_or_b64 exec, exec, s[20:21]
	v_lshrrev_b32_e32 v24, 16, v36
	v_cmp_ne_u16_sdwa vcc, v24, v37 src0_sel:BYTE_0 src1_sel:DWORD
	v_mov_b32_e32 v3, 0
	v_mov_b32_e32 v31, 0
	s_and_saveexec_b64 s[20:21], vcc
	s_cbranch_execz .LBB4_4594
; %bb.4589:                             ;   in Loop: Header=BB4_4148 Depth=2
	v_cmp_ne_u16_sdwa vcc, v24, s71 src0_sel:BYTE_0 src1_sel:DWORD
	v_bfrev_b32_e32 v31, 1
	s_and_saveexec_b64 s[56:57], vcc
	s_cbranch_execz .LBB4_4593
; %bb.4590:                             ;   in Loop: Header=BB4_4148 Depth=2
	v_bfe_u32 v32, v36, 16, 7
	v_cmp_ne_u32_e32 vcc, s69, v32
	v_mov_b32_e32 v31, 0x7f800001
	s_and_saveexec_b64 s[58:59], vcc
	s_cbranch_execz .LBB4_4592
; %bb.4591:                             ;   in Loop: Header=BB4_4148 Depth=2
	v_and_b32_e32 v25, 7, v24
	v_ffbh_u32_e32 v33, v25
	v_min_u32_e32 v33, 32, v33
	v_subrev_u32_e32 v34, 28, v33
	v_lshlrev_b64 v[34:35], v34, v[24:25]
	v_lshrrev_b32_e32 v31, 3, v32
	v_sub_u32_e32 v33, 29, v33
	v_and_b32_e32 v34, 7, v34
	v_cmp_gt_u32_e32 vcc, 8, v32
	v_cndmask_b32_e32 v31, v31, v33, vcc
	v_cndmask_b32_e32 v25, v25, v34, vcc
	v_lshlrev_b32_e32 v24, 24, v24
	v_bfrev_b32_e32 v32, 60
	v_lshlrev_b32_e32 v25, 20, v25
	v_and_b32_e32 v24, 0x80000000, v24
	v_lshl_add_u32 v31, v31, 23, v32
	v_or3_b32 v31, v24, v31, v25
.LBB4_4592:                             ;   in Loop: Header=BB4_4148 Depth=2
	s_or_b64 exec, exec, s[58:59]
.LBB4_4593:                             ;   in Loop: Header=BB4_4148 Depth=2
	s_or_b64 exec, exec, s[56:57]
.LBB4_4594:                             ;   in Loop: Header=BB4_4148 Depth=2
	s_or_b64 exec, exec, s[20:21]
	v_lshrrev_b32_e32 v24, 16, v11
	v_cmp_ne_u16_sdwa vcc, v24, v37 src0_sel:BYTE_0 src1_sel:DWORD
	s_and_saveexec_b64 s[20:21], vcc
	s_cbranch_execz .LBB4_4600
; %bb.4595:                             ;   in Loop: Header=BB4_4148 Depth=2
	v_cmp_ne_u16_sdwa vcc, v24, s71 src0_sel:BYTE_0 src1_sel:DWORD
	v_bfrev_b32_e32 v3, 1
	s_and_saveexec_b64 s[56:57], vcc
	s_cbranch_execz .LBB4_4599
; %bb.4596:                             ;   in Loop: Header=BB4_4148 Depth=2
	v_bfe_u32 v32, v11, 16, 7
	v_cmp_ne_u32_e32 vcc, s69, v32
	v_mov_b32_e32 v3, 0x7f800001
	s_and_saveexec_b64 s[58:59], vcc
	s_cbranch_execz .LBB4_4598
; %bb.4597:                             ;   in Loop: Header=BB4_4148 Depth=2
	v_and_b32_e32 v3, 7, v24
	v_ffbh_u32_e32 v25, v3
	v_min_u32_e32 v34, 32, v25
	v_subrev_u32_e32 v25, 28, v34
	v_lshlrev_b64 v[24:25], v25, v[24:25]
	v_lshrrev_b32_e32 v33, 3, v32
	v_sub_u32_e32 v25, 29, v34
	v_and_b32_e32 v24, 7, v24
	v_cmp_gt_u32_e32 vcc, 8, v32
	v_cndmask_b32_e32 v25, v33, v25, vcc
	v_cndmask_b32_e32 v3, v3, v24, vcc
	v_lshlrev_b32_e32 v24, 8, v11
	v_bfrev_b32_e32 v32, 60
	v_lshlrev_b32_e32 v3, 20, v3
	v_and_b32_e32 v24, 0x80000000, v24
	v_lshl_add_u32 v25, v25, 23, v32
	v_or3_b32 v3, v24, v25, v3
.LBB4_4598:                             ;   in Loop: Header=BB4_4148 Depth=2
	s_or_b64 exec, exec, s[58:59]
.LBB4_4599:                             ;   in Loop: Header=BB4_4148 Depth=2
	s_or_b64 exec, exec, s[56:57]
.LBB4_4600:                             ;   in Loop: Header=BB4_4148 Depth=2
	s_or_b64 exec, exec, s[20:21]
	v_add_f32_e32 v24, v31, v3
	v_and_b32_sdwa v3, v24, s71 dst_sel:DWORD dst_unused:UNUSED_PAD src0_sel:BYTE_3 src1_sel:DWORD
	v_and_b32_e32 v32, 0x7f800000, v24
	v_mov_b32_e32 v33, v37
	v_and_b32_e32 v42, 0x7fffff, v24
	v_mov_b32_e32 v43, v37
	v_or_b32_e32 v31, 0x7e, v3
	v_cmp_ne_u64_e32 vcc, s[38:39], v[32:33]
	s_and_saveexec_b64 s[20:21], vcc
	s_xor_b64 s[56:57], exec, s[20:21]
	s_cbranch_execz .LBB4_4610
; %bb.4601:                             ;   in Loop: Header=BB4_4148 Depth=2
	v_and_b32_e32 v32, 0x7fffffff, v24
	v_mov_b32_e32 v33, v37
	v_cmp_gt_u64_e32 vcc, s[40:41], v[32:33]
	s_and_saveexec_b64 s[58:59], vcc
	s_cbranch_execz .LBB4_4609
; %bb.4602:                             ;   in Loop: Header=BB4_4148 Depth=2
	v_cmp_ne_u32_e32 vcc, 0, v24
	v_mov_b32_e32 v31, 0
	s_and_saveexec_b64 s[60:61], vcc
	s_cbranch_execz .LBB4_4608
; %bb.4603:                             ;   in Loop: Header=BB4_4148 Depth=2
	v_bfe_u32 v24, v24, 23, 8
	v_sub_u32_e32 v31, 0x79, v24
	v_cmp_gt_u32_e32 vcc, s72, v24
	v_add_u32_e32 v25, 0xffffff81, v24
	v_cndmask_b32_e32 v31, 0, v31, vcc
	v_cmp_eq_u32_e32 vcc, 0, v24
	v_mov_b32_e32 v24, 0xffffff82
	v_cndmask_b32_e32 v33, v25, v24, vcc
	v_mov_b32_e32 v24, 0x78
	v_or_b32_e32 v32, 0x800000, v42
	v_cndmask_b32_e32 v31, v31, v24, vcc
	v_cndmask_b32_e32 v42, v32, v42, vcc
	v_add_u32_e32 v24, 20, v31
	v_lshlrev_b64 v[24:25], v24, -1
	v_add_u32_e32 v32, 19, v31
	v_lshrrev_b64 v[38:39], v31, v[42:43]
	v_not_b32_e32 v25, v25
	v_not_b32_e32 v24, v24
	v_lshlrev_b64 v[34:35], v32, 1
	v_lshrrev_b32_e32 v32, 23, v38
	v_and_b32_e32 v25, 0, v25
	v_and_b32_e32 v24, v42, v24
	v_add3_u32 v32, v31, v33, v32
	v_bfe_u32 v33, v38, 20, 1
	v_add_u32_e32 v33, -1, v33
	v_cmp_eq_u64_e32 vcc, v[24:25], v[34:35]
	v_cndmask_b32_e32 v24, 0, v33, vcc
	v_add_u32_e32 v24, v24, v38
	v_and_b32_e32 v24, 0xfffff, v24
	v_add_co_u32_e32 v42, vcc, v24, v38
	v_add_u32_e32 v31, 6, v32
	v_addc_co_u32_e32 v43, vcc, 0, v39, vcc
	v_cmp_ne_u32_e32 vcc, 0, v31
                                        ; implicit-def: $vgpr24
	s_and_saveexec_b64 s[20:21], vcc
	s_xor_b64 s[20:21], exec, s[20:21]
; %bb.4604:                             ;   in Loop: Header=BB4_4148 Depth=2
	v_cmp_lt_u64_e32 vcc, s[44:45], v[42:43]
	v_add_u32_e32 v24, 7, v32
	v_cndmask_b32_e64 v25, 0, 1, vcc
	v_cndmask_b32_e32 v24, v31, v24, vcc
	v_lshrrev_b64 v[42:43], v25, v[42:43]
; %bb.4605:                             ;   in Loop: Header=BB4_4148 Depth=2
	s_andn2_saveexec_b64 s[20:21], s[20:21]
; %bb.4606:                             ;   in Loop: Header=BB4_4148 Depth=2
	v_bfe_u32 v24, v42, 23, 1
; %bb.4607:                             ;   in Loop: Header=BB4_4148 Depth=2
	s_or_b64 exec, exec, s[20:21]
	v_lshrrev_b64 v[32:33], 20, v[42:43]
	v_cmp_gt_i32_e32 vcc, 16, v24
	v_cndmask_b32_e32 v33, 0, v33, vcc
	v_cndmask_b32_e32 v32, 7, v32, vcc
	v_cmp_eq_u32_e32 vcc, 0, v24
	v_min_i32_e32 v24, 15, v24
	v_lshlrev_b32_e32 v24, 3, v24
	v_cmp_eq_u64_e64 s[20:21], 0, v[32:33]
	v_and_b32_e32 v24, 0xf8, v24
	v_and_or_b32 v24, v32, 7, v24
	s_and_b64 s[20:21], vcc, s[20:21]
	v_cndmask_b32_e64 v24, v24, 0, s[20:21]
	v_or_b32_e32 v31, v24, v3
.LBB4_4608:                             ;   in Loop: Header=BB4_4148 Depth=2
	s_or_b64 exec, exec, s[60:61]
.LBB4_4609:                             ;   in Loop: Header=BB4_4148 Depth=2
	s_or_b64 exec, exec, s[58:59]
                                        ; implicit-def: $vgpr24
                                        ; implicit-def: $vgpr42_vgpr43
.LBB4_4610:                             ;   in Loop: Header=BB4_4148 Depth=2
	s_andn2_saveexec_b64 s[20:21], s[56:57]
; %bb.4611:                             ;   in Loop: Header=BB4_4148 Depth=2
	v_or_b32_sdwa v3, v24, s69 dst_sel:DWORD dst_unused:UNUSED_PAD src0_sel:BYTE_3 src1_sel:DWORD
	v_cmp_eq_u64_e32 vcc, 0, v[42:43]
	v_cndmask_b32_e32 v31, v3, v31, vcc
; %bb.4612:                             ;   in Loop: Header=BB4_4148 Depth=2
	s_or_b64 exec, exec, s[20:21]
	v_cmp_lt_u32_e32 vcc, s43, v36
	v_mov_b32_e32 v3, 0
	v_mov_b32_e32 v32, 0
	s_and_saveexec_b64 s[20:21], vcc
	s_cbranch_execz .LBB4_4618
; %bb.4613:                             ;   in Loop: Header=BB4_4148 Depth=2
	v_lshrrev_b32_e32 v24, 24, v36
	v_cmp_ne_u32_sdwa vcc, v36, s71 src0_sel:BYTE_3 src1_sel:DWORD
	v_bfrev_b32_e32 v32, 1
	s_and_saveexec_b64 s[56:57], vcc
	s_cbranch_execz .LBB4_4617
; %bb.4614:                             ;   in Loop: Header=BB4_4148 Depth=2
	v_bfe_u32 v33, v36, 24, 7
	v_cmp_ne_u32_e32 vcc, s69, v33
	v_mov_b32_e32 v32, 0x7f800001
	s_and_saveexec_b64 s[58:59], vcc
	s_cbranch_execz .LBB4_4616
; %bb.4615:                             ;   in Loop: Header=BB4_4148 Depth=2
	v_and_b32_e32 v32, 7, v24
	v_ffbh_u32_e32 v25, v32
	v_min_u32_e32 v35, 32, v25
	v_subrev_u32_e32 v25, 28, v35
	v_lshlrev_b64 v[24:25], v25, v[24:25]
	v_and_b32_e32 v24, 7, v24
	v_cmp_gt_u32_e32 vcc, 8, v33
	v_lshrrev_b32_e32 v34, 3, v33
	v_sub_u32_e32 v25, 29, v35
	v_cndmask_b32_e32 v24, v32, v24, vcc
	v_mov_b32_e32 v32, 24
	v_cndmask_b32_e32 v25, v34, v25, vcc
	v_lshlrev_b32_sdwa v32, v32, v36 dst_sel:DWORD dst_unused:UNUSED_PAD src0_sel:DWORD src1_sel:BYTE_3
	v_bfrev_b32_e32 v33, 60
	v_lshlrev_b32_e32 v24, 20, v24
	v_and_b32_e32 v32, 0x80000000, v32
	v_lshl_add_u32 v25, v25, 23, v33
	v_or3_b32 v32, v32, v25, v24
.LBB4_4616:                             ;   in Loop: Header=BB4_4148 Depth=2
	s_or_b64 exec, exec, s[58:59]
.LBB4_4617:                             ;   in Loop: Header=BB4_4148 Depth=2
	s_or_b64 exec, exec, s[56:57]
.LBB4_4618:                             ;   in Loop: Header=BB4_4148 Depth=2
	s_or_b64 exec, exec, s[20:21]
	v_cmp_lt_u64_e32 vcc, s[42:43], v[10:11]
	s_and_saveexec_b64 s[20:21], vcc
	s_cbranch_execz .LBB4_4624
; %bb.4619:                             ;   in Loop: Header=BB4_4148 Depth=2
	v_lshrrev_b32_e32 v10, 24, v11
	v_cmp_ne_u32_e32 vcc, s71, v10
	v_bfrev_b32_e32 v3, 1
	s_and_saveexec_b64 s[56:57], vcc
	s_cbranch_execz .LBB4_4623
; %bb.4620:                             ;   in Loop: Header=BB4_4148 Depth=2
	v_bfe_u32 v11, v11, 24, 7
	v_cmp_ne_u32_e32 vcc, s69, v11
	v_mov_b32_e32 v3, 0x7f800001
	s_and_saveexec_b64 s[58:59], vcc
	s_cbranch_execz .LBB4_4622
; %bb.4621:                             ;   in Loop: Header=BB4_4148 Depth=2
	v_and_b32_e32 v3, 7, v10
	v_ffbh_u32_e32 v24, v3
	v_min_u32_e32 v34, 32, v24
	v_subrev_u32_e32 v24, 28, v34
	v_lshlrev_b64 v[24:25], v24, v[10:11]
	v_lshrrev_b32_e32 v33, 3, v11
	v_sub_u32_e32 v25, 29, v34
	v_and_b32_e32 v24, 7, v24
	v_cmp_gt_u32_e32 vcc, 8, v11
	v_cndmask_b32_e32 v11, v33, v25, vcc
	v_cndmask_b32_e32 v3, v3, v24, vcc
	v_lshlrev_b32_e32 v10, 24, v10
	v_bfrev_b32_e32 v24, 60
	v_lshlrev_b32_e32 v3, 20, v3
	v_and_b32_e32 v10, 0x80000000, v10
	v_lshl_add_u32 v11, v11, 23, v24
	v_or3_b32 v3, v10, v11, v3
.LBB4_4622:                             ;   in Loop: Header=BB4_4148 Depth=2
	s_or_b64 exec, exec, s[58:59]
.LBB4_4623:                             ;   in Loop: Header=BB4_4148 Depth=2
	s_or_b64 exec, exec, s[56:57]
.LBB4_4624:                             ;   in Loop: Header=BB4_4148 Depth=2
	s_or_b64 exec, exec, s[20:21]
	v_add_f32_e32 v10, v32, v3
	v_and_b32_sdwa v3, v10, s71 dst_sel:DWORD dst_unused:UNUSED_PAD src0_sel:BYTE_3 src1_sel:DWORD
	v_and_b32_e32 v32, 0x7f800000, v10
	v_mov_b32_e32 v33, v37
	v_and_b32_e32 v36, 0x7fffff, v10
	v_or_b32_e32 v24, 0x7e, v3
	v_cmp_ne_u64_e32 vcc, s[38:39], v[32:33]
	s_and_saveexec_b64 s[20:21], vcc
	s_xor_b64 s[56:57], exec, s[20:21]
	s_cbranch_execz .LBB4_4634
; %bb.4625:                             ;   in Loop: Header=BB4_4148 Depth=2
	v_and_b32_e32 v32, 0x7fffffff, v10
	v_mov_b32_e32 v33, v37
	v_cmp_gt_u64_e32 vcc, s[40:41], v[32:33]
	s_and_saveexec_b64 s[58:59], vcc
	s_cbranch_execz .LBB4_4633
; %bb.4626:                             ;   in Loop: Header=BB4_4148 Depth=2
	v_cmp_ne_u32_e32 vcc, 0, v10
	v_mov_b32_e32 v24, 0
	s_and_saveexec_b64 s[60:61], vcc
	s_cbranch_execz .LBB4_4632
; %bb.4627:                             ;   in Loop: Header=BB4_4148 Depth=2
	v_bfe_u32 v10, v10, 23, 8
	v_sub_u32_e32 v24, 0x79, v10
	v_cmp_gt_u32_e32 vcc, s72, v10
	v_add_u32_e32 v11, 0xffffff81, v10
	v_cndmask_b32_e32 v24, 0, v24, vcc
	v_cmp_eq_u32_e32 vcc, 0, v10
	v_mov_b32_e32 v10, 0xffffff82
	v_cndmask_b32_e32 v32, v11, v10, vcc
	v_mov_b32_e32 v10, 0x78
	v_cndmask_b32_e32 v33, v24, v10, vcc
	v_or_b32_e32 v25, 0x800000, v36
	v_add_u32_e32 v10, 20, v33
	v_cndmask_b32_e32 v36, v25, v36, vcc
	v_lshlrev_b64 v[10:11], v10, -1
	v_not_b32_e32 v10, v10
	v_lshrrev_b64 v[34:35], v33, v[36:37]
	v_not_b32_e32 v11, v11
	v_and_b32_e32 v10, v36, v10
	v_add_u32_e32 v24, 19, v33
	v_lshrrev_b32_e32 v36, 23, v34
	v_and_b32_e32 v11, 0, v11
	v_lshlrev_b64 v[24:25], v24, 1
	v_add3_u32 v33, v33, v32, v36
	v_bfe_u32 v36, v34, 20, 1
	v_add_u32_e32 v36, -1, v36
	v_cmp_eq_u64_e32 vcc, v[10:11], v[24:25]
	v_cndmask_b32_e32 v10, 0, v36, vcc
	v_add_u32_e32 v10, v10, v34
	v_and_b32_e32 v10, 0xfffff, v10
	v_add_co_u32_e32 v10, vcc, v10, v34
	v_add_u32_e32 v32, 6, v33
	v_addc_co_u32_e32 v11, vcc, 0, v35, vcc
	v_cmp_ne_u32_e32 vcc, 0, v32
                                        ; implicit-def: $vgpr24
	s_and_saveexec_b64 s[20:21], vcc
	s_xor_b64 s[20:21], exec, s[20:21]
; %bb.4628:                             ;   in Loop: Header=BB4_4148 Depth=2
	v_cmp_lt_u64_e32 vcc, s[44:45], v[10:11]
	v_add_u32_e32 v24, 7, v33
	v_cndmask_b32_e64 v25, 0, 1, vcc
	v_cndmask_b32_e32 v24, v32, v24, vcc
	v_lshrrev_b64 v[10:11], v25, v[10:11]
; %bb.4629:                             ;   in Loop: Header=BB4_4148 Depth=2
	s_andn2_saveexec_b64 s[20:21], s[20:21]
; %bb.4630:                             ;   in Loop: Header=BB4_4148 Depth=2
	v_bfe_u32 v24, v10, 23, 1
; %bb.4631:                             ;   in Loop: Header=BB4_4148 Depth=2
	s_or_b64 exec, exec, s[20:21]
	v_lshrrev_b64 v[10:11], 20, v[10:11]
	v_cmp_gt_i32_e32 vcc, 16, v24
	v_cndmask_b32_e32 v11, 0, v11, vcc
	v_cndmask_b32_e32 v10, 7, v10, vcc
	v_cmp_eq_u64_e64 s[20:21], 0, v[10:11]
	v_min_i32_e32 v11, 15, v24
	v_lshlrev_b32_e32 v11, 3, v11
	v_cmp_eq_u32_e32 vcc, 0, v24
	v_and_b32_e32 v11, 0xf8, v11
	v_and_or_b32 v10, v10, 7, v11
	s_and_b64 s[20:21], vcc, s[20:21]
	v_cndmask_b32_e64 v10, v10, 0, s[20:21]
	v_or_b32_e32 v24, v10, v3
.LBB4_4632:                             ;   in Loop: Header=BB4_4148 Depth=2
	s_or_b64 exec, exec, s[60:61]
.LBB4_4633:                             ;   in Loop: Header=BB4_4148 Depth=2
	s_or_b64 exec, exec, s[58:59]
                                        ; implicit-def: $vgpr10
.LBB4_4634:                             ;   in Loop: Header=BB4_4148 Depth=2
	s_andn2_saveexec_b64 s[20:21], s[56:57]
; %bb.4635:                             ;   in Loop: Header=BB4_4148 Depth=2
	v_or_b32_sdwa v3, v10, s69 dst_sel:DWORD dst_unused:UNUSED_PAD src0_sel:BYTE_3 src1_sel:DWORD
	v_cmp_eq_u64_e32 vcc, 0, v[36:37]
	v_cndmask_b32_e32 v24, v3, v24, vcc
; %bb.4636:                             ;   in Loop: Header=BB4_4148 Depth=2
	s_or_b64 exec, exec, s[20:21]
	v_lshlrev_b32_e32 v3, 8, v22
	v_cmp_ne_u16_sdwa vcc, v8, v37 src0_sel:BYTE_0 src1_sel:DWORD
	v_mov_b32_e32 v10, 0
	v_mov_b32_e32 v11, 0
	s_and_saveexec_b64 s[20:21], vcc
	s_cbranch_execz .LBB4_4642
; %bb.4637:                             ;   in Loop: Header=BB4_4148 Depth=2
	v_cmp_ne_u16_sdwa vcc, v8, s71 src0_sel:BYTE_0 src1_sel:DWORD
	v_bfrev_b32_e32 v11, 1
	s_and_saveexec_b64 s[56:57], vcc
	s_cbranch_execz .LBB4_4641
; %bb.4638:                             ;   in Loop: Header=BB4_4148 Depth=2
	v_and_b32_e32 v22, 0x7f, v8
	v_cmp_ne_u32_e32 vcc, s69, v22
	v_mov_b32_e32 v11, 0x7f800001
	s_and_saveexec_b64 s[58:59], vcc
	s_cbranch_execz .LBB4_4640
; %bb.4639:                             ;   in Loop: Header=BB4_4148 Depth=2
	v_and_b32_e32 v11, 7, v8
	v_ffbh_u32_e32 v11, v11
	v_min_u32_e32 v11, 32, v11
	v_subrev_u32_e32 v33, 28, v11
	v_cmp_gt_u32_e32 vcc, 8, v22
	v_lshrrev_b32_e32 v25, 3, v22
	v_perm_b32 v32, v3, v8, s73
	v_cndmask_b32_e32 v22, 0, v33, vcc
	v_sub_u32_e32 v11, 29, v11
	v_lshlrev_b64 v[32:33], v22, v[32:33]
	v_cndmask_b32_e32 v11, v25, v11, vcc
	v_lshlrev_b32_e32 v22, 20, v32
	v_lshlrev_b32_e32 v8, 24, v8
	v_bfrev_b32_e32 v25, 60
	v_and_b32_e32 v22, 0x700000, v22
	v_and_b32_e32 v8, 0x80000000, v8
	v_lshl_add_u32 v11, v11, 23, v25
	v_or3_b32 v11, v8, v11, v22
.LBB4_4640:                             ;   in Loop: Header=BB4_4148 Depth=2
	s_or_b64 exec, exec, s[58:59]
.LBB4_4641:                             ;   in Loop: Header=BB4_4148 Depth=2
	s_or_b64 exec, exec, s[56:57]
.LBB4_4642:                             ;   in Loop: Header=BB4_4148 Depth=2
	s_or_b64 exec, exec, s[20:21]
	v_cmp_ne_u16_sdwa vcc, v12, v37 src0_sel:BYTE_0 src1_sel:DWORD
	s_and_saveexec_b64 s[20:21], vcc
	s_cbranch_execz .LBB4_4648
; %bb.4643:                             ;   in Loop: Header=BB4_4148 Depth=2
	v_cmp_ne_u16_sdwa vcc, v12, s71 src0_sel:BYTE_0 src1_sel:DWORD
	v_bfrev_b32_e32 v10, 1
	s_and_saveexec_b64 s[56:57], vcc
	s_cbranch_execz .LBB4_4647
; %bb.4644:                             ;   in Loop: Header=BB4_4148 Depth=2
	v_and_b32_e32 v8, 0x7f, v12
	v_cmp_ne_u32_e32 vcc, s69, v8
	v_mov_b32_e32 v10, 0x7f800001
	s_and_saveexec_b64 s[58:59], vcc
	s_cbranch_execz .LBB4_4646
; %bb.4645:                             ;   in Loop: Header=BB4_4148 Depth=2
	v_and_b32_e32 v10, 7, v12
	v_ffbh_u32_e32 v10, v10
	v_min_u32_e32 v10, 32, v10
	v_lshrrev_b32_e32 v22, 3, v8
	v_subrev_u32_e32 v25, 28, v10
	v_sub_u32_e32 v10, 29, v10
	v_cmp_gt_u32_e32 vcc, 8, v8
	v_cndmask_b32_e32 v8, v22, v10, vcc
	v_cndmask_b32_e32 v10, 0, v25, vcc
	v_lshlrev_b64 v[32:33], v10, v[12:13]
	v_lshlrev_b32_e32 v10, 20, v32
	v_lshlrev_b32_e32 v22, 24, v12
	v_bfrev_b32_e32 v25, 60
	v_and_b32_e32 v10, 0x700000, v10
	v_and_b32_e32 v22, 0x80000000, v22
	v_lshl_add_u32 v8, v8, 23, v25
	v_or3_b32 v10, v22, v8, v10
.LBB4_4646:                             ;   in Loop: Header=BB4_4148 Depth=2
	s_or_b64 exec, exec, s[58:59]
.LBB4_4647:                             ;   in Loop: Header=BB4_4148 Depth=2
	s_or_b64 exec, exec, s[56:57]
.LBB4_4648:                             ;   in Loop: Header=BB4_4148 Depth=2
	s_or_b64 exec, exec, s[20:21]
	v_add_f32_e32 v10, v11, v10
	v_and_b32_sdwa v22, v10, s71 dst_sel:DWORD dst_unused:UNUSED_PAD src0_sel:BYTE_3 src1_sel:DWORD
	v_and_b32_e32 v32, 0x7f800000, v10
	v_mov_b32_e32 v33, v37
	v_and_b32_e32 v36, 0x7fffff, v10
	v_or_b32_e32 v8, 0x7e, v22
	v_cmp_ne_u64_e32 vcc, s[38:39], v[32:33]
	s_and_saveexec_b64 s[20:21], vcc
	s_xor_b64 s[56:57], exec, s[20:21]
	s_cbranch_execz .LBB4_4658
; %bb.4649:                             ;   in Loop: Header=BB4_4148 Depth=2
	v_and_b32_e32 v32, 0x7fffffff, v10
	v_mov_b32_e32 v33, v37
	v_cmp_gt_u64_e32 vcc, s[40:41], v[32:33]
	s_and_saveexec_b64 s[58:59], vcc
	s_cbranch_execz .LBB4_4657
; %bb.4650:                             ;   in Loop: Header=BB4_4148 Depth=2
	v_cmp_ne_u32_e32 vcc, 0, v10
	v_mov_b32_e32 v8, 0
	s_and_saveexec_b64 s[60:61], vcc
	s_cbranch_execz .LBB4_4656
; %bb.4651:                             ;   in Loop: Header=BB4_4148 Depth=2
	v_bfe_u32 v8, v10, 23, 8
	v_sub_u32_e32 v11, 0x79, v8
	v_cmp_gt_u32_e32 vcc, s72, v8
	v_add_u32_e32 v10, 0xffffff81, v8
	v_cndmask_b32_e32 v11, 0, v11, vcc
	v_cmp_eq_u32_e32 vcc, 0, v8
	v_mov_b32_e32 v8, 0xffffff82
	v_cndmask_b32_e32 v8, v10, v8, vcc
	v_mov_b32_e32 v10, 0x78
	v_or_b32_e32 v25, 0x800000, v36
	v_cndmask_b32_e32 v32, v11, v10, vcc
	v_cndmask_b32_e32 v36, v25, v36, vcc
	v_add_u32_e32 v10, 20, v32
	v_lshlrev_b64 v[10:11], v10, -1
	v_add_u32_e32 v25, 19, v32
	v_lshrrev_b64 v[38:39], v32, v[36:37]
	v_not_b32_e32 v11, v11
	v_not_b32_e32 v10, v10
	v_lshlrev_b64 v[34:35], v25, 1
	v_lshrrev_b32_e32 v25, 23, v38
	v_and_b32_e32 v11, 0, v11
	v_and_b32_e32 v10, v36, v10
	v_add3_u32 v33, v32, v8, v25
	v_bfe_u32 v8, v38, 20, 1
	v_add_u32_e32 v8, -1, v8
	v_cmp_eq_u64_e32 vcc, v[10:11], v[34:35]
	v_cndmask_b32_e32 v8, 0, v8, vcc
	v_add_u32_e32 v8, v8, v38
	v_and_b32_e32 v8, 0xfffff, v8
	v_add_co_u32_e32 v10, vcc, v8, v38
	v_add_u32_e32 v32, 6, v33
	v_addc_co_u32_e32 v11, vcc, 0, v39, vcc
	v_cmp_ne_u32_e32 vcc, 0, v32
                                        ; implicit-def: $vgpr8
	s_and_saveexec_b64 s[20:21], vcc
	s_xor_b64 s[20:21], exec, s[20:21]
; %bb.4652:                             ;   in Loop: Header=BB4_4148 Depth=2
	v_cmp_lt_u64_e32 vcc, s[44:45], v[10:11]
	v_add_u32_e32 v8, 7, v33
	v_cndmask_b32_e64 v25, 0, 1, vcc
	v_cndmask_b32_e32 v8, v32, v8, vcc
	v_lshrrev_b64 v[10:11], v25, v[10:11]
; %bb.4653:                             ;   in Loop: Header=BB4_4148 Depth=2
	s_andn2_saveexec_b64 s[20:21], s[20:21]
; %bb.4654:                             ;   in Loop: Header=BB4_4148 Depth=2
	v_bfe_u32 v8, v10, 23, 1
; %bb.4655:                             ;   in Loop: Header=BB4_4148 Depth=2
	s_or_b64 exec, exec, s[20:21]
	v_lshrrev_b64 v[10:11], 20, v[10:11]
	v_cmp_gt_i32_e32 vcc, 16, v8
	v_cndmask_b32_e32 v11, 0, v11, vcc
	v_cndmask_b32_e32 v10, 7, v10, vcc
	v_cmp_eq_u32_e32 vcc, 0, v8
	v_min_i32_e32 v8, 15, v8
	v_cmp_eq_u64_e64 s[20:21], 0, v[10:11]
	v_lshlrev_b32_e32 v8, 3, v8
	v_and_or_b32 v8, v10, 7, v8
	s_and_b64 s[20:21], vcc, s[20:21]
	v_cndmask_b32_e64 v8, v8, 0, s[20:21]
	v_or_b32_e32 v8, v8, v22
.LBB4_4656:                             ;   in Loop: Header=BB4_4148 Depth=2
	s_or_b64 exec, exec, s[60:61]
.LBB4_4657:                             ;   in Loop: Header=BB4_4148 Depth=2
	s_or_b64 exec, exec, s[58:59]
                                        ; implicit-def: $vgpr10
.LBB4_4658:                             ;   in Loop: Header=BB4_4148 Depth=2
	s_andn2_saveexec_b64 s[20:21], s[56:57]
; %bb.4659:                             ;   in Loop: Header=BB4_4148 Depth=2
	v_or_b32_sdwa v10, v10, s69 dst_sel:DWORD dst_unused:UNUSED_PAD src0_sel:BYTE_3 src1_sel:DWORD
	v_cmp_eq_u64_e32 vcc, 0, v[36:37]
	v_cndmask_b32_e32 v8, v10, v8, vcc
; %bb.4660:                             ;   in Loop: Header=BB4_4148 Depth=2
	s_or_b64 exec, exec, s[20:21]
	v_lshrrev_b16_e32 v10, 8, v3
	v_cmp_ne_u16_e32 vcc, 0, v10
	v_mov_b32_e32 v11, 0
	v_mov_b32_e32 v22, 0
	s_and_saveexec_b64 s[20:21], vcc
	s_cbranch_execz .LBB4_4666
; %bb.4661:                             ;   in Loop: Header=BB4_4148 Depth=2
	v_cmp_ne_u16_e32 vcc, s71, v10
	v_bfrev_b32_e32 v22, 1
	s_and_saveexec_b64 s[56:57], vcc
	s_cbranch_execz .LBB4_4665
; %bb.4662:                             ;   in Loop: Header=BB4_4148 Depth=2
	v_and_b32_e32 v32, 0x7f, v10
	v_cmp_ne_u32_e32 vcc, s69, v32
	v_mov_b32_e32 v22, 0x7f800001
	s_and_saveexec_b64 s[58:59], vcc
	s_cbranch_execz .LBB4_4664
; %bb.4663:                             ;   in Loop: Header=BB4_4148 Depth=2
	v_and_b32_e32 v22, 7, v10
	v_ffbh_u32_e32 v33, v22
	v_min_u32_e32 v33, 32, v33
	v_subrev_u32_e32 v34, 28, v33
	v_lshlrev_b64 v[34:35], v34, v[10:11]
	v_lshrrev_b32_e32 v25, 3, v32
	v_sub_u32_e32 v10, 29, v33
	v_and_b32_e32 v33, 7, v34
	v_cmp_gt_u32_e32 vcc, 8, v32
	v_cndmask_b32_e32 v10, v25, v10, vcc
	v_cndmask_b32_e32 v22, v22, v33, vcc
	v_lshlrev_b32_e32 v3, 16, v3
	v_bfrev_b32_e32 v25, 60
	v_lshlrev_b32_e32 v22, 20, v22
	v_and_b32_e32 v3, 0x80000000, v3
	v_lshl_add_u32 v10, v10, 23, v25
	v_or3_b32 v22, v3, v10, v22
.LBB4_4664:                             ;   in Loop: Header=BB4_4148 Depth=2
	s_or_b64 exec, exec, s[58:59]
.LBB4_4665:                             ;   in Loop: Header=BB4_4148 Depth=2
	s_or_b64 exec, exec, s[56:57]
.LBB4_4666:                             ;   in Loop: Header=BB4_4148 Depth=2
	s_or_b64 exec, exec, s[20:21]
	v_lshrrev_b16_e32 v10, 8, v12
	v_cmp_ne_u16_e32 vcc, 0, v10
	s_and_saveexec_b64 s[20:21], vcc
	s_cbranch_execz .LBB4_4672
; %bb.4667:                             ;   in Loop: Header=BB4_4148 Depth=2
	v_cmp_ne_u16_e32 vcc, s71, v10
	v_bfrev_b32_e32 v11, 1
	s_and_saveexec_b64 s[56:57], vcc
	s_cbranch_execz .LBB4_4671
; %bb.4668:                             ;   in Loop: Header=BB4_4148 Depth=2
	v_and_b32_e32 v3, 0x7f, v10
	v_cmp_ne_u32_e32 vcc, s69, v3
	v_mov_b32_e32 v11, 0x7f800001
	s_and_saveexec_b64 s[58:59], vcc
	s_cbranch_execz .LBB4_4670
; %bb.4669:                             ;   in Loop: Header=BB4_4148 Depth=2
	v_and_b32_e32 v25, 7, v10
	v_ffbh_u32_e32 v11, v25
	v_min_u32_e32 v33, 32, v11
	v_subrev_u32_e32 v11, 28, v33
	v_lshlrev_b64 v[10:11], v11, v[10:11]
	v_lshrrev_b32_e32 v32, 3, v3
	v_sub_u32_e32 v11, 29, v33
	v_and_b32_e32 v10, 7, v10
	v_cmp_gt_u32_e32 vcc, 8, v3
	v_cndmask_b32_e32 v3, v32, v11, vcc
	v_cndmask_b32_e32 v10, v25, v10, vcc
	v_lshlrev_b32_e32 v11, 16, v12
	v_bfrev_b32_e32 v25, 60
	v_lshlrev_b32_e32 v10, 20, v10
	v_and_b32_e32 v11, 0x80000000, v11
	v_lshl_add_u32 v3, v3, 23, v25
	v_or3_b32 v11, v11, v3, v10
.LBB4_4670:                             ;   in Loop: Header=BB4_4148 Depth=2
	s_or_b64 exec, exec, s[58:59]
.LBB4_4671:                             ;   in Loop: Header=BB4_4148 Depth=2
	s_or_b64 exec, exec, s[56:57]
.LBB4_4672:                             ;   in Loop: Header=BB4_4148 Depth=2
	s_or_b64 exec, exec, s[20:21]
	v_add_f32_e32 v10, v22, v11
	v_and_b32_sdwa v3, v10, s71 dst_sel:DWORD dst_unused:UNUSED_PAD src0_sel:BYTE_3 src1_sel:DWORD
	v_and_b32_e32 v32, 0x7f800000, v10
	v_mov_b32_e32 v33, v37
	v_and_b32_e32 v36, 0x7fffff, v10
	v_or_b32_e32 v11, 0x7e, v3
	v_cmp_ne_u64_e32 vcc, s[38:39], v[32:33]
	s_and_saveexec_b64 s[20:21], vcc
	s_xor_b64 s[56:57], exec, s[20:21]
	s_cbranch_execz .LBB4_4682
; %bb.4673:                             ;   in Loop: Header=BB4_4148 Depth=2
	v_and_b32_e32 v32, 0x7fffffff, v10
	v_mov_b32_e32 v33, v37
	v_cmp_gt_u64_e32 vcc, s[40:41], v[32:33]
	s_and_saveexec_b64 s[58:59], vcc
	s_cbranch_execz .LBB4_4681
; %bb.4674:                             ;   in Loop: Header=BB4_4148 Depth=2
	v_cmp_ne_u32_e32 vcc, 0, v10
	v_mov_b32_e32 v11, 0
	s_and_saveexec_b64 s[60:61], vcc
	s_cbranch_execz .LBB4_4680
; %bb.4675:                             ;   in Loop: Header=BB4_4148 Depth=2
	v_bfe_u32 v10, v10, 23, 8
	v_sub_u32_e32 v22, 0x79, v10
	v_cmp_gt_u32_e32 vcc, s72, v10
	v_add_u32_e32 v11, 0xffffff81, v10
	v_cndmask_b32_e32 v22, 0, v22, vcc
	v_cmp_eq_u32_e32 vcc, 0, v10
	v_mov_b32_e32 v10, 0xffffff82
	v_cndmask_b32_e32 v32, v11, v10, vcc
	v_mov_b32_e32 v10, 0x78
	v_or_b32_e32 v25, 0x800000, v36
	v_cndmask_b32_e32 v22, v22, v10, vcc
	v_cndmask_b32_e32 v36, v25, v36, vcc
	v_add_u32_e32 v10, 20, v22
	v_lshlrev_b64 v[10:11], v10, -1
	v_add_u32_e32 v25, 19, v22
	v_lshrrev_b64 v[38:39], v22, v[36:37]
	v_not_b32_e32 v11, v11
	v_not_b32_e32 v10, v10
	v_lshlrev_b64 v[34:35], v25, 1
	v_lshrrev_b32_e32 v25, 23, v38
	v_and_b32_e32 v11, 0, v11
	v_and_b32_e32 v10, v36, v10
	v_add3_u32 v33, v22, v32, v25
	v_bfe_u32 v22, v38, 20, 1
	v_add_u32_e32 v22, -1, v22
	v_cmp_eq_u64_e32 vcc, v[10:11], v[34:35]
	v_cndmask_b32_e32 v10, 0, v22, vcc
	v_add_u32_e32 v10, v10, v38
	v_and_b32_e32 v10, 0xfffff, v10
	v_add_co_u32_e32 v10, vcc, v10, v38
	v_add_u32_e32 v32, 6, v33
	v_addc_co_u32_e32 v11, vcc, 0, v39, vcc
	v_cmp_ne_u32_e32 vcc, 0, v32
                                        ; implicit-def: $vgpr22
	s_and_saveexec_b64 s[20:21], vcc
	s_xor_b64 s[20:21], exec, s[20:21]
; %bb.4676:                             ;   in Loop: Header=BB4_4148 Depth=2
	v_cmp_lt_u64_e32 vcc, s[44:45], v[10:11]
	v_add_u32_e32 v22, 7, v33
	v_cndmask_b32_e64 v25, 0, 1, vcc
	v_cndmask_b32_e32 v22, v32, v22, vcc
	v_lshrrev_b64 v[10:11], v25, v[10:11]
; %bb.4677:                             ;   in Loop: Header=BB4_4148 Depth=2
	s_andn2_saveexec_b64 s[20:21], s[20:21]
; %bb.4678:                             ;   in Loop: Header=BB4_4148 Depth=2
	v_bfe_u32 v22, v10, 23, 1
; %bb.4679:                             ;   in Loop: Header=BB4_4148 Depth=2
	s_or_b64 exec, exec, s[20:21]
	v_lshrrev_b64 v[10:11], 20, v[10:11]
	v_cmp_gt_i32_e32 vcc, 16, v22
	v_cndmask_b32_e32 v11, 0, v11, vcc
	v_cndmask_b32_e32 v10, 7, v10, vcc
	v_cmp_eq_u64_e64 s[20:21], 0, v[10:11]
	v_min_i32_e32 v11, 15, v22
	v_cmp_eq_u32_e32 vcc, 0, v22
	v_lshlrev_b32_e32 v11, 3, v11
	v_and_or_b32 v10, v10, 7, v11
	s_and_b64 s[20:21], vcc, s[20:21]
	v_cndmask_b32_e64 v10, v10, 0, s[20:21]
	v_or_b32_e32 v11, v10, v3
.LBB4_4680:                             ;   in Loop: Header=BB4_4148 Depth=2
	s_or_b64 exec, exec, s[60:61]
.LBB4_4681:                             ;   in Loop: Header=BB4_4148 Depth=2
	s_or_b64 exec, exec, s[58:59]
                                        ; implicit-def: $vgpr10
.LBB4_4682:                             ;   in Loop: Header=BB4_4148 Depth=2
	s_andn2_saveexec_b64 s[20:21], s[56:57]
; %bb.4683:                             ;   in Loop: Header=BB4_4148 Depth=2
	v_or_b32_sdwa v3, v10, s69 dst_sel:DWORD dst_unused:UNUSED_PAD src0_sel:BYTE_3 src1_sel:DWORD
	v_cmp_eq_u64_e32 vcc, 0, v[36:37]
	v_cndmask_b32_e32 v11, v3, v11, vcc
; %bb.4684:                             ;   in Loop: Header=BB4_4148 Depth=2
	s_or_b64 exec, exec, s[20:21]
	v_cmp_ne_u16_sdwa vcc, v2, v37 src0_sel:BYTE_0 src1_sel:DWORD
	v_mov_b32_e32 v3, 0
	v_mov_b32_e32 v10, 0
	s_and_saveexec_b64 s[20:21], vcc
	s_cbranch_execz .LBB4_4690
; %bb.4685:                             ;   in Loop: Header=BB4_4148 Depth=2
	v_cmp_ne_u16_sdwa vcc, v2, s71 src0_sel:BYTE_0 src1_sel:DWORD
	v_bfrev_b32_e32 v10, 1
	s_and_saveexec_b64 s[56:57], vcc
	s_cbranch_execz .LBB4_4689
; %bb.4686:                             ;   in Loop: Header=BB4_4148 Depth=2
	v_and_b32_e32 v22, 0x7f, v2
	v_cmp_ne_u32_e32 vcc, s69, v22
	v_mov_b32_e32 v10, 0x7f800001
	s_and_saveexec_b64 s[58:59], vcc
	s_cbranch_execz .LBB4_4688
; %bb.4687:                             ;   in Loop: Header=BB4_4148 Depth=2
	v_and_b32_e32 v10, 7, v2
	v_ffbh_u32_e32 v32, v10
	v_min_u32_e32 v34, 32, v32
	v_subrev_u32_e32 v32, 28, v34
	v_lshlrev_b64 v[32:33], v32, v[2:3]
	v_lshrrev_b32_e32 v25, 3, v22
	v_sub_u32_e32 v33, 29, v34
	v_and_b32_e32 v32, 7, v32
	v_cmp_gt_u32_e32 vcc, 8, v22
	v_cndmask_b32_e32 v22, v25, v33, vcc
	v_cndmask_b32_e32 v10, v10, v32, vcc
	v_lshlrev_b32_e32 v2, 24, v2
	v_bfrev_b32_e32 v25, 60
	v_lshlrev_b32_e32 v10, 20, v10
	v_and_b32_e32 v2, 0x80000000, v2
	v_lshl_add_u32 v22, v22, 23, v25
	v_or3_b32 v10, v2, v22, v10
.LBB4_4688:                             ;   in Loop: Header=BB4_4148 Depth=2
	s_or_b64 exec, exec, s[58:59]
.LBB4_4689:                             ;   in Loop: Header=BB4_4148 Depth=2
	s_or_b64 exec, exec, s[56:57]
.LBB4_4690:                             ;   in Loop: Header=BB4_4148 Depth=2
	s_or_b64 exec, exec, s[20:21]
	v_lshrrev_b32_e32 v2, 16, v12
	v_cmp_ne_u16_sdwa vcc, v2, v37 src0_sel:BYTE_0 src1_sel:DWORD
	s_and_saveexec_b64 s[20:21], vcc
	s_cbranch_execz .LBB4_4696
; %bb.4691:                             ;   in Loop: Header=BB4_4148 Depth=2
	v_cmp_ne_u16_sdwa vcc, v2, s71 src0_sel:BYTE_0 src1_sel:DWORD
	v_bfrev_b32_e32 v3, 1
	s_and_saveexec_b64 s[56:57], vcc
	s_cbranch_execz .LBB4_4695
; %bb.4692:                             ;   in Loop: Header=BB4_4148 Depth=2
	v_bfe_u32 v22, v12, 16, 7
	v_cmp_ne_u32_e32 vcc, s69, v22
	v_mov_b32_e32 v3, 0x7f800001
	s_and_saveexec_b64 s[58:59], vcc
	s_cbranch_execz .LBB4_4694
; %bb.4693:                             ;   in Loop: Header=BB4_4148 Depth=2
	v_and_b32_e32 v25, 7, v2
	v_ffbh_u32_e32 v3, v25
	v_min_u32_e32 v33, 32, v3
	v_subrev_u32_e32 v3, 28, v33
	v_lshlrev_b64 v[2:3], v3, v[2:3]
	v_lshrrev_b32_e32 v32, 3, v22
	v_sub_u32_e32 v3, 29, v33
	v_and_b32_e32 v2, 7, v2
	v_cmp_gt_u32_e32 vcc, 8, v22
	v_cndmask_b32_e32 v3, v32, v3, vcc
	v_cndmask_b32_e32 v2, v25, v2, vcc
	v_lshlrev_b32_e32 v22, 8, v12
	v_bfrev_b32_e32 v25, 60
	v_lshlrev_b32_e32 v2, 20, v2
	v_and_b32_e32 v22, 0x80000000, v22
	v_lshl_add_u32 v3, v3, 23, v25
	v_or3_b32 v3, v22, v3, v2
.LBB4_4694:                             ;   in Loop: Header=BB4_4148 Depth=2
	s_or_b64 exec, exec, s[58:59]
.LBB4_4695:                             ;   in Loop: Header=BB4_4148 Depth=2
	s_or_b64 exec, exec, s[56:57]
.LBB4_4696:                             ;   in Loop: Header=BB4_4148 Depth=2
	s_or_b64 exec, exec, s[20:21]
	v_add_f32_e32 v2, v10, v3
	v_and_b32_sdwa v10, v2, s71 dst_sel:DWORD dst_unused:UNUSED_PAD src0_sel:BYTE_3 src1_sel:DWORD
	v_and_b32_e32 v32, 0x7f800000, v2
	v_mov_b32_e32 v33, v37
	v_and_b32_e32 v36, 0x7fffff, v2
	v_or_b32_e32 v22, 0x7e, v10
	v_cmp_ne_u64_e32 vcc, s[38:39], v[32:33]
	s_and_saveexec_b64 s[20:21], vcc
	s_xor_b64 s[56:57], exec, s[20:21]
	s_cbranch_execz .LBB4_4706
; %bb.4697:                             ;   in Loop: Header=BB4_4148 Depth=2
	v_and_b32_e32 v32, 0x7fffffff, v2
	v_mov_b32_e32 v33, v37
	v_cmp_gt_u64_e32 vcc, s[40:41], v[32:33]
	s_and_saveexec_b64 s[58:59], vcc
	s_cbranch_execz .LBB4_4705
; %bb.4698:                             ;   in Loop: Header=BB4_4148 Depth=2
	v_cmp_ne_u32_e32 vcc, 0, v2
	v_mov_b32_e32 v22, 0
	s_and_saveexec_b64 s[60:61], vcc
	s_cbranch_execz .LBB4_4704
; %bb.4699:                             ;   in Loop: Header=BB4_4148 Depth=2
	v_bfe_u32 v2, v2, 23, 8
	v_sub_u32_e32 v22, 0x79, v2
	v_cmp_gt_u32_e32 vcc, s72, v2
	v_add_u32_e32 v3, 0xffffff81, v2
	v_cndmask_b32_e32 v22, 0, v22, vcc
	v_cmp_eq_u32_e32 vcc, 0, v2
	v_mov_b32_e32 v2, 0xffffff82
	v_cndmask_b32_e32 v32, v3, v2, vcc
	v_mov_b32_e32 v2, 0x78
	v_or_b32_e32 v25, 0x800000, v36
	v_cndmask_b32_e32 v22, v22, v2, vcc
	v_cndmask_b32_e32 v36, v25, v36, vcc
	v_add_u32_e32 v2, 20, v22
	v_lshlrev_b64 v[2:3], v2, -1
	v_add_u32_e32 v25, 19, v22
	v_lshrrev_b64 v[38:39], v22, v[36:37]
	v_not_b32_e32 v3, v3
	v_not_b32_e32 v2, v2
	v_lshlrev_b64 v[34:35], v25, 1
	v_lshrrev_b32_e32 v25, 23, v38
	v_and_b32_e32 v3, 0, v3
	v_and_b32_e32 v2, v36, v2
	v_add3_u32 v33, v22, v32, v25
	v_bfe_u32 v22, v38, 20, 1
	v_add_u32_e32 v22, -1, v22
	v_cmp_eq_u64_e32 vcc, v[2:3], v[34:35]
	v_cndmask_b32_e32 v2, 0, v22, vcc
	v_add_u32_e32 v2, v2, v38
	v_and_b32_e32 v2, 0xfffff, v2
	v_add_co_u32_e32 v2, vcc, v2, v38
	v_add_u32_e32 v32, 6, v33
	v_addc_co_u32_e32 v3, vcc, 0, v39, vcc
	v_cmp_ne_u32_e32 vcc, 0, v32
                                        ; implicit-def: $vgpr22
	s_and_saveexec_b64 s[20:21], vcc
	s_xor_b64 s[20:21], exec, s[20:21]
; %bb.4700:                             ;   in Loop: Header=BB4_4148 Depth=2
	v_cmp_lt_u64_e32 vcc, s[44:45], v[2:3]
	v_add_u32_e32 v22, 7, v33
	v_cndmask_b32_e64 v25, 0, 1, vcc
	v_cndmask_b32_e32 v22, v32, v22, vcc
	v_lshrrev_b64 v[2:3], v25, v[2:3]
; %bb.4701:                             ;   in Loop: Header=BB4_4148 Depth=2
	s_andn2_saveexec_b64 s[20:21], s[20:21]
; %bb.4702:                             ;   in Loop: Header=BB4_4148 Depth=2
	v_bfe_u32 v22, v2, 23, 1
; %bb.4703:                             ;   in Loop: Header=BB4_4148 Depth=2
	s_or_b64 exec, exec, s[20:21]
	v_lshrrev_b64 v[2:3], 20, v[2:3]
	v_cmp_gt_i32_e32 vcc, 16, v22
	v_cndmask_b32_e32 v3, 0, v3, vcc
	v_cndmask_b32_e32 v2, 7, v2, vcc
	v_cmp_eq_u64_e64 s[20:21], 0, v[2:3]
	v_min_i32_e32 v3, 15, v22
	v_cmp_eq_u32_e32 vcc, 0, v22
	v_lshlrev_b32_e32 v3, 3, v3
	v_and_or_b32 v2, v2, 7, v3
	s_and_b64 s[20:21], vcc, s[20:21]
	v_cndmask_b32_e64 v2, v2, 0, s[20:21]
	v_or_b32_e32 v22, v2, v10
.LBB4_4704:                             ;   in Loop: Header=BB4_4148 Depth=2
	s_or_b64 exec, exec, s[60:61]
.LBB4_4705:                             ;   in Loop: Header=BB4_4148 Depth=2
	s_or_b64 exec, exec, s[58:59]
                                        ; implicit-def: $vgpr2
.LBB4_4706:                             ;   in Loop: Header=BB4_4148 Depth=2
	s_andn2_saveexec_b64 s[20:21], s[56:57]
; %bb.4707:                             ;   in Loop: Header=BB4_4148 Depth=2
	v_or_b32_sdwa v2, v2, s69 dst_sel:DWORD dst_unused:UNUSED_PAD src0_sel:BYTE_3 src1_sel:DWORD
	v_cmp_eq_u64_e32 vcc, 0, v[36:37]
	v_cndmask_b32_e32 v22, v2, v22, vcc
; %bb.4708:                             ;   in Loop: Header=BB4_4148 Depth=2
	s_or_b64 exec, exec, s[20:21]
	v_lshlrev_b32_e32 v2, 8, v6
	v_and_b32_e32 v2, 0xff00, v2
	v_cmp_ne_u32_e32 vcc, 0, v2
	v_mov_b32_e32 v3, 0
	v_mov_b32_e32 v6, 0
	s_and_saveexec_b64 s[20:21], vcc
	s_cbranch_execz .LBB4_4714
; %bb.4709:                             ;   in Loop: Header=BB4_4148 Depth=2
	v_cmp_ne_u32_e32 vcc, s74, v2
	v_bfrev_b32_e32 v6, 1
	s_and_saveexec_b64 s[56:57], vcc
	s_cbranch_execz .LBB4_4713
; %bb.4710:                             ;   in Loop: Header=BB4_4148 Depth=2
	v_bfe_u32 v10, v2, 8, 7
	v_cmp_ne_u32_e32 vcc, s69, v10
	v_mov_b32_e32 v6, 0x7f800001
	s_and_saveexec_b64 s[58:59], vcc
	s_cbranch_execz .LBB4_4712
; %bb.4711:                             ;   in Loop: Header=BB4_4148 Depth=2
	v_lshrrev_b32_e32 v6, 8, v2
	v_and_b32_e32 v25, 7, v6
	v_ffbh_u32_e32 v32, v25
	v_min_u32_e32 v35, 32, v32
	v_subrev_u32_e32 v32, 28, v35
	v_lshlrev_b64 v[32:33], v32, v[6:7]
	v_lshrrev_b32_e32 v34, 3, v10
	v_sub_u32_e32 v6, 29, v35
	v_and_b32_e32 v32, 7, v32
	v_cmp_gt_u32_e32 vcc, 8, v10
	v_cndmask_b32_e32 v6, v34, v6, vcc
	v_cndmask_b32_e32 v10, v25, v32, vcc
	v_lshlrev_b32_e32 v2, 16, v2
	v_bfrev_b32_e32 v25, 60
	v_lshlrev_b32_e32 v10, 20, v10
	v_and_b32_e32 v2, 0x80000000, v2
	v_lshl_add_u32 v6, v6, 23, v25
	v_or3_b32 v6, v2, v6, v10
.LBB4_4712:                             ;   in Loop: Header=BB4_4148 Depth=2
	s_or_b64 exec, exec, s[58:59]
.LBB4_4713:                             ;   in Loop: Header=BB4_4148 Depth=2
	s_or_b64 exec, exec, s[56:57]
.LBB4_4714:                             ;   in Loop: Header=BB4_4148 Depth=2
	s_or_b64 exec, exec, s[20:21]
	v_cmp_lt_u32_e32 vcc, s43, v12
	s_and_saveexec_b64 s[20:21], vcc
	s_cbranch_execz .LBB4_4720
; %bb.4715:                             ;   in Loop: Header=BB4_4148 Depth=2
	v_lshrrev_b32_e32 v2, 24, v12
	v_cmp_ne_u32_e32 vcc, s71, v2
	v_bfrev_b32_e32 v3, 1
	s_and_saveexec_b64 s[56:57], vcc
	s_cbranch_execz .LBB4_4719
; %bb.4716:                             ;   in Loop: Header=BB4_4148 Depth=2
	v_bfe_u32 v10, v12, 24, 7
	v_cmp_ne_u32_e32 vcc, s69, v10
	v_mov_b32_e32 v3, 0x7f800001
	s_and_saveexec_b64 s[58:59], vcc
	s_cbranch_execz .LBB4_4718
; %bb.4717:                             ;   in Loop: Header=BB4_4148 Depth=2
	v_and_b32_e32 v3, 7, v2
	v_ffbh_u32_e32 v32, v3
	v_min_u32_e32 v34, 32, v32
	v_subrev_u32_e32 v32, 28, v34
	v_lshlrev_b64 v[32:33], v32, v[2:3]
	v_lshrrev_b32_e32 v25, 3, v10
	v_sub_u32_e32 v33, 29, v34
	v_and_b32_e32 v32, 7, v32
	v_cmp_gt_u32_e32 vcc, 8, v10
	v_cndmask_b32_e32 v10, v25, v33, vcc
	v_cndmask_b32_e32 v3, v3, v32, vcc
	v_lshlrev_b32_e32 v2, 24, v2
	v_bfrev_b32_e32 v25, 60
	v_lshlrev_b32_e32 v3, 20, v3
	v_and_b32_e32 v2, 0x80000000, v2
	v_lshl_add_u32 v10, v10, 23, v25
	v_or3_b32 v3, v2, v10, v3
.LBB4_4718:                             ;   in Loop: Header=BB4_4148 Depth=2
	s_or_b64 exec, exec, s[58:59]
.LBB4_4719:                             ;   in Loop: Header=BB4_4148 Depth=2
	s_or_b64 exec, exec, s[56:57]
.LBB4_4720:                             ;   in Loop: Header=BB4_4148 Depth=2
	s_or_b64 exec, exec, s[20:21]
	v_add_f32_e32 v2, v6, v3
	v_and_b32_sdwa v10, v2, s71 dst_sel:DWORD dst_unused:UNUSED_PAD src0_sel:BYTE_3 src1_sel:DWORD
	v_and_b32_e32 v32, 0x7f800000, v2
	v_mov_b32_e32 v33, v37
	v_and_b32_e32 v36, 0x7fffff, v2
	v_or_b32_e32 v6, 0x7e, v10
	v_cmp_ne_u64_e32 vcc, s[38:39], v[32:33]
	s_and_saveexec_b64 s[20:21], vcc
	s_xor_b64 s[56:57], exec, s[20:21]
	s_cbranch_execz .LBB4_4730
; %bb.4721:                             ;   in Loop: Header=BB4_4148 Depth=2
	v_and_b32_e32 v32, 0x7fffffff, v2
	v_mov_b32_e32 v33, v37
	v_cmp_gt_u64_e32 vcc, s[40:41], v[32:33]
	s_and_saveexec_b64 s[58:59], vcc
	s_cbranch_execz .LBB4_4729
; %bb.4722:                             ;   in Loop: Header=BB4_4148 Depth=2
	v_cmp_ne_u32_e32 vcc, 0, v2
	v_mov_b32_e32 v6, 0
	s_and_saveexec_b64 s[60:61], vcc
	s_cbranch_execz .LBB4_4728
; %bb.4723:                             ;   in Loop: Header=BB4_4148 Depth=2
	v_bfe_u32 v2, v2, 23, 8
	v_sub_u32_e32 v6, 0x79, v2
	v_cmp_gt_u32_e32 vcc, s72, v2
	v_add_u32_e32 v3, 0xffffff81, v2
	v_cndmask_b32_e32 v6, 0, v6, vcc
	v_cmp_eq_u32_e32 vcc, 0, v2
	v_mov_b32_e32 v2, 0xffffff82
	v_cndmask_b32_e32 v32, v3, v2, vcc
	v_mov_b32_e32 v2, 0x78
	v_or_b32_e32 v25, 0x800000, v36
	v_cndmask_b32_e32 v6, v6, v2, vcc
	v_cndmask_b32_e32 v36, v25, v36, vcc
	v_add_u32_e32 v2, 20, v6
	v_lshlrev_b64 v[2:3], v2, -1
	v_add_u32_e32 v25, 19, v6
	v_lshrrev_b64 v[38:39], v6, v[36:37]
	v_not_b32_e32 v3, v3
	v_not_b32_e32 v2, v2
	v_lshlrev_b64 v[34:35], v25, 1
	v_lshrrev_b32_e32 v25, 23, v38
	v_and_b32_e32 v3, 0, v3
	v_and_b32_e32 v2, v36, v2
	v_add3_u32 v33, v6, v32, v25
	v_bfe_u32 v6, v38, 20, 1
	v_add_u32_e32 v6, -1, v6
	v_cmp_eq_u64_e32 vcc, v[2:3], v[34:35]
	v_cndmask_b32_e32 v2, 0, v6, vcc
	v_add_u32_e32 v2, v2, v38
	v_and_b32_e32 v2, 0xfffff, v2
	v_add_co_u32_e32 v2, vcc, v2, v38
	v_add_u32_e32 v32, 6, v33
	v_addc_co_u32_e32 v3, vcc, 0, v39, vcc
	v_cmp_ne_u32_e32 vcc, 0, v32
                                        ; implicit-def: $vgpr6
	s_and_saveexec_b64 s[20:21], vcc
	s_xor_b64 s[20:21], exec, s[20:21]
; %bb.4724:                             ;   in Loop: Header=BB4_4148 Depth=2
	v_cmp_lt_u64_e32 vcc, s[44:45], v[2:3]
	v_add_u32_e32 v6, 7, v33
	v_cndmask_b32_e64 v25, 0, 1, vcc
	v_cndmask_b32_e32 v6, v32, v6, vcc
	v_lshrrev_b64 v[2:3], v25, v[2:3]
; %bb.4725:                             ;   in Loop: Header=BB4_4148 Depth=2
	s_andn2_saveexec_b64 s[20:21], s[20:21]
; %bb.4726:                             ;   in Loop: Header=BB4_4148 Depth=2
	v_bfe_u32 v6, v2, 23, 1
; %bb.4727:                             ;   in Loop: Header=BB4_4148 Depth=2
	s_or_b64 exec, exec, s[20:21]
	v_lshrrev_b64 v[2:3], 20, v[2:3]
	v_cmp_gt_i32_e32 vcc, 16, v6
	v_cndmask_b32_e32 v3, 0, v3, vcc
	v_cndmask_b32_e32 v2, 7, v2, vcc
	v_cmp_eq_u64_e64 s[20:21], 0, v[2:3]
	v_min_i32_e32 v3, 15, v6
	v_cmp_eq_u32_e32 vcc, 0, v6
	v_lshlrev_b32_e32 v3, 3, v3
	v_and_or_b32 v2, v2, 7, v3
	s_and_b64 s[20:21], vcc, s[20:21]
	v_cndmask_b32_e64 v2, v2, 0, s[20:21]
	v_or_b32_e32 v6, v2, v10
.LBB4_4728:                             ;   in Loop: Header=BB4_4148 Depth=2
	s_or_b64 exec, exec, s[60:61]
.LBB4_4729:                             ;   in Loop: Header=BB4_4148 Depth=2
	s_or_b64 exec, exec, s[58:59]
                                        ; implicit-def: $vgpr2
.LBB4_4730:                             ;   in Loop: Header=BB4_4148 Depth=2
	s_andn2_saveexec_b64 s[20:21], s[56:57]
; %bb.4731:                             ;   in Loop: Header=BB4_4148 Depth=2
	v_or_b32_sdwa v2, v2, s69 dst_sel:DWORD dst_unused:UNUSED_PAD src0_sel:BYTE_3 src1_sel:DWORD
	v_cmp_eq_u64_e32 vcc, 0, v[36:37]
	v_cndmask_b32_e32 v6, v2, v6, vcc
; %bb.4732:                             ;   in Loop: Header=BB4_4148 Depth=2
	s_or_b64 exec, exec, s[20:21]
	v_lshlrev_b32_e32 v9, 8, v9
	v_lshlrev_b32_e32 v2, 24, v27
	v_perm_b32 v3, v21, v5, s75
	v_or3_b32 v36, v3, v2, v9
	v_cmp_ne_u16_sdwa vcc, v5, v37 src0_sel:BYTE_0 src1_sel:DWORD
	v_mov_b32_e32 v3, 0
	v_mov_b32_e32 v2, 0
	s_and_saveexec_b64 s[20:21], vcc
	s_cbranch_execz .LBB4_4738
; %bb.4733:                             ;   in Loop: Header=BB4_4148 Depth=2
	v_cmp_ne_u16_sdwa vcc, v5, s71 src0_sel:BYTE_0 src1_sel:DWORD
	v_bfrev_b32_e32 v2, 1
	s_and_saveexec_b64 s[56:57], vcc
	s_cbranch_execz .LBB4_4737
; %bb.4734:                             ;   in Loop: Header=BB4_4148 Depth=2
	v_and_b32_e32 v10, 0x7f, v5
	v_cmp_ne_u32_e32 vcc, s69, v10
	v_mov_b32_e32 v2, 0x7f800001
	s_and_saveexec_b64 s[58:59], vcc
	s_cbranch_execz .LBB4_4736
; %bb.4735:                             ;   in Loop: Header=BB4_4148 Depth=2
	v_and_b32_e32 v2, 7, v5
	v_ffbh_u32_e32 v2, v2
	v_min_u32_e32 v2, 32, v2
	v_lshrrev_b32_e32 v5, 3, v10
	v_subrev_u32_e32 v21, 28, v2
	v_sub_u32_e32 v2, 29, v2
	v_cmp_gt_u32_e32 vcc, 8, v10
	v_cndmask_b32_e32 v2, v5, v2, vcc
	v_cndmask_b32_e32 v5, 0, v21, vcc
	v_lshlrev_b64 v[32:33], v5, v[36:37]
	v_lshlrev_b32_e32 v5, 20, v32
	v_lshlrev_b32_e32 v10, 24, v36
	v_bfrev_b32_e32 v21, 60
	v_and_b32_e32 v5, 0x700000, v5
	v_and_b32_e32 v10, 0x80000000, v10
	v_lshl_add_u32 v2, v2, 23, v21
	v_or3_b32 v2, v10, v2, v5
.LBB4_4736:                             ;   in Loop: Header=BB4_4148 Depth=2
	s_or_b64 exec, exec, s[58:59]
.LBB4_4737:                             ;   in Loop: Header=BB4_4148 Depth=2
	s_or_b64 exec, exec, s[56:57]
.LBB4_4738:                             ;   in Loop: Header=BB4_4148 Depth=2
	s_or_b64 exec, exec, s[20:21]
	v_cmp_ne_u16_sdwa vcc, v13, v37 src0_sel:BYTE_0 src1_sel:DWORD
	s_and_saveexec_b64 s[20:21], vcc
	s_cbranch_execz .LBB4_4744
; %bb.4739:                             ;   in Loop: Header=BB4_4148 Depth=2
	v_cmp_ne_u16_sdwa vcc, v13, s71 src0_sel:BYTE_0 src1_sel:DWORD
	v_bfrev_b32_e32 v3, 1
	s_and_saveexec_b64 s[56:57], vcc
	s_cbranch_execz .LBB4_4743
; %bb.4740:                             ;   in Loop: Header=BB4_4148 Depth=2
	v_and_b32_e32 v5, 0x7f, v13
	v_cmp_ne_u32_e32 vcc, s69, v5
	v_mov_b32_e32 v3, 0x7f800001
	s_and_saveexec_b64 s[58:59], vcc
	s_cbranch_execz .LBB4_4742
; %bb.4741:                             ;   in Loop: Header=BB4_4148 Depth=2
	v_and_b32_e32 v3, 7, v13
	v_ffbh_u32_e32 v3, v3
	v_min_u32_e32 v3, 32, v3
	v_subrev_u32_e32 v21, 28, v3
	v_cmp_gt_u32_e32 vcc, 8, v5
	v_mov_b32_e32 v32, v13
	v_mov_b32_e32 v33, v37
	v_lshrrev_b32_e32 v10, 3, v5
	v_cndmask_b32_e32 v5, 0, v21, vcc
	v_sub_u32_e32 v3, 29, v3
	v_lshlrev_b64 v[34:35], v5, v[32:33]
	v_cndmask_b32_e32 v3, v10, v3, vcc
	v_lshlrev_b32_e32 v5, 20, v34
	v_lshlrev_b32_e32 v10, 24, v32
	v_bfrev_b32_e32 v21, 60
	v_and_b32_e32 v5, 0x700000, v5
	v_and_b32_e32 v10, 0x80000000, v10
	v_lshl_add_u32 v3, v3, 23, v21
	v_or3_b32 v3, v10, v3, v5
.LBB4_4742:                             ;   in Loop: Header=BB4_4148 Depth=2
	s_or_b64 exec, exec, s[58:59]
.LBB4_4743:                             ;   in Loop: Header=BB4_4148 Depth=2
	s_or_b64 exec, exec, s[56:57]
.LBB4_4744:                             ;   in Loop: Header=BB4_4148 Depth=2
	s_or_b64 exec, exec, s[20:21]
	v_add_f32_e32 v21, v2, v3
	v_and_b32_sdwa v10, v21, s71 dst_sel:DWORD dst_unused:UNUSED_PAD src0_sel:BYTE_3 src1_sel:DWORD
	v_and_b32_e32 v32, 0x7f800000, v21
	v_mov_b32_e32 v33, v37
	v_and_b32_e32 v2, 0x7fffff, v21
	v_mov_b32_e32 v3, v37
	v_or_b32_e32 v5, 0x7e, v10
	v_cmp_ne_u64_e32 vcc, s[38:39], v[32:33]
	s_and_saveexec_b64 s[20:21], vcc
	s_xor_b64 s[56:57], exec, s[20:21]
	s_cbranch_execz .LBB4_4754
; %bb.4745:                             ;   in Loop: Header=BB4_4148 Depth=2
	v_and_b32_e32 v32, 0x7fffffff, v21
	v_mov_b32_e32 v33, v37
	v_cmp_gt_u64_e32 vcc, s[40:41], v[32:33]
	s_and_saveexec_b64 s[58:59], vcc
	s_cbranch_execz .LBB4_4753
; %bb.4746:                             ;   in Loop: Header=BB4_4148 Depth=2
	v_cmp_ne_u32_e32 vcc, 0, v21
	v_mov_b32_e32 v5, 0
	s_and_saveexec_b64 s[60:61], vcc
	s_cbranch_execz .LBB4_4752
; %bb.4747:                             ;   in Loop: Header=BB4_4148 Depth=2
	v_bfe_u32 v5, v21, 23, 8
	v_sub_u32_e32 v25, 0x79, v5
	v_cmp_gt_u32_e32 vcc, s72, v5
	v_add_u32_e32 v21, 0xffffff81, v5
	v_cndmask_b32_e32 v25, 0, v25, vcc
	v_cmp_eq_u32_e32 vcc, 0, v5
	v_mov_b32_e32 v5, 0xffffff82
	v_cndmask_b32_e32 v5, v21, v5, vcc
	v_mov_b32_e32 v21, 0x78
	v_cndmask_b32_e32 v21, v25, v21, vcc
	v_add_u32_e32 v25, 20, v21
	v_or_b32_e32 v27, 0x800000, v2
	v_lshlrev_b64 v[32:33], v25, -1
	v_cndmask_b32_e32 v2, v27, v2, vcc
	v_not_b32_e32 v25, v33
	v_not_b32_e32 v27, v32
	v_and_b32_e32 v33, 0, v25
	v_and_b32_e32 v32, v2, v27
	v_add_u32_e32 v25, 19, v21
	v_lshrrev_b64 v[2:3], v21, v[2:3]
	v_lshlrev_b64 v[34:35], v25, 1
	v_lshrrev_b32_e32 v25, 23, v2
	v_add3_u32 v27, v21, v5, v25
	v_bfe_u32 v5, v2, 20, 1
	v_add_u32_e32 v5, -1, v5
	v_cmp_eq_u64_e32 vcc, v[32:33], v[34:35]
	v_cndmask_b32_e32 v5, 0, v5, vcc
	v_add_u32_e32 v5, v5, v2
	v_and_b32_e32 v5, 0xfffff, v5
	v_add_co_u32_e32 v2, vcc, v5, v2
	v_add_u32_e32 v21, 6, v27
	v_addc_co_u32_e32 v3, vcc, 0, v3, vcc
	v_cmp_ne_u32_e32 vcc, 0, v21
                                        ; implicit-def: $vgpr5
	s_and_saveexec_b64 s[20:21], vcc
	s_xor_b64 s[20:21], exec, s[20:21]
; %bb.4748:                             ;   in Loop: Header=BB4_4148 Depth=2
	v_add_u32_e32 v5, 7, v27
	v_cmp_lt_u64_e32 vcc, s[44:45], v[2:3]
	v_cndmask_b32_e32 v5, v21, v5, vcc
	v_cndmask_b32_e64 v21, 0, 1, vcc
	v_lshrrev_b64 v[2:3], v21, v[2:3]
; %bb.4749:                             ;   in Loop: Header=BB4_4148 Depth=2
	s_andn2_saveexec_b64 s[20:21], s[20:21]
; %bb.4750:                             ;   in Loop: Header=BB4_4148 Depth=2
	v_bfe_u32 v5, v2, 23, 1
; %bb.4751:                             ;   in Loop: Header=BB4_4148 Depth=2
	s_or_b64 exec, exec, s[20:21]
	v_lshrrev_b64 v[2:3], 20, v[2:3]
	v_cmp_gt_i32_e32 vcc, 16, v5
	v_cndmask_b32_e32 v3, 0, v3, vcc
	v_cndmask_b32_e32 v2, 7, v2, vcc
	v_cmp_eq_u64_e64 s[20:21], 0, v[2:3]
	v_min_i32_e32 v3, 15, v5
	v_cmp_eq_u32_e32 vcc, 0, v5
	v_lshlrev_b32_e32 v3, 3, v3
	v_and_or_b32 v2, v2, 7, v3
	s_and_b64 s[20:21], vcc, s[20:21]
	v_cndmask_b32_e64 v2, v2, 0, s[20:21]
	v_or_b32_e32 v5, v2, v10
.LBB4_4752:                             ;   in Loop: Header=BB4_4148 Depth=2
	s_or_b64 exec, exec, s[60:61]
.LBB4_4753:                             ;   in Loop: Header=BB4_4148 Depth=2
	s_or_b64 exec, exec, s[58:59]
                                        ; implicit-def: $vgpr21
                                        ; implicit-def: $vgpr2_vgpr3
.LBB4_4754:                             ;   in Loop: Header=BB4_4148 Depth=2
	s_andn2_saveexec_b64 s[20:21], s[56:57]
; %bb.4755:                             ;   in Loop: Header=BB4_4148 Depth=2
	v_or_b32_sdwa v10, v21, s69 dst_sel:DWORD dst_unused:UNUSED_PAD src0_sel:BYTE_3 src1_sel:DWORD
	v_cmp_eq_u64_e32 vcc, 0, v[2:3]
	v_cndmask_b32_e32 v5, v10, v5, vcc
; %bb.4756:                             ;   in Loop: Header=BB4_4148 Depth=2
	s_or_b64 exec, exec, s[20:21]
	v_lshrrev_b16_e32 v2, 8, v9
	v_cmp_ne_u16_e32 vcc, 0, v2
	v_mov_b32_e32 v3, 0
	v_mov_b32_e32 v21, 0
	s_and_saveexec_b64 s[20:21], vcc
	s_cbranch_execz .LBB4_4762
; %bb.4757:                             ;   in Loop: Header=BB4_4148 Depth=2
	v_cmp_ne_u16_e32 vcc, s71, v2
	v_bfrev_b32_e32 v21, 1
	s_and_saveexec_b64 s[56:57], vcc
	s_cbranch_execz .LBB4_4761
; %bb.4758:                             ;   in Loop: Header=BB4_4148 Depth=2
	v_and_b32_e32 v10, 0x7f, v2
	v_cmp_ne_u32_e32 vcc, s69, v10
	v_mov_b32_e32 v21, 0x7f800001
	s_and_saveexec_b64 s[58:59], vcc
	s_cbranch_execz .LBB4_4760
; %bb.4759:                             ;   in Loop: Header=BB4_4148 Depth=2
	v_and_b32_e32 v21, 7, v2
	v_ffbh_u32_e32 v27, v21
	v_min_u32_e32 v27, 32, v27
	v_subrev_u32_e32 v32, 28, v27
	v_lshlrev_b64 v[32:33], v32, v[2:3]
	v_lshrrev_b32_e32 v25, 3, v10
	v_sub_u32_e32 v2, 29, v27
	v_and_b32_e32 v27, 7, v32
	v_cmp_gt_u32_e32 vcc, 8, v10
	v_cndmask_b32_e32 v2, v25, v2, vcc
	v_cndmask_b32_e32 v10, v21, v27, vcc
	v_lshlrev_b32_e32 v9, 16, v9
	v_bfrev_b32_e32 v21, 60
	v_lshlrev_b32_e32 v10, 20, v10
	v_and_b32_e32 v9, 0x80000000, v9
	v_lshl_add_u32 v2, v2, 23, v21
	v_or3_b32 v21, v9, v2, v10
.LBB4_4760:                             ;   in Loop: Header=BB4_4148 Depth=2
	s_or_b64 exec, exec, s[58:59]
.LBB4_4761:                             ;   in Loop: Header=BB4_4148 Depth=2
	s_or_b64 exec, exec, s[56:57]
.LBB4_4762:                             ;   in Loop: Header=BB4_4148 Depth=2
	s_or_b64 exec, exec, s[20:21]
	v_mov_b32_e32 v2, v13
	v_lshrrev_b16_e32 v10, 8, v2
	v_cmp_ne_u16_e32 vcc, 0, v10
	s_and_saveexec_b64 s[20:21], vcc
	s_cbranch_execz .LBB4_4768
; %bb.4763:                             ;   in Loop: Header=BB4_4148 Depth=2
	v_cmp_ne_u16_e32 vcc, s71, v10
	v_bfrev_b32_e32 v3, 1
	s_and_saveexec_b64 s[56:57], vcc
	s_cbranch_execz .LBB4_4767
; %bb.4764:                             ;   in Loop: Header=BB4_4148 Depth=2
	v_and_b32_e32 v9, 0x7f, v10
	v_cmp_ne_u32_e32 vcc, s69, v9
	v_mov_b32_e32 v3, 0x7f800001
	s_and_saveexec_b64 s[58:59], vcc
	s_cbranch_execz .LBB4_4766
; %bb.4765:                             ;   in Loop: Header=BB4_4148 Depth=2
	v_and_b32_e32 v3, 7, v10
	v_ffbh_u32_e32 v27, v3
	v_min_u32_e32 v27, 32, v27
	v_subrev_u32_e32 v32, 28, v27
	v_lshlrev_b64 v[32:33], v32, v[10:11]
	v_lshrrev_b32_e32 v25, 3, v9
	v_sub_u32_e32 v10, 29, v27
	v_and_b32_e32 v27, 7, v32
	v_cmp_gt_u32_e32 vcc, 8, v9
	v_cndmask_b32_e32 v9, v25, v10, vcc
	v_cndmask_b32_e32 v3, v3, v27, vcc
	v_lshlrev_b32_e32 v2, 16, v2
	v_bfrev_b32_e32 v10, 60
	v_lshlrev_b32_e32 v3, 20, v3
	v_and_b32_e32 v2, 0x80000000, v2
	v_lshl_add_u32 v9, v9, 23, v10
	v_or3_b32 v3, v2, v9, v3
.LBB4_4766:                             ;   in Loop: Header=BB4_4148 Depth=2
	s_or_b64 exec, exec, s[58:59]
.LBB4_4767:                             ;   in Loop: Header=BB4_4148 Depth=2
	s_or_b64 exec, exec, s[56:57]
.LBB4_4768:                             ;   in Loop: Header=BB4_4148 Depth=2
	s_or_b64 exec, exec, s[20:21]
	v_add_f32_e32 v21, v21, v3
	v_and_b32_sdwa v10, v21, s71 dst_sel:DWORD dst_unused:UNUSED_PAD src0_sel:BYTE_3 src1_sel:DWORD
	v_and_b32_e32 v32, 0x7f800000, v21
	v_mov_b32_e32 v33, v37
	v_and_b32_e32 v2, 0x7fffff, v21
	v_mov_b32_e32 v3, v37
	v_or_b32_e32 v9, 0x7e, v10
	v_cmp_ne_u64_e32 vcc, s[38:39], v[32:33]
	s_and_saveexec_b64 s[20:21], vcc
	s_xor_b64 s[56:57], exec, s[20:21]
	s_cbranch_execz .LBB4_4778
; %bb.4769:                             ;   in Loop: Header=BB4_4148 Depth=2
	v_and_b32_e32 v32, 0x7fffffff, v21
	v_mov_b32_e32 v33, v37
	v_cmp_gt_u64_e32 vcc, s[40:41], v[32:33]
	s_and_saveexec_b64 s[58:59], vcc
	s_cbranch_execz .LBB4_4777
; %bb.4770:                             ;   in Loop: Header=BB4_4148 Depth=2
	v_cmp_ne_u32_e32 vcc, 0, v21
	v_mov_b32_e32 v9, 0
	s_and_saveexec_b64 s[60:61], vcc
	s_cbranch_execz .LBB4_4776
; %bb.4771:                             ;   in Loop: Header=BB4_4148 Depth=2
	v_bfe_u32 v9, v21, 23, 8
	v_sub_u32_e32 v25, 0x79, v9
	v_cmp_gt_u32_e32 vcc, s72, v9
	v_add_u32_e32 v21, 0xffffff81, v9
	v_cndmask_b32_e32 v25, 0, v25, vcc
	v_cmp_eq_u32_e32 vcc, 0, v9
	v_mov_b32_e32 v9, 0xffffff82
	v_cndmask_b32_e32 v9, v21, v9, vcc
	v_mov_b32_e32 v21, 0x78
	v_cndmask_b32_e32 v21, v25, v21, vcc
	v_add_u32_e32 v25, 20, v21
	v_or_b32_e32 v27, 0x800000, v2
	v_lshlrev_b64 v[32:33], v25, -1
	v_cndmask_b32_e32 v2, v27, v2, vcc
	v_not_b32_e32 v25, v33
	v_not_b32_e32 v27, v32
	v_and_b32_e32 v33, 0, v25
	v_and_b32_e32 v32, v2, v27
	v_add_u32_e32 v25, 19, v21
	v_lshrrev_b64 v[2:3], v21, v[2:3]
	v_lshlrev_b64 v[34:35], v25, 1
	v_lshrrev_b32_e32 v25, 23, v2
	v_add3_u32 v27, v21, v9, v25
	v_bfe_u32 v9, v2, 20, 1
	v_add_u32_e32 v9, -1, v9
	v_cmp_eq_u64_e32 vcc, v[32:33], v[34:35]
	v_cndmask_b32_e32 v9, 0, v9, vcc
	v_add_u32_e32 v9, v9, v2
	v_and_b32_e32 v9, 0xfffff, v9
	v_add_co_u32_e32 v2, vcc, v9, v2
	v_add_u32_e32 v21, 6, v27
	v_addc_co_u32_e32 v3, vcc, 0, v3, vcc
	v_cmp_ne_u32_e32 vcc, 0, v21
                                        ; implicit-def: $vgpr9
	s_and_saveexec_b64 s[20:21], vcc
	s_xor_b64 s[20:21], exec, s[20:21]
; %bb.4772:                             ;   in Loop: Header=BB4_4148 Depth=2
	v_add_u32_e32 v9, 7, v27
	v_cmp_lt_u64_e32 vcc, s[44:45], v[2:3]
	v_cndmask_b32_e32 v9, v21, v9, vcc
	v_cndmask_b32_e64 v21, 0, 1, vcc
	v_lshrrev_b64 v[2:3], v21, v[2:3]
; %bb.4773:                             ;   in Loop: Header=BB4_4148 Depth=2
	s_andn2_saveexec_b64 s[20:21], s[20:21]
; %bb.4774:                             ;   in Loop: Header=BB4_4148 Depth=2
	v_bfe_u32 v9, v2, 23, 1
; %bb.4775:                             ;   in Loop: Header=BB4_4148 Depth=2
	s_or_b64 exec, exec, s[20:21]
	v_lshrrev_b64 v[2:3], 20, v[2:3]
	v_cmp_gt_i32_e32 vcc, 16, v9
	v_cndmask_b32_e32 v3, 0, v3, vcc
	v_cndmask_b32_e32 v2, 7, v2, vcc
	v_cmp_eq_u64_e64 s[20:21], 0, v[2:3]
	v_min_i32_e32 v3, 15, v9
	v_cmp_eq_u32_e32 vcc, 0, v9
	v_lshlrev_b32_e32 v3, 3, v3
	v_and_or_b32 v2, v2, 7, v3
	s_and_b64 s[20:21], vcc, s[20:21]
	v_cndmask_b32_e64 v2, v2, 0, s[20:21]
	v_or_b32_e32 v9, v2, v10
.LBB4_4776:                             ;   in Loop: Header=BB4_4148 Depth=2
	s_or_b64 exec, exec, s[60:61]
.LBB4_4777:                             ;   in Loop: Header=BB4_4148 Depth=2
	s_or_b64 exec, exec, s[58:59]
                                        ; implicit-def: $vgpr21
                                        ; implicit-def: $vgpr2_vgpr3
.LBB4_4778:                             ;   in Loop: Header=BB4_4148 Depth=2
	s_andn2_saveexec_b64 s[20:21], s[56:57]
; %bb.4779:                             ;   in Loop: Header=BB4_4148 Depth=2
	v_or_b32_sdwa v10, v21, s69 dst_sel:DWORD dst_unused:UNUSED_PAD src0_sel:BYTE_3 src1_sel:DWORD
	v_cmp_eq_u64_e32 vcc, 0, v[2:3]
	v_cndmask_b32_e32 v9, v10, v9, vcc
; %bb.4780:                             ;   in Loop: Header=BB4_4148 Depth=2
	s_or_b64 exec, exec, s[20:21]
	v_lshrrev_b32_e32 v2, 16, v36
	v_cmp_ne_u16_sdwa vcc, v2, v37 src0_sel:BYTE_0 src1_sel:DWORD
	v_mov_b32_e32 v3, 0
	v_mov_b32_e32 v10, 0
	s_and_saveexec_b64 s[20:21], vcc
	s_cbranch_execz .LBB4_4786
; %bb.4781:                             ;   in Loop: Header=BB4_4148 Depth=2
	v_cmp_ne_u16_sdwa vcc, v2, s71 src0_sel:BYTE_0 src1_sel:DWORD
	v_bfrev_b32_e32 v10, 1
	s_and_saveexec_b64 s[56:57], vcc
	s_cbranch_execz .LBB4_4785
; %bb.4782:                             ;   in Loop: Header=BB4_4148 Depth=2
	v_bfe_u32 v21, v36, 16, 7
	v_cmp_ne_u32_e32 vcc, s69, v21
	v_mov_b32_e32 v10, 0x7f800001
	s_and_saveexec_b64 s[58:59], vcc
	s_cbranch_execz .LBB4_4784
; %bb.4783:                             ;   in Loop: Header=BB4_4148 Depth=2
	v_and_b32_e32 v10, 7, v2
	v_ffbh_u32_e32 v27, v10
	v_min_u32_e32 v27, 32, v27
	v_subrev_u32_e32 v32, 28, v27
	v_lshlrev_b64 v[32:33], v32, v[2:3]
	v_lshrrev_b32_e32 v25, 3, v21
	v_sub_u32_e32 v27, 29, v27
	v_and_b32_e32 v32, 7, v32
	v_cmp_gt_u32_e32 vcc, 8, v21
	v_cndmask_b32_e32 v21, v25, v27, vcc
	v_cndmask_b32_e32 v10, v10, v32, vcc
	v_lshlrev_b32_e32 v2, 24, v2
	v_bfrev_b32_e32 v25, 60
	v_lshlrev_b32_e32 v10, 20, v10
	v_and_b32_e32 v2, 0x80000000, v2
	v_lshl_add_u32 v21, v21, 23, v25
	v_or3_b32 v10, v2, v21, v10
.LBB4_4784:                             ;   in Loop: Header=BB4_4148 Depth=2
	s_or_b64 exec, exec, s[58:59]
.LBB4_4785:                             ;   in Loop: Header=BB4_4148 Depth=2
	s_or_b64 exec, exec, s[56:57]
.LBB4_4786:                             ;   in Loop: Header=BB4_4148 Depth=2
	s_or_b64 exec, exec, s[20:21]
	v_lshrrev_b32_e32 v2, 16, v13
	v_cmp_ne_u16_sdwa vcc, v2, v37 src0_sel:BYTE_0 src1_sel:DWORD
	s_and_saveexec_b64 s[20:21], vcc
	s_cbranch_execz .LBB4_4792
; %bb.4787:                             ;   in Loop: Header=BB4_4148 Depth=2
	v_cmp_ne_u16_sdwa vcc, v2, s71 src0_sel:BYTE_0 src1_sel:DWORD
	v_bfrev_b32_e32 v3, 1
	s_and_saveexec_b64 s[56:57], vcc
	s_cbranch_execz .LBB4_4791
; %bb.4788:                             ;   in Loop: Header=BB4_4148 Depth=2
	v_bfe_u32 v21, v13, 16, 7
	v_cmp_ne_u32_e32 vcc, s69, v21
	v_mov_b32_e32 v3, 0x7f800001
	s_and_saveexec_b64 s[58:59], vcc
	s_cbranch_execz .LBB4_4790
; %bb.4789:                             ;   in Loop: Header=BB4_4148 Depth=2
	v_and_b32_e32 v25, 7, v2
	v_ffbh_u32_e32 v3, v25
	v_min_u32_e32 v32, 32, v3
	v_subrev_u32_e32 v3, 28, v32
	v_lshlrev_b64 v[2:3], v3, v[2:3]
	v_lshrrev_b32_e32 v27, 3, v21
	v_sub_u32_e32 v3, 29, v32
	v_and_b32_e32 v2, 7, v2
	v_cmp_gt_u32_e32 vcc, 8, v21
	v_cndmask_b32_e32 v3, v27, v3, vcc
	v_cndmask_b32_e32 v2, v25, v2, vcc
	v_lshlrev_b32_e32 v21, 8, v13
	v_bfrev_b32_e32 v25, 60
	v_lshlrev_b32_e32 v2, 20, v2
	v_and_b32_e32 v21, 0x80000000, v21
	v_lshl_add_u32 v3, v3, 23, v25
	v_or3_b32 v3, v21, v3, v2
.LBB4_4790:                             ;   in Loop: Header=BB4_4148 Depth=2
	s_or_b64 exec, exec, s[58:59]
.LBB4_4791:                             ;   in Loop: Header=BB4_4148 Depth=2
	s_or_b64 exec, exec, s[56:57]
.LBB4_4792:                             ;   in Loop: Header=BB4_4148 Depth=2
	s_or_b64 exec, exec, s[20:21]
	v_add_f32_e32 v27, v10, v3
	v_and_b32_sdwa v21, v27, s71 dst_sel:DWORD dst_unused:UNUSED_PAD src0_sel:BYTE_3 src1_sel:DWORD
	v_and_b32_e32 v32, 0x7f800000, v27
	v_mov_b32_e32 v33, v37
	v_and_b32_e32 v2, 0x7fffff, v27
	v_mov_b32_e32 v3, v37
	v_or_b32_e32 v10, 0x7e, v21
	v_cmp_ne_u64_e32 vcc, s[38:39], v[32:33]
	s_and_saveexec_b64 s[20:21], vcc
	s_xor_b64 s[56:57], exec, s[20:21]
	s_cbranch_execz .LBB4_4802
; %bb.4793:                             ;   in Loop: Header=BB4_4148 Depth=2
	v_and_b32_e32 v32, 0x7fffffff, v27
	v_mov_b32_e32 v33, v37
	v_cmp_gt_u64_e32 vcc, s[40:41], v[32:33]
	s_and_saveexec_b64 s[58:59], vcc
	s_cbranch_execz .LBB4_4801
; %bb.4794:                             ;   in Loop: Header=BB4_4148 Depth=2
	v_cmp_ne_u32_e32 vcc, 0, v27
	v_mov_b32_e32 v10, 0
	s_and_saveexec_b64 s[60:61], vcc
	s_cbranch_execz .LBB4_4800
; %bb.4795:                             ;   in Loop: Header=BB4_4148 Depth=2
	v_bfe_u32 v10, v27, 23, 8
	v_sub_u32_e32 v27, 0x79, v10
	v_cmp_gt_u32_e32 vcc, s72, v10
	v_add_u32_e32 v25, 0xffffff81, v10
	v_cndmask_b32_e32 v27, 0, v27, vcc
	v_cmp_eq_u32_e32 vcc, 0, v10
	v_mov_b32_e32 v10, 0xffffff82
	v_cndmask_b32_e32 v10, v25, v10, vcc
	v_mov_b32_e32 v25, 0x78
	v_cndmask_b32_e32 v25, v27, v25, vcc
	v_or_b32_e32 v32, 0x800000, v2
	v_add_u32_e32 v27, 20, v25
	v_cndmask_b32_e32 v2, v32, v2, vcc
	v_lshlrev_b64 v[32:33], v27, -1
	v_not_b32_e32 v27, v33
	v_not_b32_e32 v32, v32
	v_and_b32_e32 v35, 0, v27
	v_and_b32_e32 v34, v2, v32
	v_add_u32_e32 v27, 19, v25
	v_lshrrev_b64 v[2:3], v25, v[2:3]
	v_lshlrev_b64 v[38:39], v27, 1
	v_lshrrev_b32_e32 v27, 23, v2
	v_add3_u32 v32, v25, v10, v27
	v_bfe_u32 v10, v2, 20, 1
	v_add_u32_e32 v10, -1, v10
	v_cmp_eq_u64_e32 vcc, v[34:35], v[38:39]
	v_cndmask_b32_e32 v10, 0, v10, vcc
	v_add_u32_e32 v10, v10, v2
	v_and_b32_e32 v10, 0xfffff, v10
	v_add_co_u32_e32 v2, vcc, v10, v2
	v_add_u32_e32 v27, 6, v32
	v_addc_co_u32_e32 v3, vcc, 0, v3, vcc
	v_cmp_ne_u32_e32 vcc, 0, v27
                                        ; implicit-def: $vgpr10
	s_and_saveexec_b64 s[20:21], vcc
	s_xor_b64 s[20:21], exec, s[20:21]
; %bb.4796:                             ;   in Loop: Header=BB4_4148 Depth=2
	v_cmp_lt_u64_e32 vcc, s[44:45], v[2:3]
	v_add_u32_e32 v10, 7, v32
	v_cndmask_b32_e64 v25, 0, 1, vcc
	v_cndmask_b32_e32 v10, v27, v10, vcc
	v_lshrrev_b64 v[2:3], v25, v[2:3]
; %bb.4797:                             ;   in Loop: Header=BB4_4148 Depth=2
	s_andn2_saveexec_b64 s[20:21], s[20:21]
; %bb.4798:                             ;   in Loop: Header=BB4_4148 Depth=2
	v_bfe_u32 v10, v2, 23, 1
; %bb.4799:                             ;   in Loop: Header=BB4_4148 Depth=2
	s_or_b64 exec, exec, s[20:21]
	v_lshrrev_b64 v[2:3], 20, v[2:3]
	v_cmp_gt_i32_e32 vcc, 16, v10
	v_cndmask_b32_e32 v3, 0, v3, vcc
	v_cndmask_b32_e32 v2, 7, v2, vcc
	v_cmp_eq_u64_e64 s[20:21], 0, v[2:3]
	v_min_i32_e32 v3, 15, v10
	v_lshlrev_b32_e32 v3, 3, v3
	v_cmp_eq_u32_e32 vcc, 0, v10
	v_and_b32_e32 v3, 0xf8, v3
	v_and_or_b32 v2, v2, 7, v3
	s_and_b64 s[20:21], vcc, s[20:21]
	v_cndmask_b32_e64 v2, v2, 0, s[20:21]
	v_or_b32_e32 v10, v2, v21
.LBB4_4800:                             ;   in Loop: Header=BB4_4148 Depth=2
	s_or_b64 exec, exec, s[60:61]
.LBB4_4801:                             ;   in Loop: Header=BB4_4148 Depth=2
	s_or_b64 exec, exec, s[58:59]
                                        ; implicit-def: $vgpr27
                                        ; implicit-def: $vgpr2_vgpr3
.LBB4_4802:                             ;   in Loop: Header=BB4_4148 Depth=2
	s_andn2_saveexec_b64 s[20:21], s[56:57]
; %bb.4803:                             ;   in Loop: Header=BB4_4148 Depth=2
	v_or_b32_sdwa v21, v27, s69 dst_sel:DWORD dst_unused:UNUSED_PAD src0_sel:BYTE_3 src1_sel:DWORD
	v_cmp_eq_u64_e32 vcc, 0, v[2:3]
	v_cndmask_b32_e32 v10, v21, v10, vcc
; %bb.4804:                             ;   in Loop: Header=BB4_4148 Depth=2
	s_or_b64 exec, exec, s[20:21]
	v_cmp_lt_u32_e32 vcc, s43, v36
	v_mov_b32_e32 v3, 0
	v_mov_b32_e32 v21, 0
	s_and_saveexec_b64 s[20:21], vcc
	s_cbranch_execz .LBB4_4810
; %bb.4805:                             ;   in Loop: Header=BB4_4148 Depth=2
	v_lshrrev_b32_e32 v2, 24, v36
	v_cmp_ne_u32_sdwa vcc, v36, s71 src0_sel:BYTE_3 src1_sel:DWORD
	v_bfrev_b32_e32 v21, 1
	s_and_saveexec_b64 s[56:57], vcc
	s_cbranch_execz .LBB4_4809
; %bb.4806:                             ;   in Loop: Header=BB4_4148 Depth=2
	v_bfe_u32 v27, v36, 24, 7
	v_cmp_ne_u32_e32 vcc, s69, v27
	v_mov_b32_e32 v21, 0x7f800001
	s_and_saveexec_b64 s[58:59], vcc
	s_cbranch_execz .LBB4_4808
; %bb.4807:                             ;   in Loop: Header=BB4_4148 Depth=2
	v_and_b32_e32 v21, 7, v2
	v_ffbh_u32_e32 v32, v21
	v_min_u32_e32 v34, 32, v32
	v_subrev_u32_e32 v32, 28, v34
	v_lshrrev_b32_e32 v25, 3, v27
	v_lshlrev_b64 v[32:33], v32, v[2:3]
	v_sub_u32_e32 v2, 29, v34
	v_cmp_gt_u32_e32 vcc, 8, v27
	v_and_b32_e32 v32, 7, v32
	v_cndmask_b32_e32 v2, v25, v2, vcc
	v_mov_b32_e32 v25, 24
	v_cndmask_b32_e32 v21, v21, v32, vcc
	v_lshlrev_b32_sdwa v25, v25, v36 dst_sel:DWORD dst_unused:UNUSED_PAD src0_sel:DWORD src1_sel:BYTE_3
	v_bfrev_b32_e32 v27, 60
	v_lshlrev_b32_e32 v21, 20, v21
	v_and_b32_e32 v25, 0x80000000, v25
	v_lshl_add_u32 v2, v2, 23, v27
	v_or3_b32 v21, v25, v2, v21
.LBB4_4808:                             ;   in Loop: Header=BB4_4148 Depth=2
	s_or_b64 exec, exec, s[58:59]
.LBB4_4809:                             ;   in Loop: Header=BB4_4148 Depth=2
	s_or_b64 exec, exec, s[56:57]
.LBB4_4810:                             ;   in Loop: Header=BB4_4148 Depth=2
	s_or_b64 exec, exec, s[20:21]
	v_cmp_lt_u64_e32 vcc, s[42:43], v[12:13]
	s_and_saveexec_b64 s[20:21], vcc
	s_cbranch_execz .LBB4_4816
; %bb.4811:                             ;   in Loop: Header=BB4_4148 Depth=2
	v_lshrrev_b32_e32 v2, 24, v13
	v_cmp_ne_u32_e32 vcc, s71, v2
	v_bfrev_b32_e32 v3, 1
	s_and_saveexec_b64 s[56:57], vcc
	s_cbranch_execz .LBB4_4815
; %bb.4812:                             ;   in Loop: Header=BB4_4148 Depth=2
	v_bfe_u32 v12, v13, 24, 7
	v_cmp_ne_u32_e32 vcc, s69, v12
	v_mov_b32_e32 v3, 0x7f800001
	s_and_saveexec_b64 s[58:59], vcc
	s_cbranch_execz .LBB4_4814
; %bb.4813:                             ;   in Loop: Header=BB4_4148 Depth=2
	v_and_b32_e32 v3, 7, v2
	v_ffbh_u32_e32 v25, v3
	v_min_u32_e32 v25, 32, v25
	v_subrev_u32_e32 v27, 28, v25
	v_lshlrev_b64 v[32:33], v27, v[2:3]
	v_lshrrev_b32_e32 v13, 3, v12
	v_sub_u32_e32 v25, 29, v25
	v_and_b32_e32 v27, 7, v32
	v_cmp_gt_u32_e32 vcc, 8, v12
	v_cndmask_b32_e32 v12, v13, v25, vcc
	v_cndmask_b32_e32 v3, v3, v27, vcc
	v_lshlrev_b32_e32 v2, 24, v2
	v_bfrev_b32_e32 v13, 60
	v_lshlrev_b32_e32 v3, 20, v3
	v_and_b32_e32 v2, 0x80000000, v2
	v_lshl_add_u32 v12, v12, 23, v13
	v_or3_b32 v3, v2, v12, v3
.LBB4_4814:                             ;   in Loop: Header=BB4_4148 Depth=2
	s_or_b64 exec, exec, s[58:59]
.LBB4_4815:                             ;   in Loop: Header=BB4_4148 Depth=2
	s_or_b64 exec, exec, s[56:57]
.LBB4_4816:                             ;   in Loop: Header=BB4_4148 Depth=2
	s_or_b64 exec, exec, s[20:21]
	v_add_f32_e32 v3, v21, v3
	v_and_b32_sdwa v12, v3, s71 dst_sel:DWORD dst_unused:UNUSED_PAD src0_sel:BYTE_3 src1_sel:DWORD
	v_and_b32_e32 v32, 0x7f800000, v3
	v_mov_b32_e32 v33, v37
	v_and_b32_e32 v36, 0x7fffff, v3
	v_or_b32_e32 v2, 0x7e, v12
	v_cmp_ne_u64_e32 vcc, s[38:39], v[32:33]
	s_and_saveexec_b64 s[20:21], vcc
	s_xor_b64 s[56:57], exec, s[20:21]
	s_cbranch_execz .LBB4_4826
; %bb.4817:                             ;   in Loop: Header=BB4_4148 Depth=2
	v_and_b32_e32 v32, 0x7fffffff, v3
	v_mov_b32_e32 v33, v37
	v_cmp_gt_u64_e32 vcc, s[40:41], v[32:33]
	s_and_saveexec_b64 s[58:59], vcc
	s_cbranch_execz .LBB4_4825
; %bb.4818:                             ;   in Loop: Header=BB4_4148 Depth=2
	v_cmp_ne_u32_e32 vcc, 0, v3
	v_mov_b32_e32 v2, 0
	s_and_saveexec_b64 s[60:61], vcc
	s_cbranch_execz .LBB4_4824
; %bb.4819:                             ;   in Loop: Header=BB4_4148 Depth=2
	v_bfe_u32 v2, v3, 23, 8
	v_sub_u32_e32 v13, 0x79, v2
	v_cmp_gt_u32_e32 vcc, s72, v2
	v_add_u32_e32 v3, 0xffffff81, v2
	v_cndmask_b32_e32 v13, 0, v13, vcc
	v_cmp_eq_u32_e32 vcc, 0, v2
	v_mov_b32_e32 v2, 0xffffff82
	v_cndmask_b32_e32 v25, v3, v2, vcc
	v_mov_b32_e32 v2, 0x78
	v_or_b32_e32 v21, 0x800000, v36
	v_cndmask_b32_e32 v13, v13, v2, vcc
	v_cndmask_b32_e32 v36, v21, v36, vcc
	v_add_u32_e32 v2, 20, v13
	v_lshlrev_b64 v[2:3], v2, -1
	v_add_u32_e32 v21, 19, v13
	v_lshrrev_b64 v[34:35], v13, v[36:37]
	v_not_b32_e32 v3, v3
	v_not_b32_e32 v2, v2
	v_lshlrev_b64 v[32:33], v21, 1
	v_lshrrev_b32_e32 v21, 23, v34
	v_and_b32_e32 v3, 0, v3
	v_and_b32_e32 v2, v36, v2
	v_add3_u32 v27, v13, v25, v21
	v_bfe_u32 v13, v34, 20, 1
	v_add_u32_e32 v13, -1, v13
	v_cmp_eq_u64_e32 vcc, v[2:3], v[32:33]
	v_cndmask_b32_e32 v2, 0, v13, vcc
	v_add_u32_e32 v2, v2, v34
	v_and_b32_e32 v2, 0xfffff, v2
	v_add_co_u32_e32 v2, vcc, v2, v34
	v_add_u32_e32 v21, 6, v27
	v_addc_co_u32_e32 v3, vcc, 0, v35, vcc
	v_cmp_ne_u32_e32 vcc, 0, v21
                                        ; implicit-def: $vgpr13
	s_and_saveexec_b64 s[20:21], vcc
	s_xor_b64 s[20:21], exec, s[20:21]
; %bb.4820:                             ;   in Loop: Header=BB4_4148 Depth=2
	v_add_u32_e32 v13, 7, v27
	v_cmp_lt_u64_e32 vcc, s[44:45], v[2:3]
	v_cndmask_b32_e32 v13, v21, v13, vcc
	v_cndmask_b32_e64 v21, 0, 1, vcc
	v_lshrrev_b64 v[2:3], v21, v[2:3]
; %bb.4821:                             ;   in Loop: Header=BB4_4148 Depth=2
	s_andn2_saveexec_b64 s[20:21], s[20:21]
; %bb.4822:                             ;   in Loop: Header=BB4_4148 Depth=2
	v_bfe_u32 v13, v2, 23, 1
; %bb.4823:                             ;   in Loop: Header=BB4_4148 Depth=2
	s_or_b64 exec, exec, s[20:21]
	v_lshrrev_b64 v[2:3], 20, v[2:3]
	v_cmp_gt_i32_e32 vcc, 16, v13
	v_cndmask_b32_e32 v3, 0, v3, vcc
	v_cndmask_b32_e32 v2, 7, v2, vcc
	v_cmp_eq_u64_e64 s[20:21], 0, v[2:3]
	v_min_i32_e32 v3, 15, v13
	v_lshlrev_b32_e32 v3, 3, v3
	v_cmp_eq_u32_e32 vcc, 0, v13
	v_and_b32_e32 v3, 0xf8, v3
	v_and_or_b32 v2, v2, 7, v3
	s_and_b64 s[20:21], vcc, s[20:21]
	v_cndmask_b32_e64 v2, v2, 0, s[20:21]
	v_or_b32_e32 v2, v2, v12
.LBB4_4824:                             ;   in Loop: Header=BB4_4148 Depth=2
	s_or_b64 exec, exec, s[60:61]
.LBB4_4825:                             ;   in Loop: Header=BB4_4148 Depth=2
	s_or_b64 exec, exec, s[58:59]
                                        ; implicit-def: $vgpr3
.LBB4_4826:                             ;   in Loop: Header=BB4_4148 Depth=2
	s_andn2_saveexec_b64 s[20:21], s[56:57]
	s_cbranch_execz .LBB4_4147
; %bb.4827:                             ;   in Loop: Header=BB4_4148 Depth=2
	v_or_b32_sdwa v3, v3, s69 dst_sel:DWORD dst_unused:UNUSED_PAD src0_sel:BYTE_3 src1_sel:DWORD
	v_cmp_eq_u64_e32 vcc, 0, v[36:37]
	v_cndmask_b32_e32 v2, v3, v2, vcc
	s_branch .LBB4_4147
.LBB4_4828:                             ;   in Loop: Header=BB4_2718 Depth=1
	s_or_b64 exec, exec, s[54:55]
	v_accvgpr_read_b32 v54, a19
	v_bfrev_b32_e32 v55, 60
	v_mov_b32_e32 v40, v58
	v_mov_b32_e32 v41, v57
.LBB4_4829:                             ;   in Loop: Header=BB4_2718 Depth=1
	s_or_b64 exec, exec, s[52:53]
	v_and_b32_e32 v3, 15, v41
	v_cndmask_b32_e64 v5, v19, v3, s[18:19]
	v_cmp_ne_u32_e32 vcc, 0, v5
	s_mov_b64 s[20:21], 0
	v_mov_b32_e32 v4, 0
                                        ; implicit-def: $vgpr6
                                        ; implicit-def: $vgpr2
	s_and_saveexec_b64 s[52:53], vcc
	s_cbranch_execz .LBB4_4831
; %bb.4830:                             ;   in Loop: Header=BB4_2718 Depth=1
	v_sub_u32_e32 v3, v19, v3
	v_and_b32_e32 v2, 0x3ffffc00, v41
	v_cndmask_b32_e64 v3, 0, v3, s[18:19]
	v_cmp_lt_i32_e32 vcc, 0, v1
	v_add_u32_e32 v4, v3, v2
	v_cndmask_b32_e32 v2, 0, v52, vcc
	v_sub_u32_e32 v1, v2, v1
	v_lshl_add_u32 v6, v1, 6, v0
	v_ashrrev_i32_e32 v0, 31, v6
	v_lshrrev_b32_e32 v0, 26, v0
	v_add_u32_e32 v0, v6, v0
	s_mov_b64 s[20:21], exec
	v_ashrrev_i32_e32 v2, 6, v0
.LBB4_4831:                             ;   in Loop: Header=BB4_2718 Depth=1
	s_or_b64 exec, exec, s[52:53]
	s_and_b64 s[18:19], s[20:21], exec
.LBB4_4832:                             ;   in Loop: Header=BB4_2718 Depth=1
	s_or_b64 exec, exec, s[50:51]
	v_accvgpr_read_b32 v50, a26
	v_accvgpr_read_b32 v52, a32
	;; [unrolled: 1-line block ×3, first 2 shown]
	s_and_saveexec_b64 s[20:21], s[18:19]
	s_cbranch_execz .LBB4_5301
.LBB4_4833:                             ;   in Loop: Header=BB4_2718 Depth=1
	v_ashrrev_i32_e32 v0, 31, v5
	v_lshrrev_b32_e32 v0, 23, v0
	v_add_u32_e32 v0, v5, v0
	v_ashrrev_i32_e32 v7, 9, v0
	v_sub_u32_e32 v0, v7, v2
	v_ashrrev_i32_e32 v1, 31, v6
	v_cmp_lt_i32_e32 vcc, 0, v0
	v_lshrrev_b32_e32 v1, 26, v1
	s_and_saveexec_b64 s[50:51], vcc
	s_cbranch_execz .LBB4_5242
; %bb.4834:                             ;   in Loop: Header=BB4_2718 Depth=1
	s_trap 2
	ds_read_b128 v[8:11], v0
	ds_read_b64 v[12:13], v0
	v_add_u32_e32 v3, v6, v1
	v_and_b32_e32 v3, 0xffffffc0, v3
	v_sub_u32_e32 v3, v6, v3
	v_lshlrev_b32_e32 v2, 9, v2
	v_add3_u32 v14, v4, v3, v2
	v_ashrrev_i32_e32 v15, 31, v14
	s_waitcnt lgkmcnt(0)
	v_add_co_u32_e32 v2, vcc, v8, v14
	v_addc_co_u32_e32 v3, vcc, v9, v15, vcc
	v_add_co_u32_e32 v10, vcc, v10, v14
	v_addc_co_u32_e32 v11, vcc, v11, v15, vcc
	s_waitcnt lgkmcnt(0)
	v_add_co_u32_e32 v8, vcc, 0x1c0, v12
	v_addc_co_u32_e32 v9, vcc, 0, v13, vcc
	v_add_co_u32_e32 v12, vcc, v8, v14
	v_addc_co_u32_e32 v13, vcc, v9, v15, vcc
	s_mov_b64 s[52:53], 0
	s_branch .LBB4_4836
.LBB4_4835:                             ;   in Loop: Header=BB4_4836 Depth=2
	s_or_b64 exec, exec, s[18:19]
	v_add_co_u32_e32 v14, vcc, 0xfffffe40, v12
	v_addc_co_u32_e32 v15, vcc, -1, v13, vcc
	flat_store_byte v[14:15], v9 glc slc
	v_add_co_u32_e32 v14, vcc, 0xfffffe80, v12
	v_addc_co_u32_e32 v15, vcc, -1, v13, vcc
	flat_store_byte v[14:15], v22 glc slc
	;; [unrolled: 3-line block ×6, first 2 shown]
	v_add_co_u32_e32 v14, vcc, s67, v12
	v_addc_co_u32_e32 v15, vcc, -1, v13, vcc
	v_add_co_u32_e32 v2, vcc, v2, v54
	v_addc_co_u32_e32 v3, vcc, v3, v46, vcc
	v_add_co_u32_e32 v10, vcc, v10, v54
	v_addc_co_u32_e32 v11, vcc, v11, v46, vcc
	v_sub_u32_e32 v0, v0, v50
	v_cmp_gt_i32_e32 vcc, 1, v0
	flat_store_byte v[14:15], v16 glc slc
	flat_store_byte v[12:13], v8 glc slc
	s_or_b64 s[52:53], vcc, s[52:53]
	v_add_co_u32_e32 v12, vcc, v12, v54
	v_addc_co_u32_e32 v13, vcc, v13, v46, vcc
	s_andn2_b64 exec, exec, s[52:53]
	s_cbranch_execz .LBB4_5241
.LBB4_4836:                             ;   Parent Loop BB4_2718 Depth=1
                                        ; =>  This Inner Loop Header: Depth=2
	s_trap 2
	ds_read_b64 v[14:15], v0
	s_waitcnt lgkmcnt(0)
	v_cmp_eq_u16_sdwa vcc, v14, v37 src0_sel:BYTE_0 src1_sel:DWORD
	v_readfirstlane_b32 s18, v14
	v_readfirstlane_b32 s19, v15
	s_and_b64 vcc, exec, vcc
	s_cbranch_vccnz .LBB4_4840
; %bb.4837:                             ;   in Loop: Header=BB4_4836 Depth=2
	v_cmp_eq_u32_sdwa vcc, v14, s71 src0_sel:BYTE_0 src1_sel:DWORD
	s_and_b64 vcc, exec, vcc
	s_brev_b32 s60, 1
	s_cbranch_vccnz .LBB4_4841
; %bb.4838:                             ;   in Loop: Header=BB4_4836 Depth=2
	s_and_b32 vcc_lo, s18, 0x7f
	s_cmpk_eq_i32 vcc_lo, 0x7f
	s_mov_b32 s60, 0x7f800001
	s_cbranch_scc1 .LBB4_4841
; %bb.4839:                             ;   in Loop: Header=BB4_4836 Depth=2
	s_and_b32 vcc_hi, s18, 7
	s_flbit_i32_b32 vcc_hi, vcc_hi
	s_min_u32 vcc_hi, vcc_hi, 32
	s_lshr_b32 s54, vcc_lo, 3
	s_sub_i32 s55, vcc_hi, 28
	s_sub_i32 vcc_hi, 29, vcc_hi
	s_cmp_lt_u32 vcc_lo, 8
	s_cselect_b32 vcc_lo, s55, 0
	s_cselect_b32 s54, vcc_hi, s54
	s_lshl_b64 vcc, s[18:19], vcc_lo
	s_lshl_b32 s19, vcc_lo, 20
	s_lshl_b32 s18, s18, 24
	s_lshl_b32 vcc_lo, s54, 23
	s_and_b32 s18, s18, 0x80000000
	s_add_i32 vcc_lo, vcc_lo, 0x3c000000
	s_and_b32 s19, s19, 0x700000
	s_or_b32 s18, s18, vcc_lo
	s_or_b32 s60, s18, s19
	s_branch .LBB4_4841
.LBB4_4840:                             ;   in Loop: Header=BB4_4836 Depth=2
	s_mov_b32 s60, 0
.LBB4_4841:                             ;   in Loop: Header=BB4_4836 Depth=2
	flat_load_ubyte v8, v[2:3] glc slc
	v_mov_b32_e32 v9, 0
	s_waitcnt vmcnt(0) lgkmcnt(0)
	v_cmp_ne_u16_e32 vcc, 0, v8
	s_and_saveexec_b64 s[18:19], vcc
	s_cbranch_execz .LBB4_4847
; %bb.4842:                             ;   in Loop: Header=BB4_4836 Depth=2
	v_cmp_ne_u16_e32 vcc, s71, v8
	v_bfrev_b32_e32 v9, 1
	s_and_saveexec_b64 s[54:55], vcc
	s_cbranch_execz .LBB4_4846
; %bb.4843:                             ;   in Loop: Header=BB4_4836 Depth=2
	v_and_b32_e32 v14, 0xffff, v8
	v_and_b32_e32 v15, 0x7f, v14
	v_cmp_ne_u32_e32 vcc, s69, v15
	v_mov_b32_e32 v9, 0x7f800001
	s_and_saveexec_b64 s[56:57], vcc
	s_cbranch_execz .LBB4_4845
; %bb.4844:                             ;   in Loop: Header=BB4_4836 Depth=2
	v_and_b32_e32 v9, 7, v14
	v_ffbh_u32_e32 v16, v9
	v_min_u32_e32 v19, 32, v16
	v_subrev_u32_e32 v16, 28, v19
	v_lshlrev_b64 v[16:17], v16, v[14:15]
	v_lshrrev_b32_e32 v18, 3, v15
	v_sub_u32_e32 v14, 29, v19
	v_and_b32_e32 v16, 7, v16
	v_cmp_gt_u32_e32 vcc, 8, v15
	v_cndmask_b32_e32 v14, v18, v14, vcc
	v_cndmask_b32_e32 v9, v9, v16, vcc
	v_lshlrev_b32_e32 v8, 24, v8
	v_lshlrev_b32_e32 v9, 20, v9
	v_and_b32_e32 v8, 0x80000000, v8
	v_lshl_add_u32 v14, v14, 23, v55
	v_or3_b32 v9, v8, v14, v9
.LBB4_4845:                             ;   in Loop: Header=BB4_4836 Depth=2
	s_or_b64 exec, exec, s[56:57]
.LBB4_4846:                             ;   in Loop: Header=BB4_4836 Depth=2
	s_or_b64 exec, exec, s[54:55]
.LBB4_4847:                             ;   in Loop: Header=BB4_4836 Depth=2
	s_or_b64 exec, exec, s[18:19]
	v_mul_f32_e32 v14, s60, v9
	v_and_b32_sdwa v8, v14, s71 dst_sel:DWORD dst_unused:UNUSED_PAD src0_sel:BYTE_3 src1_sel:DWORD
	v_and_b32_e32 v16, 0x7f800000, v14
	v_mov_b32_e32 v17, v37
	v_and_b32_e32 v36, 0x7fffff, v14
	v_or_b32_e32 v9, 0x7e, v8
	v_cmp_ne_u64_e32 vcc, s[38:39], v[16:17]
	s_and_saveexec_b64 s[18:19], vcc
	s_xor_b64 s[54:55], exec, s[18:19]
	s_cbranch_execz .LBB4_4861
; %bb.4848:                             ;   in Loop: Header=BB4_4836 Depth=2
	v_and_b32_e32 v16, 0x7fffffff, v14
	v_mov_b32_e32 v17, v37
	v_cmp_gt_u64_e32 vcc, s[40:41], v[16:17]
	s_and_saveexec_b64 s[18:19], vcc
	s_xor_b64 s[56:57], exec, s[18:19]
	s_cbranch_execz .LBB4_4860
; %bb.4849:                             ;   in Loop: Header=BB4_4836 Depth=2
	v_cmp_ne_u32_e32 vcc, 0, v14
	v_mov_b32_e32 v9, 0
	s_and_saveexec_b64 s[58:59], vcc
	s_cbranch_execz .LBB4_4859
; %bb.4850:                             ;   in Loop: Header=BB4_4836 Depth=2
	v_bfe_u32 v9, v14, 23, 8
	v_sub_u32_e32 v15, 0x79, v9
	v_cmp_gt_u32_e32 vcc, s72, v9
	v_add_u32_e32 v14, 0xffffff81, v9
	v_cndmask_b32_e32 v15, 0, v15, vcc
	v_cmp_eq_u32_e32 vcc, 0, v9
	v_mov_b32_e32 v9, 0xffffff82
	v_cndmask_b32_e32 v9, v14, v9, vcc
	v_mov_b32_e32 v14, 0x78
	v_or_b32_e32 v16, 0x800000, v36
	v_cndmask_b32_e32 v17, v15, v14, vcc
	v_cndmask_b32_e32 v36, v16, v36, vcc
	v_add_u32_e32 v14, 20, v17
	v_lshlrev_b64 v[14:15], v14, -1
	v_add_u32_e32 v16, 19, v17
	v_lshrrev_b64 v[20:21], v17, v[36:37]
	v_not_b32_e32 v15, v15
	v_not_b32_e32 v14, v14
	v_lshlrev_b64 v[18:19], v16, 1
	v_lshrrev_b32_e32 v16, 23, v20
	v_and_b32_e32 v15, 0, v15
	v_and_b32_e32 v14, v36, v14
	v_add3_u32 v17, v17, v9, v16
	v_bfe_u32 v16, v20, 20, 1
	v_add_u32_e32 v16, -1, v16
	v_cmp_eq_u64_e32 vcc, v[14:15], v[18:19]
	v_cndmask_b32_e32 v14, 0, v16, vcc
	v_add_u32_e32 v14, v14, v20
	v_and_b32_e32 v14, 0xfffff, v14
	v_add_co_u32_e32 v14, vcc, v14, v20
	v_add_u32_e32 v9, 6, v17
	v_addc_co_u32_e32 v15, vcc, 0, v21, vcc
	v_cmp_ne_u32_e32 vcc, 0, v9
                                        ; implicit-def: $vgpr16
	s_and_saveexec_b64 s[18:19], vcc
	s_xor_b64 s[18:19], exec, s[18:19]
; %bb.4851:                             ;   in Loop: Header=BB4_4836 Depth=2
	v_add_u32_e32 v16, 7, v17
	v_cmp_lt_u64_e32 vcc, s[44:45], v[14:15]
	v_cndmask_b32_e32 v16, v9, v16, vcc
	v_cndmask_b32_e64 v9, 0, 1, vcc
	v_lshrrev_b64 v[14:15], v9, v[14:15]
; %bb.4852:                             ;   in Loop: Header=BB4_4836 Depth=2
	s_andn2_saveexec_b64 s[18:19], s[18:19]
; %bb.4853:                             ;   in Loop: Header=BB4_4836 Depth=2
	v_bfe_u32 v16, v14, 23, 1
; %bb.4854:                             ;   in Loop: Header=BB4_4836 Depth=2
	s_or_b64 exec, exec, s[18:19]
	v_lshrrev_b64 v[14:15], 20, v[14:15]
	v_cmp_gt_i32_e32 vcc, 16, v16
	v_cndmask_b32_e32 v15, 0, v15, vcc
	v_cndmask_b32_e32 v14, 7, v14, vcc
	v_cmp_ne_u32_e32 vcc, 0, v16
	v_cmp_ne_u64_e64 s[18:19], 0, v[14:15]
	s_or_b64 s[18:19], vcc, s[18:19]
                                        ; implicit-def: $vgpr9
	s_and_saveexec_b64 vcc, s[18:19]
	s_xor_b64 s[18:19], exec, vcc
; %bb.4855:                             ;   in Loop: Header=BB4_4836 Depth=2
	v_min_i32_e32 v9, 15, v16
	v_lshl_or_b32 v8, v9, 3, v8
	v_and_or_b32 v9, v14, 7, v8
                                        ; implicit-def: $vgpr8
; %bb.4856:                             ;   in Loop: Header=BB4_4836 Depth=2
	s_andn2_saveexec_b64 s[18:19], s[18:19]
; %bb.4857:                             ;   in Loop: Header=BB4_4836 Depth=2
	v_mov_b32_e32 v9, v8
; %bb.4858:                             ;   in Loop: Header=BB4_4836 Depth=2
	s_or_b64 exec, exec, s[18:19]
.LBB4_4859:                             ;   in Loop: Header=BB4_4836 Depth=2
	s_or_b64 exec, exec, s[58:59]
.LBB4_4860:                             ;   in Loop: Header=BB4_4836 Depth=2
	s_andn2_saveexec_b64 s[18:19], s[56:57]
	s_or_b64 exec, exec, s[18:19]
                                        ; implicit-def: $vgpr14
.LBB4_4861:                             ;   in Loop: Header=BB4_4836 Depth=2
	s_andn2_saveexec_b64 s[18:19], s[54:55]
; %bb.4862:                             ;   in Loop: Header=BB4_4836 Depth=2
	v_or_b32_sdwa v8, v14, s69 dst_sel:DWORD dst_unused:UNUSED_PAD src0_sel:BYTE_3 src1_sel:DWORD
	v_cmp_eq_u64_e32 vcc, 0, v[36:37]
	v_cndmask_b32_e32 v9, v8, v9, vcc
; %bb.4863:                             ;   in Loop: Header=BB4_4836 Depth=2
	s_or_b64 exec, exec, s[18:19]
	flat_load_ubyte v8, v[2:3] offset:64 glc slc
	v_mov_b32_e32 v15, 0
	s_waitcnt vmcnt(0) lgkmcnt(0)
	v_cmp_ne_u16_e32 vcc, 0, v8
	s_and_saveexec_b64 s[18:19], vcc
	s_cbranch_execz .LBB4_4869
; %bb.4864:                             ;   in Loop: Header=BB4_4836 Depth=2
	v_cmp_ne_u16_e32 vcc, s71, v8
	v_bfrev_b32_e32 v15, 1
	s_and_saveexec_b64 s[54:55], vcc
	s_cbranch_execz .LBB4_4868
; %bb.4865:                             ;   in Loop: Header=BB4_4836 Depth=2
	v_and_b32_e32 v14, 0xffff, v8
	v_and_b32_e32 v16, 0x7f, v14
	v_cmp_ne_u32_e32 vcc, s69, v16
	v_mov_b32_e32 v15, 0x7f800001
	s_and_saveexec_b64 s[56:57], vcc
	s_cbranch_execz .LBB4_4867
; %bb.4866:                             ;   in Loop: Header=BB4_4836 Depth=2
	v_and_b32_e32 v17, 7, v14
	v_ffbh_u32_e32 v15, v17
	v_min_u32_e32 v19, 32, v15
	v_subrev_u32_e32 v15, 28, v19
	v_lshlrev_b64 v[14:15], v15, v[14:15]
	v_lshrrev_b32_e32 v18, 3, v16
	v_sub_u32_e32 v15, 29, v19
	v_and_b32_e32 v14, 7, v14
	v_cmp_gt_u32_e32 vcc, 8, v16
	v_cndmask_b32_e32 v15, v18, v15, vcc
	v_cndmask_b32_e32 v14, v17, v14, vcc
	v_lshlrev_b32_e32 v8, 24, v8
	v_lshlrev_b32_e32 v14, 20, v14
	v_and_b32_e32 v8, 0x80000000, v8
	v_lshl_add_u32 v15, v15, 23, v55
	v_or3_b32 v15, v8, v15, v14
.LBB4_4867:                             ;   in Loop: Header=BB4_4836 Depth=2
	s_or_b64 exec, exec, s[56:57]
.LBB4_4868:                             ;   in Loop: Header=BB4_4836 Depth=2
	s_or_b64 exec, exec, s[54:55]
.LBB4_4869:                             ;   in Loop: Header=BB4_4836 Depth=2
	s_or_b64 exec, exec, s[18:19]
	v_mul_f32_e32 v14, s60, v15
	v_and_b32_sdwa v8, v14, s71 dst_sel:DWORD dst_unused:UNUSED_PAD src0_sel:BYTE_3 src1_sel:DWORD
	v_and_b32_e32 v16, 0x7f800000, v14
	v_mov_b32_e32 v17, v37
	v_and_b32_e32 v36, 0x7fffff, v14
	v_or_b32_e32 v22, 0x7e, v8
	v_cmp_ne_u64_e32 vcc, s[38:39], v[16:17]
	s_and_saveexec_b64 s[18:19], vcc
	s_xor_b64 s[54:55], exec, s[18:19]
	s_cbranch_execz .LBB4_4883
; %bb.4870:                             ;   in Loop: Header=BB4_4836 Depth=2
	v_and_b32_e32 v16, 0x7fffffff, v14
	v_mov_b32_e32 v17, v37
	v_cmp_gt_u64_e32 vcc, s[40:41], v[16:17]
	s_and_saveexec_b64 s[18:19], vcc
	s_xor_b64 s[56:57], exec, s[18:19]
	s_cbranch_execz .LBB4_4882
; %bb.4871:                             ;   in Loop: Header=BB4_4836 Depth=2
	v_cmp_ne_u32_e32 vcc, 0, v14
	v_mov_b32_e32 v22, 0
	s_and_saveexec_b64 s[58:59], vcc
	s_cbranch_execz .LBB4_4881
; %bb.4872:                             ;   in Loop: Header=BB4_4836 Depth=2
	v_bfe_u32 v14, v14, 23, 8
	v_sub_u32_e32 v16, 0x79, v14
	v_cmp_gt_u32_e32 vcc, s72, v14
	v_add_u32_e32 v15, 0xffffff81, v14
	v_cndmask_b32_e32 v16, 0, v16, vcc
	v_cmp_eq_u32_e32 vcc, 0, v14
	v_mov_b32_e32 v14, 0xffffff82
	v_cndmask_b32_e32 v18, v15, v14, vcc
	v_mov_b32_e32 v14, 0x78
	v_or_b32_e32 v17, 0x800000, v36
	v_cndmask_b32_e32 v16, v16, v14, vcc
	v_cndmask_b32_e32 v36, v17, v36, vcc
	v_add_u32_e32 v14, 20, v16
	v_lshlrev_b64 v[14:15], v14, -1
	v_add_u32_e32 v17, 19, v16
	v_lshrrev_b64 v[22:23], v16, v[36:37]
	v_not_b32_e32 v15, v15
	v_not_b32_e32 v14, v14
	v_lshlrev_b64 v[20:21], v17, 1
	v_lshrrev_b32_e32 v17, 23, v22
	v_and_b32_e32 v15, 0, v15
	v_and_b32_e32 v14, v36, v14
	v_add3_u32 v18, v16, v18, v17
	v_bfe_u32 v16, v22, 20, 1
	v_add_u32_e32 v16, -1, v16
	v_cmp_eq_u64_e32 vcc, v[14:15], v[20:21]
	v_cndmask_b32_e32 v14, 0, v16, vcc
	v_add_u32_e32 v14, v14, v22
	v_and_b32_e32 v14, 0xfffff, v14
	v_add_co_u32_e32 v14, vcc, v14, v22
	v_add_u32_e32 v17, 6, v18
	v_addc_co_u32_e32 v15, vcc, 0, v23, vcc
	v_cmp_ne_u32_e32 vcc, 0, v17
                                        ; implicit-def: $vgpr16
	s_and_saveexec_b64 s[18:19], vcc
	s_xor_b64 s[18:19], exec, s[18:19]
; %bb.4873:                             ;   in Loop: Header=BB4_4836 Depth=2
	v_add_u32_e32 v16, 7, v18
	v_cmp_lt_u64_e32 vcc, s[44:45], v[14:15]
	v_cndmask_b32_e32 v16, v17, v16, vcc
	v_cndmask_b32_e64 v17, 0, 1, vcc
	v_lshrrev_b64 v[14:15], v17, v[14:15]
; %bb.4874:                             ;   in Loop: Header=BB4_4836 Depth=2
	s_andn2_saveexec_b64 s[18:19], s[18:19]
; %bb.4875:                             ;   in Loop: Header=BB4_4836 Depth=2
	v_bfe_u32 v16, v14, 23, 1
; %bb.4876:                             ;   in Loop: Header=BB4_4836 Depth=2
	s_or_b64 exec, exec, s[18:19]
	v_lshrrev_b64 v[14:15], 20, v[14:15]
	v_cmp_gt_i32_e32 vcc, 16, v16
	v_cndmask_b32_e32 v15, 0, v15, vcc
	v_cndmask_b32_e32 v14, 7, v14, vcc
	v_cmp_ne_u32_e32 vcc, 0, v16
	v_cmp_ne_u64_e64 s[18:19], 0, v[14:15]
	s_or_b64 s[18:19], vcc, s[18:19]
                                        ; implicit-def: $vgpr22
	s_and_saveexec_b64 vcc, s[18:19]
	s_xor_b64 s[18:19], exec, vcc
; %bb.4877:                             ;   in Loop: Header=BB4_4836 Depth=2
	v_min_i32_e32 v15, 15, v16
	v_lshl_or_b32 v8, v15, 3, v8
	v_and_or_b32 v22, v14, 7, v8
                                        ; implicit-def: $vgpr8
; %bb.4878:                             ;   in Loop: Header=BB4_4836 Depth=2
	s_andn2_saveexec_b64 s[18:19], s[18:19]
; %bb.4879:                             ;   in Loop: Header=BB4_4836 Depth=2
	v_mov_b32_e32 v22, v8
; %bb.4880:                             ;   in Loop: Header=BB4_4836 Depth=2
	s_or_b64 exec, exec, s[18:19]
.LBB4_4881:                             ;   in Loop: Header=BB4_4836 Depth=2
	s_or_b64 exec, exec, s[58:59]
.LBB4_4882:                             ;   in Loop: Header=BB4_4836 Depth=2
	s_andn2_saveexec_b64 s[18:19], s[56:57]
	s_or_b64 exec, exec, s[18:19]
                                        ; implicit-def: $vgpr14
.LBB4_4883:                             ;   in Loop: Header=BB4_4836 Depth=2
	s_andn2_saveexec_b64 s[18:19], s[54:55]
; %bb.4884:                             ;   in Loop: Header=BB4_4836 Depth=2
	v_or_b32_sdwa v8, v14, s69 dst_sel:DWORD dst_unused:UNUSED_PAD src0_sel:BYTE_3 src1_sel:DWORD
	v_cmp_eq_u64_e32 vcc, 0, v[36:37]
	v_cndmask_b32_e32 v22, v8, v22, vcc
; %bb.4885:                             ;   in Loop: Header=BB4_4836 Depth=2
	s_or_b64 exec, exec, s[18:19]
	flat_load_ubyte v8, v[2:3] offset:128 glc slc
	v_mov_b32_e32 v15, 0
	s_waitcnt vmcnt(0) lgkmcnt(0)
	v_cmp_ne_u16_e32 vcc, 0, v8
	s_and_saveexec_b64 s[18:19], vcc
	s_cbranch_execz .LBB4_4891
; %bb.4886:                             ;   in Loop: Header=BB4_4836 Depth=2
	v_cmp_ne_u16_e32 vcc, s71, v8
	v_bfrev_b32_e32 v15, 1
	s_and_saveexec_b64 s[54:55], vcc
	s_cbranch_execz .LBB4_4890
; %bb.4887:                             ;   in Loop: Header=BB4_4836 Depth=2
	v_and_b32_e32 v14, 0xffff, v8
	v_and_b32_e32 v16, 0x7f, v14
	v_cmp_ne_u32_e32 vcc, s69, v16
	v_mov_b32_e32 v15, 0x7f800001
	s_and_saveexec_b64 s[56:57], vcc
	s_cbranch_execz .LBB4_4889
; %bb.4888:                             ;   in Loop: Header=BB4_4836 Depth=2
	v_and_b32_e32 v17, 7, v14
	v_ffbh_u32_e32 v15, v17
	v_min_u32_e32 v19, 32, v15
	v_subrev_u32_e32 v15, 28, v19
	v_lshlrev_b64 v[14:15], v15, v[14:15]
	v_lshrrev_b32_e32 v18, 3, v16
	v_sub_u32_e32 v15, 29, v19
	v_and_b32_e32 v14, 7, v14
	v_cmp_gt_u32_e32 vcc, 8, v16
	v_cndmask_b32_e32 v15, v18, v15, vcc
	v_cndmask_b32_e32 v14, v17, v14, vcc
	v_lshlrev_b32_e32 v8, 24, v8
	v_lshlrev_b32_e32 v14, 20, v14
	v_and_b32_e32 v8, 0x80000000, v8
	v_lshl_add_u32 v15, v15, 23, v55
	v_or3_b32 v15, v8, v15, v14
.LBB4_4889:                             ;   in Loop: Header=BB4_4836 Depth=2
	s_or_b64 exec, exec, s[56:57]
.LBB4_4890:                             ;   in Loop: Header=BB4_4836 Depth=2
	s_or_b64 exec, exec, s[54:55]
.LBB4_4891:                             ;   in Loop: Header=BB4_4836 Depth=2
	s_or_b64 exec, exec, s[18:19]
	v_mul_f32_e32 v14, s60, v15
	v_and_b32_sdwa v8, v14, s71 dst_sel:DWORD dst_unused:UNUSED_PAD src0_sel:BYTE_3 src1_sel:DWORD
	v_and_b32_e32 v16, 0x7f800000, v14
	v_mov_b32_e32 v17, v37
	v_and_b32_e32 v36, 0x7fffff, v14
	v_or_b32_e32 v21, 0x7e, v8
	v_cmp_ne_u64_e32 vcc, s[38:39], v[16:17]
	s_and_saveexec_b64 s[18:19], vcc
	s_xor_b64 s[54:55], exec, s[18:19]
	s_cbranch_execz .LBB4_4905
; %bb.4892:                             ;   in Loop: Header=BB4_4836 Depth=2
	v_and_b32_e32 v16, 0x7fffffff, v14
	v_mov_b32_e32 v17, v37
	v_cmp_gt_u64_e32 vcc, s[40:41], v[16:17]
	s_and_saveexec_b64 s[18:19], vcc
	s_xor_b64 s[56:57], exec, s[18:19]
	s_cbranch_execz .LBB4_4904
; %bb.4893:                             ;   in Loop: Header=BB4_4836 Depth=2
	v_cmp_ne_u32_e32 vcc, 0, v14
	v_mov_b32_e32 v21, 0
	s_and_saveexec_b64 s[58:59], vcc
	s_cbranch_execz .LBB4_4903
; %bb.4894:                             ;   in Loop: Header=BB4_4836 Depth=2
	v_bfe_u32 v14, v14, 23, 8
	v_sub_u32_e32 v16, 0x79, v14
	v_cmp_gt_u32_e32 vcc, s72, v14
	v_add_u32_e32 v15, 0xffffff81, v14
	v_cndmask_b32_e32 v16, 0, v16, vcc
	v_cmp_eq_u32_e32 vcc, 0, v14
	v_mov_b32_e32 v14, 0xffffff82
	v_cndmask_b32_e32 v18, v15, v14, vcc
	v_mov_b32_e32 v14, 0x78
	v_or_b32_e32 v17, 0x800000, v36
	v_cndmask_b32_e32 v16, v16, v14, vcc
	v_cndmask_b32_e32 v36, v17, v36, vcc
	v_add_u32_e32 v14, 20, v16
	v_lshlrev_b64 v[14:15], v14, -1
	v_add_u32_e32 v17, 19, v16
	v_lshrrev_b64 v[24:25], v16, v[36:37]
	v_not_b32_e32 v15, v15
	v_not_b32_e32 v14, v14
	v_lshlrev_b64 v[20:21], v17, 1
	v_lshrrev_b32_e32 v17, 23, v24
	v_and_b32_e32 v15, 0, v15
	v_and_b32_e32 v14, v36, v14
	v_add3_u32 v18, v16, v18, v17
	v_bfe_u32 v16, v24, 20, 1
	v_add_u32_e32 v16, -1, v16
	v_cmp_eq_u64_e32 vcc, v[14:15], v[20:21]
	v_cndmask_b32_e32 v14, 0, v16, vcc
	v_add_u32_e32 v14, v14, v24
	v_and_b32_e32 v14, 0xfffff, v14
	v_add_co_u32_e32 v14, vcc, v14, v24
	v_add_u32_e32 v17, 6, v18
	v_addc_co_u32_e32 v15, vcc, 0, v25, vcc
	v_cmp_ne_u32_e32 vcc, 0, v17
                                        ; implicit-def: $vgpr16
	s_and_saveexec_b64 s[18:19], vcc
	s_xor_b64 s[18:19], exec, s[18:19]
; %bb.4895:                             ;   in Loop: Header=BB4_4836 Depth=2
	v_add_u32_e32 v16, 7, v18
	v_cmp_lt_u64_e32 vcc, s[44:45], v[14:15]
	v_cndmask_b32_e32 v16, v17, v16, vcc
	v_cndmask_b32_e64 v17, 0, 1, vcc
	v_lshrrev_b64 v[14:15], v17, v[14:15]
; %bb.4896:                             ;   in Loop: Header=BB4_4836 Depth=2
	s_andn2_saveexec_b64 s[18:19], s[18:19]
; %bb.4897:                             ;   in Loop: Header=BB4_4836 Depth=2
	v_bfe_u32 v16, v14, 23, 1
; %bb.4898:                             ;   in Loop: Header=BB4_4836 Depth=2
	s_or_b64 exec, exec, s[18:19]
	v_lshrrev_b64 v[14:15], 20, v[14:15]
	v_cmp_gt_i32_e32 vcc, 16, v16
	v_cndmask_b32_e32 v15, 0, v15, vcc
	v_cndmask_b32_e32 v14, 7, v14, vcc
	v_cmp_ne_u32_e32 vcc, 0, v16
	v_cmp_ne_u64_e64 s[18:19], 0, v[14:15]
	s_or_b64 s[18:19], vcc, s[18:19]
                                        ; implicit-def: $vgpr21
	s_and_saveexec_b64 vcc, s[18:19]
	s_xor_b64 s[18:19], exec, vcc
; %bb.4899:                             ;   in Loop: Header=BB4_4836 Depth=2
	v_min_i32_e32 v15, 15, v16
	v_lshl_or_b32 v8, v15, 3, v8
	v_and_or_b32 v21, v14, 7, v8
                                        ; implicit-def: $vgpr8
; %bb.4900:                             ;   in Loop: Header=BB4_4836 Depth=2
	s_andn2_saveexec_b64 s[18:19], s[18:19]
; %bb.4901:                             ;   in Loop: Header=BB4_4836 Depth=2
	v_mov_b32_e32 v21, v8
; %bb.4902:                             ;   in Loop: Header=BB4_4836 Depth=2
	s_or_b64 exec, exec, s[18:19]
.LBB4_4903:                             ;   in Loop: Header=BB4_4836 Depth=2
	s_or_b64 exec, exec, s[58:59]
.LBB4_4904:                             ;   in Loop: Header=BB4_4836 Depth=2
	s_andn2_saveexec_b64 s[18:19], s[56:57]
	s_or_b64 exec, exec, s[18:19]
                                        ; implicit-def: $vgpr14
.LBB4_4905:                             ;   in Loop: Header=BB4_4836 Depth=2
	s_andn2_saveexec_b64 s[18:19], s[54:55]
; %bb.4906:                             ;   in Loop: Header=BB4_4836 Depth=2
	v_or_b32_sdwa v8, v14, s69 dst_sel:DWORD dst_unused:UNUSED_PAD src0_sel:BYTE_3 src1_sel:DWORD
	v_cmp_eq_u64_e32 vcc, 0, v[36:37]
	v_cndmask_b32_e32 v21, v8, v21, vcc
; %bb.4907:                             ;   in Loop: Header=BB4_4836 Depth=2
	s_or_b64 exec, exec, s[18:19]
	flat_load_ubyte v8, v[2:3] offset:192 glc slc
	v_mov_b32_e32 v15, 0
	s_waitcnt vmcnt(0) lgkmcnt(0)
	v_cmp_ne_u16_e32 vcc, 0, v8
	s_and_saveexec_b64 s[18:19], vcc
	s_cbranch_execz .LBB4_4913
; %bb.4908:                             ;   in Loop: Header=BB4_4836 Depth=2
	v_cmp_ne_u16_e32 vcc, s71, v8
	v_bfrev_b32_e32 v15, 1
	s_and_saveexec_b64 s[54:55], vcc
	s_cbranch_execz .LBB4_4912
; %bb.4909:                             ;   in Loop: Header=BB4_4836 Depth=2
	v_and_b32_e32 v14, 0xffff, v8
	v_and_b32_e32 v16, 0x7f, v14
	v_cmp_ne_u32_e32 vcc, s69, v16
	v_mov_b32_e32 v15, 0x7f800001
	s_and_saveexec_b64 s[56:57], vcc
	s_cbranch_execz .LBB4_4911
; %bb.4910:                             ;   in Loop: Header=BB4_4836 Depth=2
	v_and_b32_e32 v17, 7, v14
	v_ffbh_u32_e32 v15, v17
	v_min_u32_e32 v19, 32, v15
	v_subrev_u32_e32 v15, 28, v19
	v_lshlrev_b64 v[14:15], v15, v[14:15]
	v_lshrrev_b32_e32 v18, 3, v16
	v_sub_u32_e32 v15, 29, v19
	v_and_b32_e32 v14, 7, v14
	v_cmp_gt_u32_e32 vcc, 8, v16
	v_cndmask_b32_e32 v15, v18, v15, vcc
	v_cndmask_b32_e32 v14, v17, v14, vcc
	v_lshlrev_b32_e32 v8, 24, v8
	v_lshlrev_b32_e32 v14, 20, v14
	v_and_b32_e32 v8, 0x80000000, v8
	v_lshl_add_u32 v15, v15, 23, v55
	v_or3_b32 v15, v8, v15, v14
.LBB4_4911:                             ;   in Loop: Header=BB4_4836 Depth=2
	s_or_b64 exec, exec, s[56:57]
.LBB4_4912:                             ;   in Loop: Header=BB4_4836 Depth=2
	s_or_b64 exec, exec, s[54:55]
.LBB4_4913:                             ;   in Loop: Header=BB4_4836 Depth=2
	s_or_b64 exec, exec, s[18:19]
	v_mul_f32_e32 v14, s60, v15
	v_and_b32_sdwa v8, v14, s71 dst_sel:DWORD dst_unused:UNUSED_PAD src0_sel:BYTE_3 src1_sel:DWORD
	v_and_b32_e32 v16, 0x7f800000, v14
	v_mov_b32_e32 v17, v37
	v_and_b32_e32 v36, 0x7fffff, v14
	v_or_b32_e32 v20, 0x7e, v8
	v_cmp_ne_u64_e32 vcc, s[38:39], v[16:17]
	s_and_saveexec_b64 s[18:19], vcc
	s_xor_b64 s[54:55], exec, s[18:19]
	s_cbranch_execz .LBB4_4927
; %bb.4914:                             ;   in Loop: Header=BB4_4836 Depth=2
	v_and_b32_e32 v16, 0x7fffffff, v14
	v_mov_b32_e32 v17, v37
	v_cmp_gt_u64_e32 vcc, s[40:41], v[16:17]
	s_and_saveexec_b64 s[18:19], vcc
	s_xor_b64 s[56:57], exec, s[18:19]
	s_cbranch_execz .LBB4_4926
; %bb.4915:                             ;   in Loop: Header=BB4_4836 Depth=2
	v_cmp_ne_u32_e32 vcc, 0, v14
	v_mov_b32_e32 v20, 0
	s_and_saveexec_b64 s[58:59], vcc
	s_cbranch_execz .LBB4_4925
; %bb.4916:                             ;   in Loop: Header=BB4_4836 Depth=2
	v_bfe_u32 v14, v14, 23, 8
	v_sub_u32_e32 v16, 0x79, v14
	v_cmp_gt_u32_e32 vcc, s72, v14
	v_add_u32_e32 v15, 0xffffff81, v14
	v_cndmask_b32_e32 v16, 0, v16, vcc
	v_cmp_eq_u32_e32 vcc, 0, v14
	v_mov_b32_e32 v14, 0xffffff82
	v_cndmask_b32_e32 v18, v15, v14, vcc
	v_mov_b32_e32 v14, 0x78
	v_or_b32_e32 v17, 0x800000, v36
	v_cndmask_b32_e32 v16, v16, v14, vcc
	v_cndmask_b32_e32 v36, v17, v36, vcc
	v_add_u32_e32 v14, 20, v16
	v_lshlrev_b64 v[14:15], v14, -1
	v_add_u32_e32 v17, 19, v16
	v_lshrrev_b64 v[26:27], v16, v[36:37]
	v_not_b32_e32 v15, v15
	v_not_b32_e32 v14, v14
	v_lshlrev_b64 v[24:25], v17, 1
	v_lshrrev_b32_e32 v17, 23, v26
	v_and_b32_e32 v15, 0, v15
	v_and_b32_e32 v14, v36, v14
	v_add3_u32 v18, v16, v18, v17
	v_bfe_u32 v16, v26, 20, 1
	v_add_u32_e32 v16, -1, v16
	v_cmp_eq_u64_e32 vcc, v[14:15], v[24:25]
	v_cndmask_b32_e32 v14, 0, v16, vcc
	v_add_u32_e32 v14, v14, v26
	v_and_b32_e32 v14, 0xfffff, v14
	v_add_co_u32_e32 v14, vcc, v14, v26
	v_add_u32_e32 v17, 6, v18
	v_addc_co_u32_e32 v15, vcc, 0, v27, vcc
	v_cmp_ne_u32_e32 vcc, 0, v17
                                        ; implicit-def: $vgpr16
	s_and_saveexec_b64 s[18:19], vcc
	s_xor_b64 s[18:19], exec, s[18:19]
; %bb.4917:                             ;   in Loop: Header=BB4_4836 Depth=2
	v_add_u32_e32 v16, 7, v18
	v_cmp_lt_u64_e32 vcc, s[44:45], v[14:15]
	v_cndmask_b32_e32 v16, v17, v16, vcc
	v_cndmask_b32_e64 v17, 0, 1, vcc
	v_lshrrev_b64 v[14:15], v17, v[14:15]
; %bb.4918:                             ;   in Loop: Header=BB4_4836 Depth=2
	s_andn2_saveexec_b64 s[18:19], s[18:19]
; %bb.4919:                             ;   in Loop: Header=BB4_4836 Depth=2
	v_bfe_u32 v16, v14, 23, 1
; %bb.4920:                             ;   in Loop: Header=BB4_4836 Depth=2
	s_or_b64 exec, exec, s[18:19]
	v_lshrrev_b64 v[14:15], 20, v[14:15]
	v_cmp_gt_i32_e32 vcc, 16, v16
	v_cndmask_b32_e32 v15, 0, v15, vcc
	v_cndmask_b32_e32 v14, 7, v14, vcc
	v_cmp_ne_u32_e32 vcc, 0, v16
	v_cmp_ne_u64_e64 s[18:19], 0, v[14:15]
	s_or_b64 s[18:19], vcc, s[18:19]
                                        ; implicit-def: $vgpr20
	s_and_saveexec_b64 vcc, s[18:19]
	s_xor_b64 s[18:19], exec, vcc
; %bb.4921:                             ;   in Loop: Header=BB4_4836 Depth=2
	v_min_i32_e32 v15, 15, v16
	v_lshl_or_b32 v8, v15, 3, v8
	v_and_or_b32 v20, v14, 7, v8
                                        ; implicit-def: $vgpr8
; %bb.4922:                             ;   in Loop: Header=BB4_4836 Depth=2
	s_andn2_saveexec_b64 s[18:19], s[18:19]
; %bb.4923:                             ;   in Loop: Header=BB4_4836 Depth=2
	v_mov_b32_e32 v20, v8
; %bb.4924:                             ;   in Loop: Header=BB4_4836 Depth=2
	s_or_b64 exec, exec, s[18:19]
.LBB4_4925:                             ;   in Loop: Header=BB4_4836 Depth=2
	s_or_b64 exec, exec, s[58:59]
.LBB4_4926:                             ;   in Loop: Header=BB4_4836 Depth=2
	s_andn2_saveexec_b64 s[18:19], s[56:57]
	s_or_b64 exec, exec, s[18:19]
                                        ; implicit-def: $vgpr14
.LBB4_4927:                             ;   in Loop: Header=BB4_4836 Depth=2
	s_andn2_saveexec_b64 s[18:19], s[54:55]
; %bb.4928:                             ;   in Loop: Header=BB4_4836 Depth=2
	v_or_b32_sdwa v8, v14, s69 dst_sel:DWORD dst_unused:UNUSED_PAD src0_sel:BYTE_3 src1_sel:DWORD
	v_cmp_eq_u64_e32 vcc, 0, v[36:37]
	v_cndmask_b32_e32 v20, v8, v20, vcc
; %bb.4929:                             ;   in Loop: Header=BB4_4836 Depth=2
	s_or_b64 exec, exec, s[18:19]
	flat_load_ubyte v8, v[2:3] offset:256 glc slc
	v_mov_b32_e32 v15, 0
	s_waitcnt vmcnt(0) lgkmcnt(0)
	v_cmp_ne_u16_e32 vcc, 0, v8
	s_and_saveexec_b64 s[18:19], vcc
	s_cbranch_execz .LBB4_4935
; %bb.4930:                             ;   in Loop: Header=BB4_4836 Depth=2
	v_cmp_ne_u16_e32 vcc, s71, v8
	v_bfrev_b32_e32 v15, 1
	s_and_saveexec_b64 s[54:55], vcc
	s_cbranch_execz .LBB4_4934
; %bb.4931:                             ;   in Loop: Header=BB4_4836 Depth=2
	v_and_b32_e32 v14, 0xffff, v8
	v_and_b32_e32 v16, 0x7f, v14
	v_cmp_ne_u32_e32 vcc, s69, v16
	v_mov_b32_e32 v15, 0x7f800001
	s_and_saveexec_b64 s[56:57], vcc
	s_cbranch_execz .LBB4_4933
; %bb.4932:                             ;   in Loop: Header=BB4_4836 Depth=2
	v_and_b32_e32 v17, 7, v14
	v_ffbh_u32_e32 v15, v17
	v_min_u32_e32 v19, 32, v15
	v_subrev_u32_e32 v15, 28, v19
	v_lshlrev_b64 v[14:15], v15, v[14:15]
	v_lshrrev_b32_e32 v18, 3, v16
	v_sub_u32_e32 v15, 29, v19
	v_and_b32_e32 v14, 7, v14
	v_cmp_gt_u32_e32 vcc, 8, v16
	v_cndmask_b32_e32 v15, v18, v15, vcc
	v_cndmask_b32_e32 v14, v17, v14, vcc
	v_lshlrev_b32_e32 v8, 24, v8
	v_lshlrev_b32_e32 v14, 20, v14
	v_and_b32_e32 v8, 0x80000000, v8
	v_lshl_add_u32 v15, v15, 23, v55
	v_or3_b32 v15, v8, v15, v14
.LBB4_4933:                             ;   in Loop: Header=BB4_4836 Depth=2
	s_or_b64 exec, exec, s[56:57]
.LBB4_4934:                             ;   in Loop: Header=BB4_4836 Depth=2
	s_or_b64 exec, exec, s[54:55]
.LBB4_4935:                             ;   in Loop: Header=BB4_4836 Depth=2
	s_or_b64 exec, exec, s[18:19]
	v_mul_f32_e32 v14, s60, v15
	v_and_b32_sdwa v8, v14, s71 dst_sel:DWORD dst_unused:UNUSED_PAD src0_sel:BYTE_3 src1_sel:DWORD
	v_and_b32_e32 v16, 0x7f800000, v14
	v_mov_b32_e32 v17, v37
	v_and_b32_e32 v36, 0x7fffff, v14
	v_or_b32_e32 v19, 0x7e, v8
	v_cmp_ne_u64_e32 vcc, s[38:39], v[16:17]
	s_and_saveexec_b64 s[18:19], vcc
	s_xor_b64 s[54:55], exec, s[18:19]
	s_cbranch_execz .LBB4_4949
; %bb.4936:                             ;   in Loop: Header=BB4_4836 Depth=2
	v_and_b32_e32 v16, 0x7fffffff, v14
	v_mov_b32_e32 v17, v37
	v_cmp_gt_u64_e32 vcc, s[40:41], v[16:17]
	s_and_saveexec_b64 s[18:19], vcc
	s_xor_b64 s[56:57], exec, s[18:19]
	s_cbranch_execz .LBB4_4948
; %bb.4937:                             ;   in Loop: Header=BB4_4836 Depth=2
	v_cmp_ne_u32_e32 vcc, 0, v14
	v_mov_b32_e32 v19, 0
	s_and_saveexec_b64 s[58:59], vcc
	s_cbranch_execz .LBB4_4947
; %bb.4938:                             ;   in Loop: Header=BB4_4836 Depth=2
	v_bfe_u32 v14, v14, 23, 8
	v_sub_u32_e32 v16, 0x79, v14
	v_cmp_gt_u32_e32 vcc, s72, v14
	v_add_u32_e32 v15, 0xffffff81, v14
	v_cndmask_b32_e32 v16, 0, v16, vcc
	v_cmp_eq_u32_e32 vcc, 0, v14
	v_mov_b32_e32 v14, 0xffffff82
	v_cndmask_b32_e32 v18, v15, v14, vcc
	v_mov_b32_e32 v14, 0x78
	v_or_b32_e32 v17, 0x800000, v36
	v_cndmask_b32_e32 v16, v16, v14, vcc
	v_cndmask_b32_e32 v36, v17, v36, vcc
	v_add_u32_e32 v14, 20, v16
	v_lshlrev_b64 v[14:15], v14, -1
	v_add_u32_e32 v17, 19, v16
	v_lshrrev_b64 v[26:27], v16, v[36:37]
	v_not_b32_e32 v15, v15
	v_not_b32_e32 v14, v14
	v_lshlrev_b64 v[24:25], v17, 1
	v_lshrrev_b32_e32 v17, 23, v26
	v_and_b32_e32 v15, 0, v15
	v_and_b32_e32 v14, v36, v14
	v_add3_u32 v18, v16, v18, v17
	v_bfe_u32 v16, v26, 20, 1
	v_add_u32_e32 v16, -1, v16
	v_cmp_eq_u64_e32 vcc, v[14:15], v[24:25]
	v_cndmask_b32_e32 v14, 0, v16, vcc
	v_add_u32_e32 v14, v14, v26
	v_and_b32_e32 v14, 0xfffff, v14
	v_add_co_u32_e32 v14, vcc, v14, v26
	v_add_u32_e32 v17, 6, v18
	v_addc_co_u32_e32 v15, vcc, 0, v27, vcc
	v_cmp_ne_u32_e32 vcc, 0, v17
                                        ; implicit-def: $vgpr16
	s_and_saveexec_b64 s[18:19], vcc
	s_xor_b64 s[18:19], exec, s[18:19]
; %bb.4939:                             ;   in Loop: Header=BB4_4836 Depth=2
	v_add_u32_e32 v16, 7, v18
	v_cmp_lt_u64_e32 vcc, s[44:45], v[14:15]
	v_cndmask_b32_e32 v16, v17, v16, vcc
	v_cndmask_b32_e64 v17, 0, 1, vcc
	v_lshrrev_b64 v[14:15], v17, v[14:15]
; %bb.4940:                             ;   in Loop: Header=BB4_4836 Depth=2
	s_andn2_saveexec_b64 s[18:19], s[18:19]
; %bb.4941:                             ;   in Loop: Header=BB4_4836 Depth=2
	v_bfe_u32 v16, v14, 23, 1
; %bb.4942:                             ;   in Loop: Header=BB4_4836 Depth=2
	s_or_b64 exec, exec, s[18:19]
	v_lshrrev_b64 v[14:15], 20, v[14:15]
	v_cmp_gt_i32_e32 vcc, 16, v16
	v_cndmask_b32_e32 v15, 0, v15, vcc
	v_cndmask_b32_e32 v14, 7, v14, vcc
	v_cmp_ne_u32_e32 vcc, 0, v16
	v_cmp_ne_u64_e64 s[18:19], 0, v[14:15]
	s_or_b64 s[18:19], vcc, s[18:19]
                                        ; implicit-def: $vgpr19
	s_and_saveexec_b64 vcc, s[18:19]
	s_xor_b64 s[18:19], exec, vcc
; %bb.4943:                             ;   in Loop: Header=BB4_4836 Depth=2
	v_min_i32_e32 v15, 15, v16
	v_lshl_or_b32 v8, v15, 3, v8
	v_and_or_b32 v19, v14, 7, v8
                                        ; implicit-def: $vgpr8
; %bb.4944:                             ;   in Loop: Header=BB4_4836 Depth=2
	s_andn2_saveexec_b64 s[18:19], s[18:19]
; %bb.4945:                             ;   in Loop: Header=BB4_4836 Depth=2
	v_mov_b32_e32 v19, v8
; %bb.4946:                             ;   in Loop: Header=BB4_4836 Depth=2
	s_or_b64 exec, exec, s[18:19]
.LBB4_4947:                             ;   in Loop: Header=BB4_4836 Depth=2
	s_or_b64 exec, exec, s[58:59]
.LBB4_4948:                             ;   in Loop: Header=BB4_4836 Depth=2
	s_andn2_saveexec_b64 s[18:19], s[56:57]
	s_or_b64 exec, exec, s[18:19]
                                        ; implicit-def: $vgpr14
.LBB4_4949:                             ;   in Loop: Header=BB4_4836 Depth=2
	s_andn2_saveexec_b64 s[18:19], s[54:55]
; %bb.4950:                             ;   in Loop: Header=BB4_4836 Depth=2
	v_or_b32_sdwa v8, v14, s69 dst_sel:DWORD dst_unused:UNUSED_PAD src0_sel:BYTE_3 src1_sel:DWORD
	v_cmp_eq_u64_e32 vcc, 0, v[36:37]
	v_cndmask_b32_e32 v19, v8, v19, vcc
; %bb.4951:                             ;   in Loop: Header=BB4_4836 Depth=2
	s_or_b64 exec, exec, s[18:19]
	flat_load_ubyte v8, v[2:3] offset:320 glc slc
	v_mov_b32_e32 v15, 0
	s_waitcnt vmcnt(0) lgkmcnt(0)
	v_cmp_ne_u16_e32 vcc, 0, v8
	s_and_saveexec_b64 s[18:19], vcc
	s_cbranch_execz .LBB4_4957
; %bb.4952:                             ;   in Loop: Header=BB4_4836 Depth=2
	v_cmp_ne_u16_e32 vcc, s71, v8
	v_bfrev_b32_e32 v15, 1
	s_and_saveexec_b64 s[54:55], vcc
	s_cbranch_execz .LBB4_4956
; %bb.4953:                             ;   in Loop: Header=BB4_4836 Depth=2
	v_and_b32_e32 v14, 0xffff, v8
	v_and_b32_e32 v16, 0x7f, v14
	v_cmp_ne_u32_e32 vcc, s69, v16
	v_mov_b32_e32 v15, 0x7f800001
	s_and_saveexec_b64 s[56:57], vcc
	s_cbranch_execz .LBB4_4955
; %bb.4954:                             ;   in Loop: Header=BB4_4836 Depth=2
	v_and_b32_e32 v17, 7, v14
	v_ffbh_u32_e32 v15, v17
	v_min_u32_e32 v23, 32, v15
	v_subrev_u32_e32 v15, 28, v23
	v_lshlrev_b64 v[14:15], v15, v[14:15]
	v_lshrrev_b32_e32 v18, 3, v16
	v_sub_u32_e32 v15, 29, v23
	v_and_b32_e32 v14, 7, v14
	v_cmp_gt_u32_e32 vcc, 8, v16
	v_cndmask_b32_e32 v15, v18, v15, vcc
	v_cndmask_b32_e32 v14, v17, v14, vcc
	v_lshlrev_b32_e32 v8, 24, v8
	v_lshlrev_b32_e32 v14, 20, v14
	v_and_b32_e32 v8, 0x80000000, v8
	v_lshl_add_u32 v15, v15, 23, v55
	v_or3_b32 v15, v8, v15, v14
.LBB4_4955:                             ;   in Loop: Header=BB4_4836 Depth=2
	s_or_b64 exec, exec, s[56:57]
.LBB4_4956:                             ;   in Loop: Header=BB4_4836 Depth=2
	s_or_b64 exec, exec, s[54:55]
.LBB4_4957:                             ;   in Loop: Header=BB4_4836 Depth=2
	s_or_b64 exec, exec, s[18:19]
	v_mul_f32_e32 v14, s60, v15
	v_and_b32_sdwa v8, v14, s71 dst_sel:DWORD dst_unused:UNUSED_PAD src0_sel:BYTE_3 src1_sel:DWORD
	v_and_b32_e32 v16, 0x7f800000, v14
	v_mov_b32_e32 v17, v37
	v_and_b32_e32 v36, 0x7fffff, v14
	v_or_b32_e32 v18, 0x7e, v8
	v_cmp_ne_u64_e32 vcc, s[38:39], v[16:17]
	s_and_saveexec_b64 s[18:19], vcc
	s_xor_b64 s[54:55], exec, s[18:19]
	s_cbranch_execz .LBB4_4971
; %bb.4958:                             ;   in Loop: Header=BB4_4836 Depth=2
	v_and_b32_e32 v16, 0x7fffffff, v14
	v_mov_b32_e32 v17, v37
	v_cmp_gt_u64_e32 vcc, s[40:41], v[16:17]
	s_and_saveexec_b64 s[18:19], vcc
	s_xor_b64 s[56:57], exec, s[18:19]
	s_cbranch_execz .LBB4_4970
; %bb.4959:                             ;   in Loop: Header=BB4_4836 Depth=2
	v_cmp_ne_u32_e32 vcc, 0, v14
	v_mov_b32_e32 v18, 0
	s_and_saveexec_b64 s[58:59], vcc
	s_cbranch_execz .LBB4_4969
; %bb.4960:                             ;   in Loop: Header=BB4_4836 Depth=2
	v_bfe_u32 v14, v14, 23, 8
	v_sub_u32_e32 v16, 0x79, v14
	v_cmp_gt_u32_e32 vcc, s72, v14
	v_add_u32_e32 v15, 0xffffff81, v14
	v_cndmask_b32_e32 v16, 0, v16, vcc
	v_cmp_eq_u32_e32 vcc, 0, v14
	v_mov_b32_e32 v14, 0xffffff82
	v_cndmask_b32_e32 v18, v15, v14, vcc
	v_mov_b32_e32 v14, 0x78
	v_or_b32_e32 v17, 0x800000, v36
	v_cndmask_b32_e32 v16, v16, v14, vcc
	v_cndmask_b32_e32 v36, v17, v36, vcc
	v_add_u32_e32 v14, 20, v16
	v_lshlrev_b64 v[14:15], v14, -1
	v_add_u32_e32 v17, 19, v16
	v_lshrrev_b64 v[26:27], v16, v[36:37]
	v_not_b32_e32 v15, v15
	v_not_b32_e32 v14, v14
	v_lshlrev_b64 v[24:25], v17, 1
	v_lshrrev_b32_e32 v17, 23, v26
	v_and_b32_e32 v15, 0, v15
	v_and_b32_e32 v14, v36, v14
	v_add3_u32 v18, v16, v18, v17
	v_bfe_u32 v16, v26, 20, 1
	v_add_u32_e32 v16, -1, v16
	v_cmp_eq_u64_e32 vcc, v[14:15], v[24:25]
	v_cndmask_b32_e32 v14, 0, v16, vcc
	v_add_u32_e32 v14, v14, v26
	v_and_b32_e32 v14, 0xfffff, v14
	v_add_co_u32_e32 v14, vcc, v14, v26
	v_add_u32_e32 v17, 6, v18
	v_addc_co_u32_e32 v15, vcc, 0, v27, vcc
	v_cmp_ne_u32_e32 vcc, 0, v17
                                        ; implicit-def: $vgpr16
	s_and_saveexec_b64 s[18:19], vcc
	s_xor_b64 s[18:19], exec, s[18:19]
; %bb.4961:                             ;   in Loop: Header=BB4_4836 Depth=2
	v_add_u32_e32 v16, 7, v18
	v_cmp_lt_u64_e32 vcc, s[44:45], v[14:15]
	v_cndmask_b32_e32 v16, v17, v16, vcc
	v_cndmask_b32_e64 v17, 0, 1, vcc
	v_lshrrev_b64 v[14:15], v17, v[14:15]
; %bb.4962:                             ;   in Loop: Header=BB4_4836 Depth=2
	s_andn2_saveexec_b64 s[18:19], s[18:19]
; %bb.4963:                             ;   in Loop: Header=BB4_4836 Depth=2
	v_bfe_u32 v16, v14, 23, 1
; %bb.4964:                             ;   in Loop: Header=BB4_4836 Depth=2
	s_or_b64 exec, exec, s[18:19]
	v_lshrrev_b64 v[14:15], 20, v[14:15]
	v_cmp_gt_i32_e32 vcc, 16, v16
	v_cndmask_b32_e32 v15, 0, v15, vcc
	v_cndmask_b32_e32 v14, 7, v14, vcc
	v_cmp_ne_u32_e32 vcc, 0, v16
	v_cmp_ne_u64_e64 s[18:19], 0, v[14:15]
	s_or_b64 s[18:19], vcc, s[18:19]
                                        ; implicit-def: $vgpr18
	s_and_saveexec_b64 vcc, s[18:19]
	s_xor_b64 s[18:19], exec, vcc
; %bb.4965:                             ;   in Loop: Header=BB4_4836 Depth=2
	v_min_i32_e32 v15, 15, v16
	v_lshl_or_b32 v8, v15, 3, v8
	v_and_or_b32 v18, v14, 7, v8
                                        ; implicit-def: $vgpr8
; %bb.4966:                             ;   in Loop: Header=BB4_4836 Depth=2
	s_andn2_saveexec_b64 s[18:19], s[18:19]
; %bb.4967:                             ;   in Loop: Header=BB4_4836 Depth=2
	v_mov_b32_e32 v18, v8
; %bb.4968:                             ;   in Loop: Header=BB4_4836 Depth=2
	s_or_b64 exec, exec, s[18:19]
.LBB4_4969:                             ;   in Loop: Header=BB4_4836 Depth=2
	s_or_b64 exec, exec, s[58:59]
.LBB4_4970:                             ;   in Loop: Header=BB4_4836 Depth=2
	s_andn2_saveexec_b64 s[18:19], s[56:57]
	s_or_b64 exec, exec, s[18:19]
                                        ; implicit-def: $vgpr14
.LBB4_4971:                             ;   in Loop: Header=BB4_4836 Depth=2
	s_andn2_saveexec_b64 s[18:19], s[54:55]
; %bb.4972:                             ;   in Loop: Header=BB4_4836 Depth=2
	v_or_b32_sdwa v8, v14, s69 dst_sel:DWORD dst_unused:UNUSED_PAD src0_sel:BYTE_3 src1_sel:DWORD
	v_cmp_eq_u64_e32 vcc, 0, v[36:37]
	v_cndmask_b32_e32 v18, v8, v18, vcc
; %bb.4973:                             ;   in Loop: Header=BB4_4836 Depth=2
	s_or_b64 exec, exec, s[18:19]
	flat_load_ubyte v8, v[2:3] offset:384 glc slc
	v_mov_b32_e32 v15, 0
	s_waitcnt vmcnt(0) lgkmcnt(0)
	v_cmp_ne_u16_e32 vcc, 0, v8
	s_and_saveexec_b64 s[18:19], vcc
	s_cbranch_execz .LBB4_4979
; %bb.4974:                             ;   in Loop: Header=BB4_4836 Depth=2
	v_cmp_ne_u16_e32 vcc, s71, v8
	v_bfrev_b32_e32 v15, 1
	s_and_saveexec_b64 s[54:55], vcc
	s_cbranch_execz .LBB4_4978
; %bb.4975:                             ;   in Loop: Header=BB4_4836 Depth=2
	v_and_b32_e32 v14, 0xffff, v8
	v_and_b32_e32 v16, 0x7f, v14
	v_cmp_ne_u32_e32 vcc, s69, v16
	v_mov_b32_e32 v15, 0x7f800001
	s_and_saveexec_b64 s[56:57], vcc
	s_cbranch_execz .LBB4_4977
; %bb.4976:                             ;   in Loop: Header=BB4_4836 Depth=2
	v_and_b32_e32 v17, 7, v14
	v_ffbh_u32_e32 v15, v17
	v_min_u32_e32 v24, 32, v15
	v_subrev_u32_e32 v15, 28, v24
	v_lshlrev_b64 v[14:15], v15, v[14:15]
	v_lshrrev_b32_e32 v23, 3, v16
	v_sub_u32_e32 v15, 29, v24
	v_and_b32_e32 v14, 7, v14
	v_cmp_gt_u32_e32 vcc, 8, v16
	v_cndmask_b32_e32 v15, v23, v15, vcc
	v_cndmask_b32_e32 v14, v17, v14, vcc
	v_lshlrev_b32_e32 v8, 24, v8
	v_lshlrev_b32_e32 v14, 20, v14
	v_and_b32_e32 v8, 0x80000000, v8
	v_lshl_add_u32 v15, v15, 23, v55
	v_or3_b32 v15, v8, v15, v14
.LBB4_4977:                             ;   in Loop: Header=BB4_4836 Depth=2
	s_or_b64 exec, exec, s[56:57]
.LBB4_4978:                             ;   in Loop: Header=BB4_4836 Depth=2
	s_or_b64 exec, exec, s[54:55]
.LBB4_4979:                             ;   in Loop: Header=BB4_4836 Depth=2
	s_or_b64 exec, exec, s[18:19]
	v_mul_f32_e32 v14, s60, v15
	v_and_b32_sdwa v8, v14, s71 dst_sel:DWORD dst_unused:UNUSED_PAD src0_sel:BYTE_3 src1_sel:DWORD
	v_and_b32_e32 v24, 0x7f800000, v14
	v_mov_b32_e32 v25, v37
	v_and_b32_e32 v36, 0x7fffff, v14
	v_or_b32_e32 v16, 0x7e, v8
	v_cmp_ne_u64_e32 vcc, s[38:39], v[24:25]
	s_and_saveexec_b64 s[18:19], vcc
	s_xor_b64 s[54:55], exec, s[18:19]
	s_cbranch_execz .LBB4_4993
; %bb.4980:                             ;   in Loop: Header=BB4_4836 Depth=2
	v_and_b32_e32 v24, 0x7fffffff, v14
	v_mov_b32_e32 v25, v37
	v_cmp_gt_u64_e32 vcc, s[40:41], v[24:25]
	s_and_saveexec_b64 s[18:19], vcc
	s_xor_b64 s[56:57], exec, s[18:19]
	s_cbranch_execz .LBB4_4992
; %bb.4981:                             ;   in Loop: Header=BB4_4836 Depth=2
	v_cmp_ne_u32_e32 vcc, 0, v14
	v_mov_b32_e32 v16, 0
	s_and_saveexec_b64 s[58:59], vcc
	s_cbranch_execz .LBB4_4991
; %bb.4982:                             ;   in Loop: Header=BB4_4836 Depth=2
	v_bfe_u32 v14, v14, 23, 8
	v_sub_u32_e32 v16, 0x79, v14
	v_cmp_gt_u32_e32 vcc, s72, v14
	v_add_u32_e32 v15, 0xffffff81, v14
	v_cndmask_b32_e32 v16, 0, v16, vcc
	v_cmp_eq_u32_e32 vcc, 0, v14
	v_mov_b32_e32 v14, 0xffffff82
	v_cndmask_b32_e32 v23, v15, v14, vcc
	v_mov_b32_e32 v14, 0x78
	v_or_b32_e32 v17, 0x800000, v36
	v_cndmask_b32_e32 v16, v16, v14, vcc
	v_cndmask_b32_e32 v36, v17, v36, vcc
	v_add_u32_e32 v14, 20, v16
	v_lshlrev_b64 v[14:15], v14, -1
	v_add_u32_e32 v17, 19, v16
	v_lshrrev_b64 v[26:27], v16, v[36:37]
	v_not_b32_e32 v15, v15
	v_not_b32_e32 v14, v14
	v_lshlrev_b64 v[24:25], v17, 1
	v_lshrrev_b32_e32 v17, 23, v26
	v_and_b32_e32 v15, 0, v15
	v_and_b32_e32 v14, v36, v14
	v_add3_u32 v23, v16, v23, v17
	v_bfe_u32 v17, v26, 20, 1
	v_add_u32_e32 v17, -1, v17
	v_cmp_eq_u64_e32 vcc, v[14:15], v[24:25]
	v_cndmask_b32_e32 v14, 0, v17, vcc
	v_add_u32_e32 v14, v14, v26
	v_and_b32_e32 v14, 0xfffff, v14
	v_add_co_u32_e32 v14, vcc, v14, v26
	v_add_u32_e32 v16, 6, v23
	v_addc_co_u32_e32 v15, vcc, 0, v27, vcc
	v_cmp_ne_u32_e32 vcc, 0, v16
                                        ; implicit-def: $vgpr17
	s_and_saveexec_b64 s[18:19], vcc
	s_xor_b64 s[18:19], exec, s[18:19]
; %bb.4983:                             ;   in Loop: Header=BB4_4836 Depth=2
	v_add_u32_e32 v17, 7, v23
	v_cmp_lt_u64_e32 vcc, s[44:45], v[14:15]
	v_cndmask_b32_e32 v17, v16, v17, vcc
	v_cndmask_b32_e64 v16, 0, 1, vcc
	v_lshrrev_b64 v[14:15], v16, v[14:15]
; %bb.4984:                             ;   in Loop: Header=BB4_4836 Depth=2
	s_andn2_saveexec_b64 s[18:19], s[18:19]
; %bb.4985:                             ;   in Loop: Header=BB4_4836 Depth=2
	v_bfe_u32 v17, v14, 23, 1
; %bb.4986:                             ;   in Loop: Header=BB4_4836 Depth=2
	s_or_b64 exec, exec, s[18:19]
	v_lshrrev_b64 v[14:15], 20, v[14:15]
	v_cmp_gt_i32_e32 vcc, 16, v17
	v_cndmask_b32_e32 v15, 0, v15, vcc
	v_cndmask_b32_e32 v14, 7, v14, vcc
	v_cmp_ne_u32_e32 vcc, 0, v17
	v_cmp_ne_u64_e64 s[18:19], 0, v[14:15]
	s_or_b64 s[18:19], vcc, s[18:19]
                                        ; implicit-def: $vgpr16
	s_and_saveexec_b64 vcc, s[18:19]
	s_xor_b64 s[18:19], exec, vcc
; %bb.4987:                             ;   in Loop: Header=BB4_4836 Depth=2
	v_min_i32_e32 v15, 15, v17
	v_lshl_or_b32 v8, v15, 3, v8
	v_and_or_b32 v16, v14, 7, v8
                                        ; implicit-def: $vgpr8
; %bb.4988:                             ;   in Loop: Header=BB4_4836 Depth=2
	s_andn2_saveexec_b64 s[18:19], s[18:19]
; %bb.4989:                             ;   in Loop: Header=BB4_4836 Depth=2
	v_mov_b32_e32 v16, v8
; %bb.4990:                             ;   in Loop: Header=BB4_4836 Depth=2
	s_or_b64 exec, exec, s[18:19]
.LBB4_4991:                             ;   in Loop: Header=BB4_4836 Depth=2
	s_or_b64 exec, exec, s[58:59]
.LBB4_4992:                             ;   in Loop: Header=BB4_4836 Depth=2
	s_andn2_saveexec_b64 s[18:19], s[56:57]
	s_or_b64 exec, exec, s[18:19]
                                        ; implicit-def: $vgpr14
.LBB4_4993:                             ;   in Loop: Header=BB4_4836 Depth=2
	s_andn2_saveexec_b64 s[18:19], s[54:55]
; %bb.4994:                             ;   in Loop: Header=BB4_4836 Depth=2
	v_or_b32_sdwa v8, v14, s69 dst_sel:DWORD dst_unused:UNUSED_PAD src0_sel:BYTE_3 src1_sel:DWORD
	v_cmp_eq_u64_e32 vcc, 0, v[36:37]
	v_cndmask_b32_e32 v16, v8, v16, vcc
; %bb.4995:                             ;   in Loop: Header=BB4_4836 Depth=2
	s_or_b64 exec, exec, s[18:19]
	flat_load_ubyte v8, v[2:3] offset:448 glc slc
	v_mov_b32_e32 v15, 0
	s_waitcnt vmcnt(0) lgkmcnt(0)
	v_cmp_ne_u16_e32 vcc, 0, v8
	s_and_saveexec_b64 s[18:19], vcc
	s_cbranch_execz .LBB4_5001
; %bb.4996:                             ;   in Loop: Header=BB4_4836 Depth=2
	v_cmp_ne_u16_e32 vcc, s71, v8
	v_bfrev_b32_e32 v15, 1
	s_and_saveexec_b64 s[54:55], vcc
	s_cbranch_execz .LBB4_5000
; %bb.4997:                             ;   in Loop: Header=BB4_4836 Depth=2
	v_and_b32_e32 v14, 0xffff, v8
	v_and_b32_e32 v17, 0x7f, v14
	v_cmp_ne_u32_e32 vcc, s69, v17
	v_mov_b32_e32 v15, 0x7f800001
	s_and_saveexec_b64 s[56:57], vcc
	s_cbranch_execz .LBB4_4999
; %bb.4998:                             ;   in Loop: Header=BB4_4836 Depth=2
	v_and_b32_e32 v23, 7, v14
	v_ffbh_u32_e32 v15, v23
	v_min_u32_e32 v25, 32, v15
	v_subrev_u32_e32 v15, 28, v25
	v_lshlrev_b64 v[14:15], v15, v[14:15]
	v_lshrrev_b32_e32 v24, 3, v17
	v_sub_u32_e32 v15, 29, v25
	v_and_b32_e32 v14, 7, v14
	v_cmp_gt_u32_e32 vcc, 8, v17
	v_cndmask_b32_e32 v15, v24, v15, vcc
	v_cndmask_b32_e32 v14, v23, v14, vcc
	v_lshlrev_b32_e32 v8, 24, v8
	v_lshlrev_b32_e32 v14, 20, v14
	v_and_b32_e32 v8, 0x80000000, v8
	v_lshl_add_u32 v15, v15, 23, v55
	v_or3_b32 v15, v8, v15, v14
.LBB4_4999:                             ;   in Loop: Header=BB4_4836 Depth=2
	s_or_b64 exec, exec, s[56:57]
.LBB4_5000:                             ;   in Loop: Header=BB4_4836 Depth=2
	s_or_b64 exec, exec, s[54:55]
.LBB4_5001:                             ;   in Loop: Header=BB4_4836 Depth=2
	s_or_b64 exec, exec, s[18:19]
	v_mul_f32_e32 v14, s60, v15
	v_and_b32_sdwa v17, v14, s71 dst_sel:DWORD dst_unused:UNUSED_PAD src0_sel:BYTE_3 src1_sel:DWORD
	v_and_b32_e32 v24, 0x7f800000, v14
	v_mov_b32_e32 v25, v37
	v_and_b32_e32 v36, 0x7fffff, v14
	v_or_b32_e32 v8, 0x7e, v17
	v_cmp_ne_u64_e32 vcc, s[38:39], v[24:25]
	s_and_saveexec_b64 s[18:19], vcc
	s_xor_b64 s[54:55], exec, s[18:19]
	s_cbranch_execz .LBB4_5015
; %bb.5002:                             ;   in Loop: Header=BB4_4836 Depth=2
	v_and_b32_e32 v24, 0x7fffffff, v14
	v_mov_b32_e32 v25, v37
	v_cmp_gt_u64_e32 vcc, s[40:41], v[24:25]
	s_and_saveexec_b64 s[18:19], vcc
	s_xor_b64 s[56:57], exec, s[18:19]
	s_cbranch_execz .LBB4_5014
; %bb.5003:                             ;   in Loop: Header=BB4_4836 Depth=2
	v_cmp_ne_u32_e32 vcc, 0, v14
	v_mov_b32_e32 v8, 0
	s_and_saveexec_b64 s[58:59], vcc
	s_cbranch_execz .LBB4_5013
; %bb.5004:                             ;   in Loop: Header=BB4_4836 Depth=2
	v_bfe_u32 v8, v14, 23, 8
	v_sub_u32_e32 v15, 0x79, v8
	v_cmp_gt_u32_e32 vcc, s72, v8
	v_add_u32_e32 v14, 0xffffff81, v8
	v_cndmask_b32_e32 v15, 0, v15, vcc
	v_cmp_eq_u32_e32 vcc, 0, v8
	v_mov_b32_e32 v8, 0xffffff82
	v_cndmask_b32_e32 v8, v14, v8, vcc
	v_mov_b32_e32 v14, 0x78
	v_or_b32_e32 v23, 0x800000, v36
	v_cndmask_b32_e32 v24, v15, v14, vcc
	v_cndmask_b32_e32 v36, v23, v36, vcc
	v_add_u32_e32 v14, 20, v24
	v_lshlrev_b64 v[14:15], v14, -1
	v_add_u32_e32 v23, 19, v24
	v_lshrrev_b64 v[30:31], v24, v[36:37]
	v_not_b32_e32 v15, v15
	v_not_b32_e32 v14, v14
	v_lshlrev_b64 v[26:27], v23, 1
	v_lshrrev_b32_e32 v23, 23, v30
	v_and_b32_e32 v15, 0, v15
	v_and_b32_e32 v14, v36, v14
	v_add3_u32 v24, v24, v8, v23
	v_bfe_u32 v23, v30, 20, 1
	v_add_u32_e32 v23, -1, v23
	v_cmp_eq_u64_e32 vcc, v[14:15], v[26:27]
	v_cndmask_b32_e32 v14, 0, v23, vcc
	v_add_u32_e32 v14, v14, v30
	v_and_b32_e32 v14, 0xfffff, v14
	v_add_co_u32_e32 v14, vcc, v14, v30
	v_add_u32_e32 v8, 6, v24
	v_addc_co_u32_e32 v15, vcc, 0, v31, vcc
	v_cmp_ne_u32_e32 vcc, 0, v8
                                        ; implicit-def: $vgpr23
	s_and_saveexec_b64 s[18:19], vcc
	s_xor_b64 s[18:19], exec, s[18:19]
; %bb.5005:                             ;   in Loop: Header=BB4_4836 Depth=2
	v_add_u32_e32 v23, 7, v24
	v_cmp_lt_u64_e32 vcc, s[44:45], v[14:15]
	v_cndmask_b32_e32 v23, v8, v23, vcc
	v_cndmask_b32_e64 v8, 0, 1, vcc
	v_lshrrev_b64 v[14:15], v8, v[14:15]
; %bb.5006:                             ;   in Loop: Header=BB4_4836 Depth=2
	s_andn2_saveexec_b64 s[18:19], s[18:19]
; %bb.5007:                             ;   in Loop: Header=BB4_4836 Depth=2
	v_bfe_u32 v23, v14, 23, 1
; %bb.5008:                             ;   in Loop: Header=BB4_4836 Depth=2
	s_or_b64 exec, exec, s[18:19]
	v_lshrrev_b64 v[14:15], 20, v[14:15]
	v_cmp_gt_i32_e32 vcc, 16, v23
	v_cndmask_b32_e32 v15, 0, v15, vcc
	v_cndmask_b32_e32 v14, 7, v14, vcc
	v_cmp_ne_u32_e32 vcc, 0, v23
	v_cmp_ne_u64_e64 s[18:19], 0, v[14:15]
	s_or_b64 s[18:19], vcc, s[18:19]
                                        ; implicit-def: $vgpr8
	s_and_saveexec_b64 vcc, s[18:19]
	s_xor_b64 s[18:19], exec, vcc
; %bb.5009:                             ;   in Loop: Header=BB4_4836 Depth=2
	v_min_i32_e32 v8, 15, v23
	v_lshl_or_b32 v8, v8, 3, v17
	v_and_or_b32 v8, v14, 7, v8
                                        ; implicit-def: $vgpr17
; %bb.5010:                             ;   in Loop: Header=BB4_4836 Depth=2
	s_andn2_saveexec_b64 s[18:19], s[18:19]
; %bb.5011:                             ;   in Loop: Header=BB4_4836 Depth=2
	v_mov_b32_e32 v8, v17
; %bb.5012:                             ;   in Loop: Header=BB4_4836 Depth=2
	s_or_b64 exec, exec, s[18:19]
.LBB4_5013:                             ;   in Loop: Header=BB4_4836 Depth=2
	s_or_b64 exec, exec, s[58:59]
.LBB4_5014:                             ;   in Loop: Header=BB4_4836 Depth=2
	s_andn2_saveexec_b64 s[18:19], s[56:57]
	s_or_b64 exec, exec, s[18:19]
                                        ; implicit-def: $vgpr14
.LBB4_5015:                             ;   in Loop: Header=BB4_4836 Depth=2
	s_andn2_saveexec_b64 s[18:19], s[54:55]
; %bb.5016:                             ;   in Loop: Header=BB4_4836 Depth=2
	v_or_b32_sdwa v14, v14, s69 dst_sel:DWORD dst_unused:UNUSED_PAD src0_sel:BYTE_3 src1_sel:DWORD
	v_cmp_eq_u64_e32 vcc, 0, v[36:37]
	v_cndmask_b32_e32 v8, v14, v8, vcc
; %bb.5017:                             ;   in Loop: Header=BB4_4836 Depth=2
	s_or_b64 exec, exec, s[18:19]
	flat_load_ubyte v15, v[10:11] glc slc
	flat_load_ubyte v31, v[10:11] offset:64 glc slc
	flat_load_ubyte v30, v[10:11] offset:128 glc slc
	;; [unrolled: 1-line block ×7, first 2 shown]
	v_and_b32_e32 v14, 0xff, v9
	v_cmp_ne_u16_e32 vcc, 0, v14
	v_mov_b32_e32 v32, 0
	v_mov_b32_e32 v33, 0
	s_and_saveexec_b64 s[18:19], vcc
	s_cbranch_execz .LBB4_5023
; %bb.5018:                             ;   in Loop: Header=BB4_4836 Depth=2
	v_cmp_ne_u16_e32 vcc, s71, v14
	v_bfrev_b32_e32 v33, 1
	s_and_saveexec_b64 s[54:55], vcc
	s_cbranch_execz .LBB4_5022
; %bb.5019:                             ;   in Loop: Header=BB4_4836 Depth=2
	v_and_b32_e32 v34, 0x7f, v9
	v_cmp_ne_u32_e32 vcc, s69, v34
	v_mov_b32_e32 v33, 0x7f800001
	s_and_saveexec_b64 s[56:57], vcc
	s_cbranch_execz .LBB4_5021
; %bb.5020:                             ;   in Loop: Header=BB4_4836 Depth=2
	v_and_b32_e32 v25, 7, v14
	v_ffbh_u32_e32 v35, v25
	v_min_u32_e32 v35, 32, v35
	v_subrev_u32_e32 v36, 28, v35
	s_waitcnt vmcnt(0) lgkmcnt(0)
	v_lshlrev_b64 v[38:39], v36, v[14:15]
	v_lshrrev_b32_e32 v33, 3, v34
	v_sub_u32_e32 v14, 29, v35
	v_and_b32_e32 v35, 7, v38
	v_cmp_gt_u32_e32 vcc, 8, v34
	v_cndmask_b32_e32 v14, v33, v14, vcc
	v_cndmask_b32_e32 v25, v25, v35, vcc
	v_lshlrev_b32_e32 v9, 24, v9
	v_lshlrev_b32_e32 v25, 20, v25
	v_and_b32_e32 v9, 0x80000000, v9
	v_lshl_add_u32 v14, v14, 23, v55
	v_or3_b32 v33, v9, v14, v25
.LBB4_5021:                             ;   in Loop: Header=BB4_4836 Depth=2
	s_or_b64 exec, exec, s[56:57]
.LBB4_5022:                             ;   in Loop: Header=BB4_4836 Depth=2
	s_or_b64 exec, exec, s[54:55]
.LBB4_5023:                             ;   in Loop: Header=BB4_4836 Depth=2
	s_or_b64 exec, exec, s[18:19]
	s_waitcnt vmcnt(0) lgkmcnt(0)
	v_and_b32_e32 v14, 0xff, v15
	v_cmp_ne_u16_e32 vcc, 0, v14
	s_and_saveexec_b64 s[18:19], vcc
	s_cbranch_execz .LBB4_5029
; %bb.5024:                             ;   in Loop: Header=BB4_4836 Depth=2
	v_cmp_ne_u16_e32 vcc, s71, v14
	v_bfrev_b32_e32 v32, 1
	s_and_saveexec_b64 s[54:55], vcc
	s_cbranch_execz .LBB4_5028
; %bb.5025:                             ;   in Loop: Header=BB4_4836 Depth=2
	v_and_b32_e32 v9, 0x7f, v15
	v_cmp_ne_u32_e32 vcc, s69, v9
	v_mov_b32_e32 v32, 0x7f800001
	s_and_saveexec_b64 s[56:57], vcc
	s_cbranch_execz .LBB4_5027
; %bb.5026:                             ;   in Loop: Header=BB4_4836 Depth=2
	v_and_b32_e32 v25, 7, v14
	v_ffbh_u32_e32 v34, v25
	v_min_u32_e32 v36, 32, v34
	v_subrev_u32_e32 v34, 28, v36
	v_lshlrev_b64 v[34:35], v34, v[14:15]
	v_lshrrev_b32_e32 v32, 3, v9
	v_sub_u32_e32 v14, 29, v36
	v_and_b32_e32 v34, 7, v34
	v_cmp_gt_u32_e32 vcc, 8, v9
	v_cndmask_b32_e32 v9, v32, v14, vcc
	v_cndmask_b32_e32 v14, v25, v34, vcc
	v_lshlrev_b32_e32 v15, 24, v15
	v_lshlrev_b32_e32 v14, 20, v14
	v_and_b32_e32 v15, 0x80000000, v15
	v_lshl_add_u32 v9, v9, 23, v55
	v_or3_b32 v32, v15, v9, v14
.LBB4_5027:                             ;   in Loop: Header=BB4_4836 Depth=2
	s_or_b64 exec, exec, s[56:57]
.LBB4_5028:                             ;   in Loop: Header=BB4_4836 Depth=2
	s_or_b64 exec, exec, s[54:55]
.LBB4_5029:                             ;   in Loop: Header=BB4_4836 Depth=2
	s_or_b64 exec, exec, s[18:19]
	v_add_f32_e32 v14, v33, v32
	v_and_b32_sdwa v32, v14, s71 dst_sel:DWORD dst_unused:UNUSED_PAD src0_sel:BYTE_3 src1_sel:DWORD
	v_and_b32_e32 v34, 0x7f800000, v14
	v_mov_b32_e32 v35, v37
	v_and_b32_e32 v36, 0x7fffff, v14
	v_or_b32_e32 v9, 0x7e, v32
	v_cmp_ne_u64_e32 vcc, s[38:39], v[34:35]
	s_and_saveexec_b64 s[18:19], vcc
	s_xor_b64 s[54:55], exec, s[18:19]
	s_cbranch_execz .LBB4_5043
; %bb.5030:                             ;   in Loop: Header=BB4_4836 Depth=2
	v_and_b32_e32 v34, 0x7fffffff, v14
	v_mov_b32_e32 v35, v37
	v_cmp_gt_u64_e32 vcc, s[40:41], v[34:35]
	s_and_saveexec_b64 s[18:19], vcc
	s_xor_b64 s[56:57], exec, s[18:19]
	s_cbranch_execz .LBB4_5042
; %bb.5031:                             ;   in Loop: Header=BB4_4836 Depth=2
	v_cmp_ne_u32_e32 vcc, 0, v14
	v_mov_b32_e32 v9, 0
	s_and_saveexec_b64 s[58:59], vcc
	s_cbranch_execz .LBB4_5041
; %bb.5032:                             ;   in Loop: Header=BB4_4836 Depth=2
	v_bfe_u32 v9, v14, 23, 8
	v_sub_u32_e32 v15, 0x79, v9
	v_cmp_gt_u32_e32 vcc, s72, v9
	v_add_u32_e32 v14, 0xffffff81, v9
	v_cndmask_b32_e32 v15, 0, v15, vcc
	v_cmp_eq_u32_e32 vcc, 0, v9
	v_mov_b32_e32 v9, 0xffffff82
	v_cndmask_b32_e32 v9, v14, v9, vcc
	v_mov_b32_e32 v14, 0x78
	v_or_b32_e32 v25, 0x800000, v36
	v_cndmask_b32_e32 v33, v15, v14, vcc
	v_cndmask_b32_e32 v36, v25, v36, vcc
	v_add_u32_e32 v14, 20, v33
	v_lshlrev_b64 v[14:15], v14, -1
	v_add_u32_e32 v25, 19, v33
	v_lshrrev_b64 v[48:49], v33, v[36:37]
	v_not_b32_e32 v15, v15
	v_not_b32_e32 v14, v14
	v_lshlrev_b64 v[38:39], v25, 1
	v_lshrrev_b32_e32 v25, 23, v48
	v_and_b32_e32 v15, 0, v15
	v_and_b32_e32 v14, v36, v14
	v_add3_u32 v34, v33, v9, v25
	v_bfe_u32 v25, v48, 20, 1
	v_add_u32_e32 v25, -1, v25
	v_cmp_eq_u64_e32 vcc, v[14:15], v[38:39]
	v_cndmask_b32_e32 v14, 0, v25, vcc
	v_add_u32_e32 v14, v14, v48
	v_and_b32_e32 v14, 0xfffff, v14
	v_add_co_u32_e32 v14, vcc, v14, v48
	v_add_u32_e32 v9, 6, v34
	v_addc_co_u32_e32 v15, vcc, 0, v49, vcc
	v_cmp_ne_u32_e32 vcc, 0, v9
                                        ; implicit-def: $vgpr33
	s_and_saveexec_b64 s[18:19], vcc
	s_xor_b64 s[18:19], exec, s[18:19]
; %bb.5033:                             ;   in Loop: Header=BB4_4836 Depth=2
	v_add_u32_e32 v25, 7, v34
	v_cmp_lt_u64_e32 vcc, s[44:45], v[14:15]
	v_cndmask_b32_e32 v33, v9, v25, vcc
	v_cndmask_b32_e64 v9, 0, 1, vcc
	v_lshrrev_b64 v[14:15], v9, v[14:15]
; %bb.5034:                             ;   in Loop: Header=BB4_4836 Depth=2
	s_andn2_saveexec_b64 s[18:19], s[18:19]
; %bb.5035:                             ;   in Loop: Header=BB4_4836 Depth=2
	v_bfe_u32 v33, v14, 23, 1
; %bb.5036:                             ;   in Loop: Header=BB4_4836 Depth=2
	s_or_b64 exec, exec, s[18:19]
	v_lshrrev_b64 v[14:15], 20, v[14:15]
	v_cmp_gt_i32_e32 vcc, 16, v33
	v_cndmask_b32_e32 v15, 0, v15, vcc
	v_cndmask_b32_e32 v14, 7, v14, vcc
	v_cmp_ne_u32_e32 vcc, 0, v33
	v_cmp_ne_u64_e64 s[18:19], 0, v[14:15]
	s_or_b64 s[18:19], vcc, s[18:19]
                                        ; implicit-def: $vgpr9
	s_and_saveexec_b64 vcc, s[18:19]
	s_xor_b64 s[18:19], exec, vcc
; %bb.5037:                             ;   in Loop: Header=BB4_4836 Depth=2
	v_min_i32_e32 v9, 15, v33
	v_lshl_or_b32 v9, v9, 3, v32
	v_and_or_b32 v9, v14, 7, v9
                                        ; implicit-def: $vgpr32
; %bb.5038:                             ;   in Loop: Header=BB4_4836 Depth=2
	s_andn2_saveexec_b64 s[18:19], s[18:19]
; %bb.5039:                             ;   in Loop: Header=BB4_4836 Depth=2
	v_mov_b32_e32 v9, v32
; %bb.5040:                             ;   in Loop: Header=BB4_4836 Depth=2
	s_or_b64 exec, exec, s[18:19]
.LBB4_5041:                             ;   in Loop: Header=BB4_4836 Depth=2
	s_or_b64 exec, exec, s[58:59]
.LBB4_5042:                             ;   in Loop: Header=BB4_4836 Depth=2
	s_andn2_saveexec_b64 s[18:19], s[56:57]
	s_or_b64 exec, exec, s[18:19]
                                        ; implicit-def: $vgpr14
.LBB4_5043:                             ;   in Loop: Header=BB4_4836 Depth=2
	s_andn2_saveexec_b64 s[18:19], s[54:55]
; %bb.5044:                             ;   in Loop: Header=BB4_4836 Depth=2
	v_or_b32_sdwa v14, v14, s69 dst_sel:DWORD dst_unused:UNUSED_PAD src0_sel:BYTE_3 src1_sel:DWORD
	v_cmp_eq_u64_e32 vcc, 0, v[36:37]
	v_cndmask_b32_e32 v9, v14, v9, vcc
; %bb.5045:                             ;   in Loop: Header=BB4_4836 Depth=2
	s_or_b64 exec, exec, s[18:19]
	v_and_b32_e32 v14, 0xff, v22
	v_cmp_ne_u16_e32 vcc, 0, v14
	v_mov_b32_e32 v15, 0
	v_mov_b32_e32 v32, 0
	s_and_saveexec_b64 s[18:19], vcc
	s_cbranch_execz .LBB4_5051
; %bb.5046:                             ;   in Loop: Header=BB4_4836 Depth=2
	v_cmp_ne_u16_e32 vcc, s71, v14
	v_bfrev_b32_e32 v32, 1
	s_and_saveexec_b64 s[54:55], vcc
	s_cbranch_execz .LBB4_5050
; %bb.5047:                             ;   in Loop: Header=BB4_4836 Depth=2
	v_and_b32_e32 v33, 0x7f, v22
	v_cmp_ne_u32_e32 vcc, s69, v33
	v_mov_b32_e32 v32, 0x7f800001
	s_and_saveexec_b64 s[56:57], vcc
	s_cbranch_execz .LBB4_5049
; %bb.5048:                             ;   in Loop: Header=BB4_4836 Depth=2
	v_and_b32_e32 v25, 7, v14
	v_ffbh_u32_e32 v34, v25
	v_min_u32_e32 v36, 32, v34
	v_subrev_u32_e32 v34, 28, v36
	v_lshlrev_b64 v[34:35], v34, v[14:15]
	v_lshrrev_b32_e32 v32, 3, v33
	v_sub_u32_e32 v14, 29, v36
	v_and_b32_e32 v34, 7, v34
	v_cmp_gt_u32_e32 vcc, 8, v33
	v_cndmask_b32_e32 v14, v32, v14, vcc
	v_cndmask_b32_e32 v25, v25, v34, vcc
	v_lshlrev_b32_e32 v22, 24, v22
	v_lshlrev_b32_e32 v25, 20, v25
	v_and_b32_e32 v22, 0x80000000, v22
	v_lshl_add_u32 v14, v14, 23, v55
	v_or3_b32 v32, v22, v14, v25
.LBB4_5049:                             ;   in Loop: Header=BB4_4836 Depth=2
	s_or_b64 exec, exec, s[56:57]
.LBB4_5050:                             ;   in Loop: Header=BB4_4836 Depth=2
	s_or_b64 exec, exec, s[54:55]
.LBB4_5051:                             ;   in Loop: Header=BB4_4836 Depth=2
	s_or_b64 exec, exec, s[18:19]
	v_and_b32_e32 v14, 0xff, v31
	v_cmp_ne_u16_e32 vcc, 0, v14
	s_and_saveexec_b64 s[18:19], vcc
	s_cbranch_execz .LBB4_5057
; %bb.5052:                             ;   in Loop: Header=BB4_4836 Depth=2
	v_cmp_ne_u16_e32 vcc, s71, v14
	v_bfrev_b32_e32 v15, 1
	s_and_saveexec_b64 s[54:55], vcc
	s_cbranch_execz .LBB4_5056
; %bb.5053:                             ;   in Loop: Header=BB4_4836 Depth=2
	v_and_b32_e32 v22, 0x7f, v31
	v_cmp_ne_u32_e32 vcc, s69, v22
	v_mov_b32_e32 v15, 0x7f800001
	s_and_saveexec_b64 s[56:57], vcc
	s_cbranch_execz .LBB4_5055
; %bb.5054:                             ;   in Loop: Header=BB4_4836 Depth=2
	v_and_b32_e32 v25, 7, v14
	v_ffbh_u32_e32 v15, v25
	v_min_u32_e32 v34, 32, v15
	v_subrev_u32_e32 v15, 28, v34
	v_lshlrev_b64 v[14:15], v15, v[14:15]
	v_lshrrev_b32_e32 v33, 3, v22
	v_sub_u32_e32 v15, 29, v34
	v_and_b32_e32 v14, 7, v14
	v_cmp_gt_u32_e32 vcc, 8, v22
	v_cndmask_b32_e32 v15, v33, v15, vcc
	v_cndmask_b32_e32 v14, v25, v14, vcc
	v_lshlrev_b32_e32 v22, 24, v31
	v_lshlrev_b32_e32 v14, 20, v14
	v_and_b32_e32 v22, 0x80000000, v22
	v_lshl_add_u32 v15, v15, 23, v55
	v_or3_b32 v15, v22, v15, v14
.LBB4_5055:                             ;   in Loop: Header=BB4_4836 Depth=2
	s_or_b64 exec, exec, s[56:57]
.LBB4_5056:                             ;   in Loop: Header=BB4_4836 Depth=2
	s_or_b64 exec, exec, s[54:55]
.LBB4_5057:                             ;   in Loop: Header=BB4_4836 Depth=2
	s_or_b64 exec, exec, s[18:19]
	v_add_f32_e32 v14, v32, v15
	v_and_b32_sdwa v31, v14, s71 dst_sel:DWORD dst_unused:UNUSED_PAD src0_sel:BYTE_3 src1_sel:DWORD
	v_and_b32_e32 v32, 0x7f800000, v14
	v_mov_b32_e32 v33, v37
	v_and_b32_e32 v36, 0x7fffff, v14
	v_or_b32_e32 v22, 0x7e, v31
	v_cmp_ne_u64_e32 vcc, s[38:39], v[32:33]
	s_and_saveexec_b64 s[18:19], vcc
	s_xor_b64 s[54:55], exec, s[18:19]
	s_cbranch_execz .LBB4_5071
; %bb.5058:                             ;   in Loop: Header=BB4_4836 Depth=2
	v_and_b32_e32 v32, 0x7fffffff, v14
	v_mov_b32_e32 v33, v37
	v_cmp_gt_u64_e32 vcc, s[40:41], v[32:33]
	s_and_saveexec_b64 s[18:19], vcc
	s_xor_b64 s[56:57], exec, s[18:19]
	s_cbranch_execz .LBB4_5070
; %bb.5059:                             ;   in Loop: Header=BB4_4836 Depth=2
	v_cmp_ne_u32_e32 vcc, 0, v14
	v_mov_b32_e32 v22, 0
	s_and_saveexec_b64 s[58:59], vcc
	s_cbranch_execz .LBB4_5069
; %bb.5060:                             ;   in Loop: Header=BB4_4836 Depth=2
	v_bfe_u32 v14, v14, 23, 8
	v_sub_u32_e32 v22, 0x79, v14
	v_cmp_gt_u32_e32 vcc, s72, v14
	v_add_u32_e32 v15, 0xffffff81, v14
	v_cndmask_b32_e32 v22, 0, v22, vcc
	v_cmp_eq_u32_e32 vcc, 0, v14
	v_mov_b32_e32 v14, 0xffffff82
	v_cndmask_b32_e32 v32, v15, v14, vcc
	v_mov_b32_e32 v14, 0x78
	v_or_b32_e32 v25, 0x800000, v36
	v_cndmask_b32_e32 v22, v22, v14, vcc
	v_cndmask_b32_e32 v36, v25, v36, vcc
	v_add_u32_e32 v14, 20, v22
	v_lshlrev_b64 v[14:15], v14, -1
	v_add_u32_e32 v25, 19, v22
	v_lshrrev_b64 v[38:39], v22, v[36:37]
	v_not_b32_e32 v15, v15
	v_not_b32_e32 v14, v14
	v_lshlrev_b64 v[34:35], v25, 1
	v_lshrrev_b32_e32 v25, 23, v38
	v_and_b32_e32 v15, 0, v15
	v_and_b32_e32 v14, v36, v14
	v_add3_u32 v33, v22, v32, v25
	v_bfe_u32 v25, v38, 20, 1
	v_add_u32_e32 v25, -1, v25
	v_cmp_eq_u64_e32 vcc, v[14:15], v[34:35]
	v_cndmask_b32_e32 v14, 0, v25, vcc
	v_add_u32_e32 v14, v14, v38
	v_and_b32_e32 v14, 0xfffff, v14
	v_add_co_u32_e32 v14, vcc, v14, v38
	v_add_u32_e32 v22, 6, v33
	v_addc_co_u32_e32 v15, vcc, 0, v39, vcc
	v_cmp_ne_u32_e32 vcc, 0, v22
                                        ; implicit-def: $vgpr32
	s_and_saveexec_b64 s[18:19], vcc
	s_xor_b64 s[18:19], exec, s[18:19]
; %bb.5061:                             ;   in Loop: Header=BB4_4836 Depth=2
	v_add_u32_e32 v25, 7, v33
	v_cmp_lt_u64_e32 vcc, s[44:45], v[14:15]
	v_cndmask_b32_e32 v32, v22, v25, vcc
	v_cndmask_b32_e64 v22, 0, 1, vcc
	v_lshrrev_b64 v[14:15], v22, v[14:15]
; %bb.5062:                             ;   in Loop: Header=BB4_4836 Depth=2
	s_andn2_saveexec_b64 s[18:19], s[18:19]
; %bb.5063:                             ;   in Loop: Header=BB4_4836 Depth=2
	v_bfe_u32 v32, v14, 23, 1
; %bb.5064:                             ;   in Loop: Header=BB4_4836 Depth=2
	s_or_b64 exec, exec, s[18:19]
	v_lshrrev_b64 v[14:15], 20, v[14:15]
	v_cmp_gt_i32_e32 vcc, 16, v32
	v_cndmask_b32_e32 v15, 0, v15, vcc
	v_cndmask_b32_e32 v14, 7, v14, vcc
	v_cmp_ne_u32_e32 vcc, 0, v32
	v_cmp_ne_u64_e64 s[18:19], 0, v[14:15]
	s_or_b64 s[18:19], vcc, s[18:19]
                                        ; implicit-def: $vgpr22
	s_and_saveexec_b64 vcc, s[18:19]
	s_xor_b64 s[18:19], exec, vcc
; %bb.5065:                             ;   in Loop: Header=BB4_4836 Depth=2
	v_min_i32_e32 v15, 15, v32
	v_lshl_or_b32 v15, v15, 3, v31
	v_and_or_b32 v22, v14, 7, v15
                                        ; implicit-def: $vgpr31
; %bb.5066:                             ;   in Loop: Header=BB4_4836 Depth=2
	s_andn2_saveexec_b64 s[18:19], s[18:19]
; %bb.5067:                             ;   in Loop: Header=BB4_4836 Depth=2
	v_mov_b32_e32 v22, v31
; %bb.5068:                             ;   in Loop: Header=BB4_4836 Depth=2
	s_or_b64 exec, exec, s[18:19]
.LBB4_5069:                             ;   in Loop: Header=BB4_4836 Depth=2
	s_or_b64 exec, exec, s[58:59]
.LBB4_5070:                             ;   in Loop: Header=BB4_4836 Depth=2
	s_andn2_saveexec_b64 s[18:19], s[56:57]
	s_or_b64 exec, exec, s[18:19]
                                        ; implicit-def: $vgpr14
.LBB4_5071:                             ;   in Loop: Header=BB4_4836 Depth=2
	s_andn2_saveexec_b64 s[18:19], s[54:55]
; %bb.5072:                             ;   in Loop: Header=BB4_4836 Depth=2
	v_or_b32_sdwa v14, v14, s69 dst_sel:DWORD dst_unused:UNUSED_PAD src0_sel:BYTE_3 src1_sel:DWORD
	v_cmp_eq_u64_e32 vcc, 0, v[36:37]
	v_cndmask_b32_e32 v22, v14, v22, vcc
; %bb.5073:                             ;   in Loop: Header=BB4_4836 Depth=2
	s_or_b64 exec, exec, s[18:19]
	v_and_b32_e32 v14, 0xff, v21
	v_cmp_ne_u16_e32 vcc, 0, v14
	v_mov_b32_e32 v15, 0
	v_mov_b32_e32 v31, 0
	s_and_saveexec_b64 s[18:19], vcc
	s_cbranch_execz .LBB4_5079
; %bb.5074:                             ;   in Loop: Header=BB4_4836 Depth=2
	v_cmp_ne_u16_e32 vcc, s71, v14
	v_bfrev_b32_e32 v31, 1
	s_and_saveexec_b64 s[54:55], vcc
	s_cbranch_execz .LBB4_5078
; %bb.5075:                             ;   in Loop: Header=BB4_4836 Depth=2
	v_and_b32_e32 v32, 0x7f, v21
	v_cmp_ne_u32_e32 vcc, s69, v32
	v_mov_b32_e32 v31, 0x7f800001
	s_and_saveexec_b64 s[56:57], vcc
	s_cbranch_execz .LBB4_5077
; %bb.5076:                             ;   in Loop: Header=BB4_4836 Depth=2
	v_and_b32_e32 v25, 7, v14
	v_ffbh_u32_e32 v33, v25
	v_min_u32_e32 v33, 32, v33
	v_subrev_u32_e32 v34, 28, v33
	v_lshlrev_b64 v[34:35], v34, v[14:15]
	v_lshrrev_b32_e32 v31, 3, v32
	v_sub_u32_e32 v14, 29, v33
	v_and_b32_e32 v33, 7, v34
	v_cmp_gt_u32_e32 vcc, 8, v32
	v_cndmask_b32_e32 v14, v31, v14, vcc
	v_cndmask_b32_e32 v25, v25, v33, vcc
	v_lshlrev_b32_e32 v21, 24, v21
	v_lshlrev_b32_e32 v25, 20, v25
	v_and_b32_e32 v21, 0x80000000, v21
	v_lshl_add_u32 v14, v14, 23, v55
	v_or3_b32 v31, v21, v14, v25
.LBB4_5077:                             ;   in Loop: Header=BB4_4836 Depth=2
	s_or_b64 exec, exec, s[56:57]
.LBB4_5078:                             ;   in Loop: Header=BB4_4836 Depth=2
	s_or_b64 exec, exec, s[54:55]
.LBB4_5079:                             ;   in Loop: Header=BB4_4836 Depth=2
	s_or_b64 exec, exec, s[18:19]
	v_and_b32_e32 v14, 0xff, v30
	v_cmp_ne_u16_e32 vcc, 0, v14
	s_and_saveexec_b64 s[18:19], vcc
	s_cbranch_execz .LBB4_5085
; %bb.5080:                             ;   in Loop: Header=BB4_4836 Depth=2
	v_cmp_ne_u16_e32 vcc, s71, v14
	v_bfrev_b32_e32 v15, 1
	s_and_saveexec_b64 s[54:55], vcc
	s_cbranch_execz .LBB4_5084
; %bb.5081:                             ;   in Loop: Header=BB4_4836 Depth=2
	v_and_b32_e32 v21, 0x7f, v30
	v_cmp_ne_u32_e32 vcc, s69, v21
	v_mov_b32_e32 v15, 0x7f800001
	s_and_saveexec_b64 s[56:57], vcc
	s_cbranch_execz .LBB4_5083
; %bb.5082:                             ;   in Loop: Header=BB4_4836 Depth=2
	v_and_b32_e32 v25, 7, v14
	v_ffbh_u32_e32 v15, v25
	v_min_u32_e32 v33, 32, v15
	v_subrev_u32_e32 v15, 28, v33
	v_lshlrev_b64 v[14:15], v15, v[14:15]
	v_lshrrev_b32_e32 v32, 3, v21
	v_sub_u32_e32 v15, 29, v33
	v_and_b32_e32 v14, 7, v14
	v_cmp_gt_u32_e32 vcc, 8, v21
	v_cndmask_b32_e32 v15, v32, v15, vcc
	v_cndmask_b32_e32 v14, v25, v14, vcc
	v_lshlrev_b32_e32 v21, 24, v30
	v_lshlrev_b32_e32 v14, 20, v14
	v_and_b32_e32 v21, 0x80000000, v21
	v_lshl_add_u32 v15, v15, 23, v55
	v_or3_b32 v15, v21, v15, v14
.LBB4_5083:                             ;   in Loop: Header=BB4_4836 Depth=2
	s_or_b64 exec, exec, s[56:57]
.LBB4_5084:                             ;   in Loop: Header=BB4_4836 Depth=2
	s_or_b64 exec, exec, s[54:55]
.LBB4_5085:                             ;   in Loop: Header=BB4_4836 Depth=2
	s_or_b64 exec, exec, s[18:19]
	v_add_f32_e32 v14, v31, v15
	v_and_b32_sdwa v30, v14, s71 dst_sel:DWORD dst_unused:UNUSED_PAD src0_sel:BYTE_3 src1_sel:DWORD
	v_and_b32_e32 v32, 0x7f800000, v14
	v_mov_b32_e32 v33, v37
	v_and_b32_e32 v36, 0x7fffff, v14
	v_or_b32_e32 v21, 0x7e, v30
	v_cmp_ne_u64_e32 vcc, s[38:39], v[32:33]
	s_and_saveexec_b64 s[18:19], vcc
	s_xor_b64 s[54:55], exec, s[18:19]
	s_cbranch_execz .LBB4_5099
; %bb.5086:                             ;   in Loop: Header=BB4_4836 Depth=2
	v_and_b32_e32 v32, 0x7fffffff, v14
	v_mov_b32_e32 v33, v37
	v_cmp_gt_u64_e32 vcc, s[40:41], v[32:33]
	s_and_saveexec_b64 s[18:19], vcc
	s_xor_b64 s[56:57], exec, s[18:19]
	s_cbranch_execz .LBB4_5098
; %bb.5087:                             ;   in Loop: Header=BB4_4836 Depth=2
	v_cmp_ne_u32_e32 vcc, 0, v14
	v_mov_b32_e32 v21, 0
	s_and_saveexec_b64 s[58:59], vcc
	s_cbranch_execz .LBB4_5097
; %bb.5088:                             ;   in Loop: Header=BB4_4836 Depth=2
	v_bfe_u32 v14, v14, 23, 8
	v_sub_u32_e32 v21, 0x79, v14
	v_cmp_gt_u32_e32 vcc, s72, v14
	v_add_u32_e32 v15, 0xffffff81, v14
	v_cndmask_b32_e32 v21, 0, v21, vcc
	v_cmp_eq_u32_e32 vcc, 0, v14
	v_mov_b32_e32 v14, 0xffffff82
	v_cndmask_b32_e32 v31, v15, v14, vcc
	v_mov_b32_e32 v14, 0x78
	v_or_b32_e32 v25, 0x800000, v36
	v_cndmask_b32_e32 v21, v21, v14, vcc
	v_cndmask_b32_e32 v36, v25, v36, vcc
	v_add_u32_e32 v14, 20, v21
	v_lshlrev_b64 v[14:15], v14, -1
	v_add_u32_e32 v25, 19, v21
	v_lshrrev_b64 v[38:39], v21, v[36:37]
	v_not_b32_e32 v15, v15
	v_not_b32_e32 v14, v14
	v_lshlrev_b64 v[34:35], v25, 1
	v_lshrrev_b32_e32 v25, 23, v38
	v_and_b32_e32 v15, 0, v15
	v_and_b32_e32 v14, v36, v14
	v_add3_u32 v32, v21, v31, v25
	v_bfe_u32 v25, v38, 20, 1
	v_add_u32_e32 v25, -1, v25
	v_cmp_eq_u64_e32 vcc, v[14:15], v[34:35]
	v_cndmask_b32_e32 v14, 0, v25, vcc
	v_add_u32_e32 v14, v14, v38
	v_and_b32_e32 v14, 0xfffff, v14
	v_add_co_u32_e32 v14, vcc, v14, v38
	v_add_u32_e32 v21, 6, v32
	v_addc_co_u32_e32 v15, vcc, 0, v39, vcc
	v_cmp_ne_u32_e32 vcc, 0, v21
                                        ; implicit-def: $vgpr31
	s_and_saveexec_b64 s[18:19], vcc
	s_xor_b64 s[18:19], exec, s[18:19]
; %bb.5089:                             ;   in Loop: Header=BB4_4836 Depth=2
	v_add_u32_e32 v25, 7, v32
	v_cmp_lt_u64_e32 vcc, s[44:45], v[14:15]
	v_cndmask_b32_e32 v31, v21, v25, vcc
	v_cndmask_b32_e64 v21, 0, 1, vcc
	v_lshrrev_b64 v[14:15], v21, v[14:15]
; %bb.5090:                             ;   in Loop: Header=BB4_4836 Depth=2
	s_andn2_saveexec_b64 s[18:19], s[18:19]
; %bb.5091:                             ;   in Loop: Header=BB4_4836 Depth=2
	v_bfe_u32 v31, v14, 23, 1
; %bb.5092:                             ;   in Loop: Header=BB4_4836 Depth=2
	s_or_b64 exec, exec, s[18:19]
	v_lshrrev_b64 v[14:15], 20, v[14:15]
	v_cmp_gt_i32_e32 vcc, 16, v31
	v_cndmask_b32_e32 v15, 0, v15, vcc
	v_cndmask_b32_e32 v14, 7, v14, vcc
	v_cmp_ne_u32_e32 vcc, 0, v31
	v_cmp_ne_u64_e64 s[18:19], 0, v[14:15]
	s_or_b64 s[18:19], vcc, s[18:19]
                                        ; implicit-def: $vgpr21
	s_and_saveexec_b64 vcc, s[18:19]
	s_xor_b64 s[18:19], exec, vcc
; %bb.5093:                             ;   in Loop: Header=BB4_4836 Depth=2
	v_min_i32_e32 v15, 15, v31
	v_lshl_or_b32 v15, v15, 3, v30
	v_and_or_b32 v21, v14, 7, v15
                                        ; implicit-def: $vgpr30
; %bb.5094:                             ;   in Loop: Header=BB4_4836 Depth=2
	s_andn2_saveexec_b64 s[18:19], s[18:19]
; %bb.5095:                             ;   in Loop: Header=BB4_4836 Depth=2
	v_mov_b32_e32 v21, v30
; %bb.5096:                             ;   in Loop: Header=BB4_4836 Depth=2
	s_or_b64 exec, exec, s[18:19]
.LBB4_5097:                             ;   in Loop: Header=BB4_4836 Depth=2
	s_or_b64 exec, exec, s[58:59]
.LBB4_5098:                             ;   in Loop: Header=BB4_4836 Depth=2
	s_andn2_saveexec_b64 s[18:19], s[56:57]
	s_or_b64 exec, exec, s[18:19]
                                        ; implicit-def: $vgpr14
.LBB4_5099:                             ;   in Loop: Header=BB4_4836 Depth=2
	s_andn2_saveexec_b64 s[18:19], s[54:55]
; %bb.5100:                             ;   in Loop: Header=BB4_4836 Depth=2
	v_or_b32_sdwa v14, v14, s69 dst_sel:DWORD dst_unused:UNUSED_PAD src0_sel:BYTE_3 src1_sel:DWORD
	v_cmp_eq_u64_e32 vcc, 0, v[36:37]
	v_cndmask_b32_e32 v21, v14, v21, vcc
; %bb.5101:                             ;   in Loop: Header=BB4_4836 Depth=2
	s_or_b64 exec, exec, s[18:19]
	v_and_b32_e32 v14, 0xff, v20
	v_cmp_ne_u16_e32 vcc, 0, v14
	v_mov_b32_e32 v15, 0
	v_mov_b32_e32 v30, 0
	s_and_saveexec_b64 s[18:19], vcc
	s_cbranch_execz .LBB4_5107
; %bb.5102:                             ;   in Loop: Header=BB4_4836 Depth=2
	v_cmp_ne_u16_e32 vcc, s71, v14
	v_bfrev_b32_e32 v30, 1
	s_and_saveexec_b64 s[54:55], vcc
	s_cbranch_execz .LBB4_5106
; %bb.5103:                             ;   in Loop: Header=BB4_4836 Depth=2
	v_and_b32_e32 v31, 0x7f, v20
	v_cmp_ne_u32_e32 vcc, s69, v31
	v_mov_b32_e32 v30, 0x7f800001
	s_and_saveexec_b64 s[56:57], vcc
	s_cbranch_execz .LBB4_5105
; %bb.5104:                             ;   in Loop: Header=BB4_4836 Depth=2
	v_and_b32_e32 v25, 7, v14
	v_ffbh_u32_e32 v32, v25
	v_min_u32_e32 v34, 32, v32
	v_subrev_u32_e32 v32, 28, v34
	v_lshlrev_b64 v[32:33], v32, v[14:15]
	v_lshrrev_b32_e32 v30, 3, v31
	v_sub_u32_e32 v14, 29, v34
	v_and_b32_e32 v32, 7, v32
	v_cmp_gt_u32_e32 vcc, 8, v31
	v_cndmask_b32_e32 v14, v30, v14, vcc
	v_cndmask_b32_e32 v25, v25, v32, vcc
	v_lshlrev_b32_e32 v20, 24, v20
	v_lshlrev_b32_e32 v25, 20, v25
	v_and_b32_e32 v20, 0x80000000, v20
	v_lshl_add_u32 v14, v14, 23, v55
	v_or3_b32 v30, v20, v14, v25
.LBB4_5105:                             ;   in Loop: Header=BB4_4836 Depth=2
	s_or_b64 exec, exec, s[56:57]
.LBB4_5106:                             ;   in Loop: Header=BB4_4836 Depth=2
	s_or_b64 exec, exec, s[54:55]
.LBB4_5107:                             ;   in Loop: Header=BB4_4836 Depth=2
	s_or_b64 exec, exec, s[18:19]
	v_and_b32_e32 v14, 0xff, v27
	v_cmp_ne_u16_e32 vcc, 0, v14
	s_and_saveexec_b64 s[18:19], vcc
	s_cbranch_execz .LBB4_5113
; %bb.5108:                             ;   in Loop: Header=BB4_4836 Depth=2
	v_cmp_ne_u16_e32 vcc, s71, v14
	v_bfrev_b32_e32 v15, 1
	s_and_saveexec_b64 s[54:55], vcc
	s_cbranch_execz .LBB4_5112
; %bb.5109:                             ;   in Loop: Header=BB4_4836 Depth=2
	v_and_b32_e32 v20, 0x7f, v27
	v_cmp_ne_u32_e32 vcc, s69, v20
	v_mov_b32_e32 v15, 0x7f800001
	s_and_saveexec_b64 s[56:57], vcc
	s_cbranch_execz .LBB4_5111
; %bb.5110:                             ;   in Loop: Header=BB4_4836 Depth=2
	v_and_b32_e32 v25, 7, v14
	v_ffbh_u32_e32 v15, v25
	v_min_u32_e32 v32, 32, v15
	v_subrev_u32_e32 v15, 28, v32
	v_lshlrev_b64 v[14:15], v15, v[14:15]
	v_lshrrev_b32_e32 v31, 3, v20
	v_sub_u32_e32 v15, 29, v32
	v_and_b32_e32 v14, 7, v14
	v_cmp_gt_u32_e32 vcc, 8, v20
	v_cndmask_b32_e32 v15, v31, v15, vcc
	v_cndmask_b32_e32 v14, v25, v14, vcc
	v_lshlrev_b32_e32 v20, 24, v27
	v_lshlrev_b32_e32 v14, 20, v14
	v_and_b32_e32 v20, 0x80000000, v20
	v_lshl_add_u32 v15, v15, 23, v55
	v_or3_b32 v15, v20, v15, v14
.LBB4_5111:                             ;   in Loop: Header=BB4_4836 Depth=2
	s_or_b64 exec, exec, s[56:57]
.LBB4_5112:                             ;   in Loop: Header=BB4_4836 Depth=2
	s_or_b64 exec, exec, s[54:55]
.LBB4_5113:                             ;   in Loop: Header=BB4_4836 Depth=2
	s_or_b64 exec, exec, s[18:19]
	v_add_f32_e32 v14, v30, v15
	v_and_b32_sdwa v27, v14, s71 dst_sel:DWORD dst_unused:UNUSED_PAD src0_sel:BYTE_3 src1_sel:DWORD
	v_and_b32_e32 v30, 0x7f800000, v14
	v_mov_b32_e32 v31, v37
	v_and_b32_e32 v36, 0x7fffff, v14
	v_or_b32_e32 v20, 0x7e, v27
	v_cmp_ne_u64_e32 vcc, s[38:39], v[30:31]
	s_and_saveexec_b64 s[18:19], vcc
	s_xor_b64 s[54:55], exec, s[18:19]
	s_cbranch_execz .LBB4_5127
; %bb.5114:                             ;   in Loop: Header=BB4_4836 Depth=2
	v_and_b32_e32 v30, 0x7fffffff, v14
	v_mov_b32_e32 v31, v37
	v_cmp_gt_u64_e32 vcc, s[40:41], v[30:31]
	s_and_saveexec_b64 s[18:19], vcc
	s_xor_b64 s[56:57], exec, s[18:19]
	s_cbranch_execz .LBB4_5126
; %bb.5115:                             ;   in Loop: Header=BB4_4836 Depth=2
	v_cmp_ne_u32_e32 vcc, 0, v14
	v_mov_b32_e32 v20, 0
	s_and_saveexec_b64 s[58:59], vcc
	s_cbranch_execz .LBB4_5125
; %bb.5116:                             ;   in Loop: Header=BB4_4836 Depth=2
	v_bfe_u32 v14, v14, 23, 8
	v_sub_u32_e32 v20, 0x79, v14
	v_cmp_gt_u32_e32 vcc, s72, v14
	v_add_u32_e32 v15, 0xffffff81, v14
	v_cndmask_b32_e32 v20, 0, v20, vcc
	v_cmp_eq_u32_e32 vcc, 0, v14
	v_mov_b32_e32 v14, 0xffffff82
	v_cndmask_b32_e32 v30, v15, v14, vcc
	v_mov_b32_e32 v14, 0x78
	v_or_b32_e32 v25, 0x800000, v36
	v_cndmask_b32_e32 v20, v20, v14, vcc
	v_cndmask_b32_e32 v36, v25, v36, vcc
	v_add_u32_e32 v14, 20, v20
	v_lshlrev_b64 v[14:15], v14, -1
	v_add_u32_e32 v25, 19, v20
	v_lshrrev_b64 v[34:35], v20, v[36:37]
	v_not_b32_e32 v15, v15
	v_not_b32_e32 v14, v14
	v_lshlrev_b64 v[32:33], v25, 1
	v_lshrrev_b32_e32 v25, 23, v34
	v_and_b32_e32 v15, 0, v15
	v_and_b32_e32 v14, v36, v14
	v_add3_u32 v31, v20, v30, v25
	v_bfe_u32 v25, v34, 20, 1
	v_add_u32_e32 v25, -1, v25
	v_cmp_eq_u64_e32 vcc, v[14:15], v[32:33]
	v_cndmask_b32_e32 v14, 0, v25, vcc
	v_add_u32_e32 v14, v14, v34
	v_and_b32_e32 v14, 0xfffff, v14
	v_add_co_u32_e32 v14, vcc, v14, v34
	v_add_u32_e32 v20, 6, v31
	v_addc_co_u32_e32 v15, vcc, 0, v35, vcc
	v_cmp_ne_u32_e32 vcc, 0, v20
                                        ; implicit-def: $vgpr30
	s_and_saveexec_b64 s[18:19], vcc
	s_xor_b64 s[18:19], exec, s[18:19]
; %bb.5117:                             ;   in Loop: Header=BB4_4836 Depth=2
	v_add_u32_e32 v25, 7, v31
	v_cmp_lt_u64_e32 vcc, s[44:45], v[14:15]
	v_cndmask_b32_e32 v30, v20, v25, vcc
	v_cndmask_b32_e64 v20, 0, 1, vcc
	v_lshrrev_b64 v[14:15], v20, v[14:15]
; %bb.5118:                             ;   in Loop: Header=BB4_4836 Depth=2
	s_andn2_saveexec_b64 s[18:19], s[18:19]
; %bb.5119:                             ;   in Loop: Header=BB4_4836 Depth=2
	v_bfe_u32 v30, v14, 23, 1
; %bb.5120:                             ;   in Loop: Header=BB4_4836 Depth=2
	s_or_b64 exec, exec, s[18:19]
	v_lshrrev_b64 v[14:15], 20, v[14:15]
	v_cmp_gt_i32_e32 vcc, 16, v30
	v_cndmask_b32_e32 v15, 0, v15, vcc
	v_cndmask_b32_e32 v14, 7, v14, vcc
	v_cmp_ne_u32_e32 vcc, 0, v30
	v_cmp_ne_u64_e64 s[18:19], 0, v[14:15]
	s_or_b64 s[18:19], vcc, s[18:19]
                                        ; implicit-def: $vgpr20
	s_and_saveexec_b64 vcc, s[18:19]
	s_xor_b64 s[18:19], exec, vcc
; %bb.5121:                             ;   in Loop: Header=BB4_4836 Depth=2
	v_min_i32_e32 v15, 15, v30
	v_lshl_or_b32 v15, v15, 3, v27
	v_and_or_b32 v20, v14, 7, v15
                                        ; implicit-def: $vgpr27
; %bb.5122:                             ;   in Loop: Header=BB4_4836 Depth=2
	s_andn2_saveexec_b64 s[18:19], s[18:19]
; %bb.5123:                             ;   in Loop: Header=BB4_4836 Depth=2
	v_mov_b32_e32 v20, v27
; %bb.5124:                             ;   in Loop: Header=BB4_4836 Depth=2
	s_or_b64 exec, exec, s[18:19]
.LBB4_5125:                             ;   in Loop: Header=BB4_4836 Depth=2
	s_or_b64 exec, exec, s[58:59]
.LBB4_5126:                             ;   in Loop: Header=BB4_4836 Depth=2
	s_andn2_saveexec_b64 s[18:19], s[56:57]
	s_or_b64 exec, exec, s[18:19]
                                        ; implicit-def: $vgpr14
.LBB4_5127:                             ;   in Loop: Header=BB4_4836 Depth=2
	s_andn2_saveexec_b64 s[18:19], s[54:55]
; %bb.5128:                             ;   in Loop: Header=BB4_4836 Depth=2
	v_or_b32_sdwa v14, v14, s69 dst_sel:DWORD dst_unused:UNUSED_PAD src0_sel:BYTE_3 src1_sel:DWORD
	v_cmp_eq_u64_e32 vcc, 0, v[36:37]
	v_cndmask_b32_e32 v20, v14, v20, vcc
; %bb.5129:                             ;   in Loop: Header=BB4_4836 Depth=2
	s_or_b64 exec, exec, s[18:19]
	v_and_b32_e32 v14, 0xff, v19
	v_cmp_ne_u16_e32 vcc, 0, v14
	v_mov_b32_e32 v15, 0
	v_mov_b32_e32 v27, 0
	s_and_saveexec_b64 s[18:19], vcc
	s_cbranch_execz .LBB4_5135
; %bb.5130:                             ;   in Loop: Header=BB4_4836 Depth=2
	v_cmp_ne_u16_e32 vcc, s71, v14
	v_bfrev_b32_e32 v27, 1
	s_and_saveexec_b64 s[54:55], vcc
	s_cbranch_execz .LBB4_5134
; %bb.5131:                             ;   in Loop: Header=BB4_4836 Depth=2
	v_and_b32_e32 v30, 0x7f, v19
	v_cmp_ne_u32_e32 vcc, s69, v30
	v_mov_b32_e32 v27, 0x7f800001
	s_and_saveexec_b64 s[56:57], vcc
	s_cbranch_execz .LBB4_5133
; %bb.5132:                             ;   in Loop: Header=BB4_4836 Depth=2
	v_and_b32_e32 v25, 7, v14
	v_ffbh_u32_e32 v31, v25
	v_min_u32_e32 v31, 32, v31
	v_subrev_u32_e32 v32, 28, v31
	v_lshlrev_b64 v[32:33], v32, v[14:15]
	v_lshrrev_b32_e32 v27, 3, v30
	v_sub_u32_e32 v14, 29, v31
	v_and_b32_e32 v31, 7, v32
	v_cmp_gt_u32_e32 vcc, 8, v30
	v_cndmask_b32_e32 v14, v27, v14, vcc
	v_cndmask_b32_e32 v25, v25, v31, vcc
	v_lshlrev_b32_e32 v19, 24, v19
	v_lshlrev_b32_e32 v25, 20, v25
	v_and_b32_e32 v19, 0x80000000, v19
	v_lshl_add_u32 v14, v14, 23, v55
	v_or3_b32 v27, v19, v14, v25
.LBB4_5133:                             ;   in Loop: Header=BB4_4836 Depth=2
	s_or_b64 exec, exec, s[56:57]
.LBB4_5134:                             ;   in Loop: Header=BB4_4836 Depth=2
	s_or_b64 exec, exec, s[54:55]
.LBB4_5135:                             ;   in Loop: Header=BB4_4836 Depth=2
	s_or_b64 exec, exec, s[18:19]
	v_and_b32_e32 v14, 0xff, v26
	v_cmp_ne_u16_e32 vcc, 0, v14
	s_and_saveexec_b64 s[18:19], vcc
	s_cbranch_execz .LBB4_5141
; %bb.5136:                             ;   in Loop: Header=BB4_4836 Depth=2
	v_cmp_ne_u16_e32 vcc, s71, v14
	v_bfrev_b32_e32 v15, 1
	s_and_saveexec_b64 s[54:55], vcc
	s_cbranch_execz .LBB4_5140
; %bb.5137:                             ;   in Loop: Header=BB4_4836 Depth=2
	v_and_b32_e32 v19, 0x7f, v26
	v_cmp_ne_u32_e32 vcc, s69, v19
	v_mov_b32_e32 v15, 0x7f800001
	s_and_saveexec_b64 s[56:57], vcc
	s_cbranch_execz .LBB4_5139
; %bb.5138:                             ;   in Loop: Header=BB4_4836 Depth=2
	v_and_b32_e32 v25, 7, v14
	v_ffbh_u32_e32 v15, v25
	v_min_u32_e32 v31, 32, v15
	v_subrev_u32_e32 v15, 28, v31
	v_lshlrev_b64 v[14:15], v15, v[14:15]
	v_lshrrev_b32_e32 v30, 3, v19
	v_sub_u32_e32 v15, 29, v31
	v_and_b32_e32 v14, 7, v14
	v_cmp_gt_u32_e32 vcc, 8, v19
	v_cndmask_b32_e32 v15, v30, v15, vcc
	v_cndmask_b32_e32 v14, v25, v14, vcc
	v_lshlrev_b32_e32 v19, 24, v26
	v_lshlrev_b32_e32 v14, 20, v14
	v_and_b32_e32 v19, 0x80000000, v19
	v_lshl_add_u32 v15, v15, 23, v55
	v_or3_b32 v15, v19, v15, v14
.LBB4_5139:                             ;   in Loop: Header=BB4_4836 Depth=2
	s_or_b64 exec, exec, s[56:57]
.LBB4_5140:                             ;   in Loop: Header=BB4_4836 Depth=2
	s_or_b64 exec, exec, s[54:55]
.LBB4_5141:                             ;   in Loop: Header=BB4_4836 Depth=2
	s_or_b64 exec, exec, s[18:19]
	v_add_f32_e32 v14, v27, v15
	v_and_b32_sdwa v26, v14, s71 dst_sel:DWORD dst_unused:UNUSED_PAD src0_sel:BYTE_3 src1_sel:DWORD
	v_and_b32_e32 v30, 0x7f800000, v14
	v_mov_b32_e32 v31, v37
	v_and_b32_e32 v36, 0x7fffff, v14
	v_or_b32_e32 v19, 0x7e, v26
	v_cmp_ne_u64_e32 vcc, s[38:39], v[30:31]
	s_and_saveexec_b64 s[18:19], vcc
	s_xor_b64 s[54:55], exec, s[18:19]
	s_cbranch_execz .LBB4_5155
; %bb.5142:                             ;   in Loop: Header=BB4_4836 Depth=2
	v_and_b32_e32 v30, 0x7fffffff, v14
	v_mov_b32_e32 v31, v37
	v_cmp_gt_u64_e32 vcc, s[40:41], v[30:31]
	s_and_saveexec_b64 s[18:19], vcc
	s_xor_b64 s[56:57], exec, s[18:19]
	s_cbranch_execz .LBB4_5154
; %bb.5143:                             ;   in Loop: Header=BB4_4836 Depth=2
	v_cmp_ne_u32_e32 vcc, 0, v14
	v_mov_b32_e32 v19, 0
	s_and_saveexec_b64 s[58:59], vcc
	s_cbranch_execz .LBB4_5153
; %bb.5144:                             ;   in Loop: Header=BB4_4836 Depth=2
	v_bfe_u32 v14, v14, 23, 8
	v_sub_u32_e32 v19, 0x79, v14
	v_cmp_gt_u32_e32 vcc, s72, v14
	v_add_u32_e32 v15, 0xffffff81, v14
	v_cndmask_b32_e32 v19, 0, v19, vcc
	v_cmp_eq_u32_e32 vcc, 0, v14
	v_mov_b32_e32 v14, 0xffffff82
	v_cndmask_b32_e32 v27, v15, v14, vcc
	v_mov_b32_e32 v14, 0x78
	v_or_b32_e32 v25, 0x800000, v36
	v_cndmask_b32_e32 v19, v19, v14, vcc
	v_cndmask_b32_e32 v36, v25, v36, vcc
	v_add_u32_e32 v14, 20, v19
	v_lshlrev_b64 v[14:15], v14, -1
	v_add_u32_e32 v25, 19, v19
	v_lshrrev_b64 v[34:35], v19, v[36:37]
	v_not_b32_e32 v15, v15
	v_not_b32_e32 v14, v14
	v_lshlrev_b64 v[32:33], v25, 1
	v_lshrrev_b32_e32 v25, 23, v34
	v_and_b32_e32 v15, 0, v15
	v_and_b32_e32 v14, v36, v14
	v_add3_u32 v30, v19, v27, v25
	v_bfe_u32 v25, v34, 20, 1
	v_add_u32_e32 v25, -1, v25
	v_cmp_eq_u64_e32 vcc, v[14:15], v[32:33]
	v_cndmask_b32_e32 v14, 0, v25, vcc
	v_add_u32_e32 v14, v14, v34
	v_and_b32_e32 v14, 0xfffff, v14
	v_add_co_u32_e32 v14, vcc, v14, v34
	v_add_u32_e32 v19, 6, v30
	v_addc_co_u32_e32 v15, vcc, 0, v35, vcc
	v_cmp_ne_u32_e32 vcc, 0, v19
                                        ; implicit-def: $vgpr27
	s_and_saveexec_b64 s[18:19], vcc
	s_xor_b64 s[18:19], exec, s[18:19]
; %bb.5145:                             ;   in Loop: Header=BB4_4836 Depth=2
	v_add_u32_e32 v25, 7, v30
	v_cmp_lt_u64_e32 vcc, s[44:45], v[14:15]
	v_cndmask_b32_e32 v27, v19, v25, vcc
	v_cndmask_b32_e64 v19, 0, 1, vcc
	v_lshrrev_b64 v[14:15], v19, v[14:15]
; %bb.5146:                             ;   in Loop: Header=BB4_4836 Depth=2
	s_andn2_saveexec_b64 s[18:19], s[18:19]
; %bb.5147:                             ;   in Loop: Header=BB4_4836 Depth=2
	v_bfe_u32 v27, v14, 23, 1
; %bb.5148:                             ;   in Loop: Header=BB4_4836 Depth=2
	s_or_b64 exec, exec, s[18:19]
	v_lshrrev_b64 v[14:15], 20, v[14:15]
	v_cmp_gt_i32_e32 vcc, 16, v27
	v_cndmask_b32_e32 v15, 0, v15, vcc
	v_cndmask_b32_e32 v14, 7, v14, vcc
	v_cmp_ne_u32_e32 vcc, 0, v27
	v_cmp_ne_u64_e64 s[18:19], 0, v[14:15]
	s_or_b64 s[18:19], vcc, s[18:19]
                                        ; implicit-def: $vgpr19
	s_and_saveexec_b64 vcc, s[18:19]
	s_xor_b64 s[18:19], exec, vcc
; %bb.5149:                             ;   in Loop: Header=BB4_4836 Depth=2
	v_min_i32_e32 v15, 15, v27
	v_lshl_or_b32 v15, v15, 3, v26
	v_and_or_b32 v19, v14, 7, v15
                                        ; implicit-def: $vgpr26
; %bb.5150:                             ;   in Loop: Header=BB4_4836 Depth=2
	s_andn2_saveexec_b64 s[18:19], s[18:19]
; %bb.5151:                             ;   in Loop: Header=BB4_4836 Depth=2
	v_mov_b32_e32 v19, v26
; %bb.5152:                             ;   in Loop: Header=BB4_4836 Depth=2
	s_or_b64 exec, exec, s[18:19]
.LBB4_5153:                             ;   in Loop: Header=BB4_4836 Depth=2
	s_or_b64 exec, exec, s[58:59]
.LBB4_5154:                             ;   in Loop: Header=BB4_4836 Depth=2
	s_andn2_saveexec_b64 s[18:19], s[56:57]
	s_or_b64 exec, exec, s[18:19]
                                        ; implicit-def: $vgpr14
.LBB4_5155:                             ;   in Loop: Header=BB4_4836 Depth=2
	s_andn2_saveexec_b64 s[18:19], s[54:55]
; %bb.5156:                             ;   in Loop: Header=BB4_4836 Depth=2
	v_or_b32_sdwa v14, v14, s69 dst_sel:DWORD dst_unused:UNUSED_PAD src0_sel:BYTE_3 src1_sel:DWORD
	v_cmp_eq_u64_e32 vcc, 0, v[36:37]
	v_cndmask_b32_e32 v19, v14, v19, vcc
; %bb.5157:                             ;   in Loop: Header=BB4_4836 Depth=2
	s_or_b64 exec, exec, s[18:19]
	v_and_b32_e32 v14, 0xff, v18
	v_cmp_ne_u16_e32 vcc, 0, v14
	v_mov_b32_e32 v15, 0
	v_mov_b32_e32 v26, 0
	s_and_saveexec_b64 s[18:19], vcc
	s_cbranch_execz .LBB4_5163
; %bb.5158:                             ;   in Loop: Header=BB4_4836 Depth=2
	v_cmp_ne_u16_e32 vcc, s71, v14
	v_bfrev_b32_e32 v26, 1
	s_and_saveexec_b64 s[54:55], vcc
	s_cbranch_execz .LBB4_5162
; %bb.5159:                             ;   in Loop: Header=BB4_4836 Depth=2
	v_and_b32_e32 v27, 0x7f, v18
	v_cmp_ne_u32_e32 vcc, s69, v27
	v_mov_b32_e32 v26, 0x7f800001
	s_and_saveexec_b64 s[56:57], vcc
	s_cbranch_execz .LBB4_5161
; %bb.5160:                             ;   in Loop: Header=BB4_4836 Depth=2
	v_and_b32_e32 v25, 7, v14
	v_ffbh_u32_e32 v30, v25
	v_min_u32_e32 v32, 32, v30
	v_subrev_u32_e32 v30, 28, v32
	v_lshlrev_b64 v[30:31], v30, v[14:15]
	v_lshrrev_b32_e32 v26, 3, v27
	v_sub_u32_e32 v14, 29, v32
	v_and_b32_e32 v30, 7, v30
	v_cmp_gt_u32_e32 vcc, 8, v27
	v_cndmask_b32_e32 v14, v26, v14, vcc
	v_cndmask_b32_e32 v25, v25, v30, vcc
	v_lshlrev_b32_e32 v18, 24, v18
	v_lshlrev_b32_e32 v25, 20, v25
	v_and_b32_e32 v18, 0x80000000, v18
	v_lshl_add_u32 v14, v14, 23, v55
	v_or3_b32 v26, v18, v14, v25
.LBB4_5161:                             ;   in Loop: Header=BB4_4836 Depth=2
	s_or_b64 exec, exec, s[56:57]
.LBB4_5162:                             ;   in Loop: Header=BB4_4836 Depth=2
	s_or_b64 exec, exec, s[54:55]
.LBB4_5163:                             ;   in Loop: Header=BB4_4836 Depth=2
	s_or_b64 exec, exec, s[18:19]
	v_and_b32_e32 v14, 0xff, v24
	v_cmp_ne_u16_e32 vcc, 0, v14
	s_and_saveexec_b64 s[18:19], vcc
	s_cbranch_execz .LBB4_5169
; %bb.5164:                             ;   in Loop: Header=BB4_4836 Depth=2
	v_cmp_ne_u16_e32 vcc, s71, v14
	v_bfrev_b32_e32 v15, 1
	s_and_saveexec_b64 s[54:55], vcc
	s_cbranch_execz .LBB4_5168
; %bb.5165:                             ;   in Loop: Header=BB4_4836 Depth=2
	v_and_b32_e32 v18, 0x7f, v24
	v_cmp_ne_u32_e32 vcc, s69, v18
	v_mov_b32_e32 v15, 0x7f800001
	s_and_saveexec_b64 s[56:57], vcc
	s_cbranch_execz .LBB4_5167
; %bb.5166:                             ;   in Loop: Header=BB4_4836 Depth=2
	v_and_b32_e32 v25, 7, v14
	v_ffbh_u32_e32 v15, v25
	v_min_u32_e32 v30, 32, v15
	v_subrev_u32_e32 v15, 28, v30
	v_lshlrev_b64 v[14:15], v15, v[14:15]
	v_lshrrev_b32_e32 v27, 3, v18
	v_sub_u32_e32 v15, 29, v30
	v_and_b32_e32 v14, 7, v14
	v_cmp_gt_u32_e32 vcc, 8, v18
	v_cndmask_b32_e32 v15, v27, v15, vcc
	v_cndmask_b32_e32 v14, v25, v14, vcc
	v_lshlrev_b32_e32 v18, 24, v24
	v_lshlrev_b32_e32 v14, 20, v14
	v_and_b32_e32 v18, 0x80000000, v18
	v_lshl_add_u32 v15, v15, 23, v55
	v_or3_b32 v15, v18, v15, v14
.LBB4_5167:                             ;   in Loop: Header=BB4_4836 Depth=2
	s_or_b64 exec, exec, s[56:57]
.LBB4_5168:                             ;   in Loop: Header=BB4_4836 Depth=2
	s_or_b64 exec, exec, s[54:55]
.LBB4_5169:                             ;   in Loop: Header=BB4_4836 Depth=2
	s_or_b64 exec, exec, s[18:19]
	v_add_f32_e32 v14, v26, v15
	v_and_b32_sdwa v24, v14, s71 dst_sel:DWORD dst_unused:UNUSED_PAD src0_sel:BYTE_3 src1_sel:DWORD
	v_and_b32_e32 v26, 0x7f800000, v14
	v_mov_b32_e32 v27, v37
	v_and_b32_e32 v36, 0x7fffff, v14
	v_or_b32_e32 v18, 0x7e, v24
	v_cmp_ne_u64_e32 vcc, s[38:39], v[26:27]
	s_and_saveexec_b64 s[18:19], vcc
	s_xor_b64 s[54:55], exec, s[18:19]
	s_cbranch_execz .LBB4_5183
; %bb.5170:                             ;   in Loop: Header=BB4_4836 Depth=2
	v_and_b32_e32 v26, 0x7fffffff, v14
	v_mov_b32_e32 v27, v37
	v_cmp_gt_u64_e32 vcc, s[40:41], v[26:27]
	s_and_saveexec_b64 s[18:19], vcc
	s_xor_b64 s[56:57], exec, s[18:19]
	s_cbranch_execz .LBB4_5182
; %bb.5171:                             ;   in Loop: Header=BB4_4836 Depth=2
	v_cmp_ne_u32_e32 vcc, 0, v14
	v_mov_b32_e32 v18, 0
	s_and_saveexec_b64 s[58:59], vcc
	s_cbranch_execz .LBB4_5181
; %bb.5172:                             ;   in Loop: Header=BB4_4836 Depth=2
	v_bfe_u32 v14, v14, 23, 8
	v_sub_u32_e32 v18, 0x79, v14
	v_cmp_gt_u32_e32 vcc, s72, v14
	v_add_u32_e32 v15, 0xffffff81, v14
	v_cndmask_b32_e32 v18, 0, v18, vcc
	v_cmp_eq_u32_e32 vcc, 0, v14
	v_mov_b32_e32 v14, 0xffffff82
	v_cndmask_b32_e32 v26, v15, v14, vcc
	v_mov_b32_e32 v14, 0x78
	v_or_b32_e32 v25, 0x800000, v36
	v_cndmask_b32_e32 v18, v18, v14, vcc
	v_cndmask_b32_e32 v36, v25, v36, vcc
	v_add_u32_e32 v14, 20, v18
	v_lshlrev_b64 v[14:15], v14, -1
	v_add_u32_e32 v25, 19, v18
	v_lshrrev_b64 v[32:33], v18, v[36:37]
	v_not_b32_e32 v15, v15
	v_not_b32_e32 v14, v14
	v_lshlrev_b64 v[30:31], v25, 1
	v_lshrrev_b32_e32 v25, 23, v32
	v_and_b32_e32 v15, 0, v15
	v_and_b32_e32 v14, v36, v14
	v_add3_u32 v27, v18, v26, v25
	v_bfe_u32 v25, v32, 20, 1
	v_add_u32_e32 v25, -1, v25
	v_cmp_eq_u64_e32 vcc, v[14:15], v[30:31]
	v_cndmask_b32_e32 v14, 0, v25, vcc
	v_add_u32_e32 v14, v14, v32
	v_and_b32_e32 v14, 0xfffff, v14
	v_add_co_u32_e32 v14, vcc, v14, v32
	v_add_u32_e32 v18, 6, v27
	v_addc_co_u32_e32 v15, vcc, 0, v33, vcc
	v_cmp_ne_u32_e32 vcc, 0, v18
                                        ; implicit-def: $vgpr26
	s_and_saveexec_b64 s[18:19], vcc
	s_xor_b64 s[18:19], exec, s[18:19]
; %bb.5173:                             ;   in Loop: Header=BB4_4836 Depth=2
	v_add_u32_e32 v25, 7, v27
	v_cmp_lt_u64_e32 vcc, s[44:45], v[14:15]
	v_cndmask_b32_e32 v26, v18, v25, vcc
	v_cndmask_b32_e64 v18, 0, 1, vcc
	v_lshrrev_b64 v[14:15], v18, v[14:15]
; %bb.5174:                             ;   in Loop: Header=BB4_4836 Depth=2
	s_andn2_saveexec_b64 s[18:19], s[18:19]
; %bb.5175:                             ;   in Loop: Header=BB4_4836 Depth=2
	v_bfe_u32 v26, v14, 23, 1
; %bb.5176:                             ;   in Loop: Header=BB4_4836 Depth=2
	s_or_b64 exec, exec, s[18:19]
	v_lshrrev_b64 v[14:15], 20, v[14:15]
	v_cmp_gt_i32_e32 vcc, 16, v26
	v_cndmask_b32_e32 v15, 0, v15, vcc
	v_cndmask_b32_e32 v14, 7, v14, vcc
	v_cmp_ne_u32_e32 vcc, 0, v26
	v_cmp_ne_u64_e64 s[18:19], 0, v[14:15]
	s_or_b64 s[18:19], vcc, s[18:19]
                                        ; implicit-def: $vgpr18
	s_and_saveexec_b64 vcc, s[18:19]
	s_xor_b64 s[18:19], exec, vcc
; %bb.5177:                             ;   in Loop: Header=BB4_4836 Depth=2
	v_min_i32_e32 v15, 15, v26
	v_lshl_or_b32 v15, v15, 3, v24
	v_and_or_b32 v18, v14, 7, v15
                                        ; implicit-def: $vgpr24
; %bb.5178:                             ;   in Loop: Header=BB4_4836 Depth=2
	s_andn2_saveexec_b64 s[18:19], s[18:19]
; %bb.5179:                             ;   in Loop: Header=BB4_4836 Depth=2
	v_mov_b32_e32 v18, v24
; %bb.5180:                             ;   in Loop: Header=BB4_4836 Depth=2
	s_or_b64 exec, exec, s[18:19]
.LBB4_5181:                             ;   in Loop: Header=BB4_4836 Depth=2
	s_or_b64 exec, exec, s[58:59]
.LBB4_5182:                             ;   in Loop: Header=BB4_4836 Depth=2
	s_andn2_saveexec_b64 s[18:19], s[56:57]
	s_or_b64 exec, exec, s[18:19]
                                        ; implicit-def: $vgpr14
.LBB4_5183:                             ;   in Loop: Header=BB4_4836 Depth=2
	s_andn2_saveexec_b64 s[18:19], s[54:55]
; %bb.5184:                             ;   in Loop: Header=BB4_4836 Depth=2
	v_or_b32_sdwa v14, v14, s69 dst_sel:DWORD dst_unused:UNUSED_PAD src0_sel:BYTE_3 src1_sel:DWORD
	v_cmp_eq_u64_e32 vcc, 0, v[36:37]
	v_cndmask_b32_e32 v18, v14, v18, vcc
; %bb.5185:                             ;   in Loop: Header=BB4_4836 Depth=2
	s_or_b64 exec, exec, s[18:19]
	v_and_b32_e32 v14, 0xff, v16
	v_cmp_ne_u16_e32 vcc, 0, v14
	v_mov_b32_e32 v15, 0
	v_mov_b32_e32 v24, 0
	s_and_saveexec_b64 s[18:19], vcc
	s_cbranch_execz .LBB4_5191
; %bb.5186:                             ;   in Loop: Header=BB4_4836 Depth=2
	v_cmp_ne_u16_e32 vcc, s71, v14
	v_bfrev_b32_e32 v24, 1
	s_and_saveexec_b64 s[54:55], vcc
	s_cbranch_execz .LBB4_5190
; %bb.5187:                             ;   in Loop: Header=BB4_4836 Depth=2
	v_and_b32_e32 v26, 0x7f, v16
	v_cmp_ne_u32_e32 vcc, s69, v26
	v_mov_b32_e32 v24, 0x7f800001
	s_and_saveexec_b64 s[56:57], vcc
	s_cbranch_execz .LBB4_5189
; %bb.5188:                             ;   in Loop: Header=BB4_4836 Depth=2
	v_and_b32_e32 v27, 7, v14
	v_ffbh_u32_e32 v24, v27
	v_min_u32_e32 v31, 32, v24
	v_subrev_u32_e32 v24, 28, v31
	v_lshlrev_b64 v[24:25], v24, v[14:15]
	v_lshrrev_b32_e32 v30, 3, v26
	v_sub_u32_e32 v14, 29, v31
	v_and_b32_e32 v24, 7, v24
	v_cmp_gt_u32_e32 vcc, 8, v26
	v_cndmask_b32_e32 v14, v30, v14, vcc
	v_cndmask_b32_e32 v24, v27, v24, vcc
	v_lshlrev_b32_e32 v16, 24, v16
	v_lshlrev_b32_e32 v24, 20, v24
	v_and_b32_e32 v16, 0x80000000, v16
	v_lshl_add_u32 v14, v14, 23, v55
	v_or3_b32 v24, v16, v14, v24
.LBB4_5189:                             ;   in Loop: Header=BB4_4836 Depth=2
	s_or_b64 exec, exec, s[56:57]
.LBB4_5190:                             ;   in Loop: Header=BB4_4836 Depth=2
	s_or_b64 exec, exec, s[54:55]
.LBB4_5191:                             ;   in Loop: Header=BB4_4836 Depth=2
	s_or_b64 exec, exec, s[18:19]
	v_and_b32_e32 v14, 0xff, v23
	v_cmp_ne_u16_e32 vcc, 0, v14
	s_and_saveexec_b64 s[18:19], vcc
	s_cbranch_execz .LBB4_5197
; %bb.5192:                             ;   in Loop: Header=BB4_4836 Depth=2
	v_cmp_ne_u16_e32 vcc, s71, v14
	v_bfrev_b32_e32 v15, 1
	s_and_saveexec_b64 s[54:55], vcc
	s_cbranch_execz .LBB4_5196
; %bb.5193:                             ;   in Loop: Header=BB4_4836 Depth=2
	v_and_b32_e32 v16, 0x7f, v23
	v_cmp_ne_u32_e32 vcc, s69, v16
	v_mov_b32_e32 v15, 0x7f800001
	s_and_saveexec_b64 s[56:57], vcc
	s_cbranch_execz .LBB4_5195
; %bb.5194:                             ;   in Loop: Header=BB4_4836 Depth=2
	v_and_b32_e32 v25, 7, v14
	v_ffbh_u32_e32 v15, v25
	v_min_u32_e32 v27, 32, v15
	v_subrev_u32_e32 v15, 28, v27
	v_lshlrev_b64 v[14:15], v15, v[14:15]
	v_lshrrev_b32_e32 v26, 3, v16
	v_sub_u32_e32 v15, 29, v27
	v_and_b32_e32 v14, 7, v14
	v_cmp_gt_u32_e32 vcc, 8, v16
	v_cndmask_b32_e32 v15, v26, v15, vcc
	v_cndmask_b32_e32 v14, v25, v14, vcc
	v_lshlrev_b32_e32 v16, 24, v23
	v_lshlrev_b32_e32 v14, 20, v14
	v_and_b32_e32 v16, 0x80000000, v16
	v_lshl_add_u32 v15, v15, 23, v55
	v_or3_b32 v15, v16, v15, v14
.LBB4_5195:                             ;   in Loop: Header=BB4_4836 Depth=2
	s_or_b64 exec, exec, s[56:57]
.LBB4_5196:                             ;   in Loop: Header=BB4_4836 Depth=2
	s_or_b64 exec, exec, s[54:55]
.LBB4_5197:                             ;   in Loop: Header=BB4_4836 Depth=2
	s_or_b64 exec, exec, s[18:19]
	v_add_f32_e32 v14, v24, v15
	v_and_b32_sdwa v23, v14, s71 dst_sel:DWORD dst_unused:UNUSED_PAD src0_sel:BYTE_3 src1_sel:DWORD
	v_and_b32_e32 v24, 0x7f800000, v14
	v_mov_b32_e32 v25, v37
	v_and_b32_e32 v36, 0x7fffff, v14
	v_or_b32_e32 v16, 0x7e, v23
	v_cmp_ne_u64_e32 vcc, s[38:39], v[24:25]
	s_and_saveexec_b64 s[18:19], vcc
	s_xor_b64 s[54:55], exec, s[18:19]
	s_cbranch_execz .LBB4_5211
; %bb.5198:                             ;   in Loop: Header=BB4_4836 Depth=2
	v_and_b32_e32 v24, 0x7fffffff, v14
	v_mov_b32_e32 v25, v37
	v_cmp_gt_u64_e32 vcc, s[40:41], v[24:25]
	s_and_saveexec_b64 s[18:19], vcc
	s_xor_b64 s[56:57], exec, s[18:19]
	s_cbranch_execz .LBB4_5210
; %bb.5199:                             ;   in Loop: Header=BB4_4836 Depth=2
	v_cmp_ne_u32_e32 vcc, 0, v14
	v_mov_b32_e32 v16, 0
	s_and_saveexec_b64 s[58:59], vcc
	s_cbranch_execz .LBB4_5209
; %bb.5200:                             ;   in Loop: Header=BB4_4836 Depth=2
	v_bfe_u32 v14, v14, 23, 8
	v_sub_u32_e32 v16, 0x79, v14
	v_cmp_gt_u32_e32 vcc, s72, v14
	v_add_u32_e32 v15, 0xffffff81, v14
	v_cndmask_b32_e32 v16, 0, v16, vcc
	v_cmp_eq_u32_e32 vcc, 0, v14
	v_mov_b32_e32 v14, 0xffffff82
	v_cndmask_b32_e32 v26, v15, v14, vcc
	v_mov_b32_e32 v14, 0x78
	v_or_b32_e32 v24, 0x800000, v36
	v_cndmask_b32_e32 v16, v16, v14, vcc
	v_cndmask_b32_e32 v36, v24, v36, vcc
	v_add_u32_e32 v14, 20, v16
	v_lshlrev_b64 v[14:15], v14, -1
	v_lshrrev_b64 v[30:31], v16, v[36:37]
	v_not_b32_e32 v15, v15
	v_not_b32_e32 v14, v14
	v_add_u32_e32 v24, 19, v16
	v_lshrrev_b32_e32 v27, 23, v30
	v_and_b32_e32 v15, 0, v15
	v_and_b32_e32 v14, v36, v14
	v_lshlrev_b64 v[24:25], v24, 1
	v_add3_u32 v26, v16, v26, v27
	v_bfe_u32 v27, v30, 20, 1
	v_add_u32_e32 v27, -1, v27
	v_cmp_eq_u64_e32 vcc, v[14:15], v[24:25]
	v_cndmask_b32_e32 v14, 0, v27, vcc
	v_add_u32_e32 v14, v14, v30
	v_and_b32_e32 v14, 0xfffff, v14
	v_add_co_u32_e32 v14, vcc, v14, v30
	v_add_u32_e32 v16, 6, v26
	v_addc_co_u32_e32 v15, vcc, 0, v31, vcc
	v_cmp_ne_u32_e32 vcc, 0, v16
                                        ; implicit-def: $vgpr24
	s_and_saveexec_b64 s[18:19], vcc
	s_xor_b64 s[18:19], exec, s[18:19]
; %bb.5201:                             ;   in Loop: Header=BB4_4836 Depth=2
	v_add_u32_e32 v24, 7, v26
	v_cmp_lt_u64_e32 vcc, s[44:45], v[14:15]
	v_cndmask_b32_e32 v24, v16, v24, vcc
	v_cndmask_b32_e64 v16, 0, 1, vcc
	v_lshrrev_b64 v[14:15], v16, v[14:15]
; %bb.5202:                             ;   in Loop: Header=BB4_4836 Depth=2
	s_andn2_saveexec_b64 s[18:19], s[18:19]
; %bb.5203:                             ;   in Loop: Header=BB4_4836 Depth=2
	v_bfe_u32 v24, v14, 23, 1
; %bb.5204:                             ;   in Loop: Header=BB4_4836 Depth=2
	s_or_b64 exec, exec, s[18:19]
	v_lshrrev_b64 v[14:15], 20, v[14:15]
	v_cmp_gt_i32_e32 vcc, 16, v24
	v_cndmask_b32_e32 v15, 0, v15, vcc
	v_cndmask_b32_e32 v14, 7, v14, vcc
	v_cmp_ne_u32_e32 vcc, 0, v24
	v_cmp_ne_u64_e64 s[18:19], 0, v[14:15]
	s_or_b64 s[18:19], vcc, s[18:19]
                                        ; implicit-def: $vgpr16
	s_and_saveexec_b64 vcc, s[18:19]
	s_xor_b64 s[18:19], exec, vcc
; %bb.5205:                             ;   in Loop: Header=BB4_4836 Depth=2
	v_min_i32_e32 v15, 15, v24
	v_lshl_or_b32 v15, v15, 3, v23
	v_and_or_b32 v16, v14, 7, v15
                                        ; implicit-def: $vgpr23
; %bb.5206:                             ;   in Loop: Header=BB4_4836 Depth=2
	s_andn2_saveexec_b64 s[18:19], s[18:19]
; %bb.5207:                             ;   in Loop: Header=BB4_4836 Depth=2
	v_mov_b32_e32 v16, v23
; %bb.5208:                             ;   in Loop: Header=BB4_4836 Depth=2
	s_or_b64 exec, exec, s[18:19]
.LBB4_5209:                             ;   in Loop: Header=BB4_4836 Depth=2
	s_or_b64 exec, exec, s[58:59]
.LBB4_5210:                             ;   in Loop: Header=BB4_4836 Depth=2
	s_andn2_saveexec_b64 s[18:19], s[56:57]
	s_or_b64 exec, exec, s[18:19]
                                        ; implicit-def: $vgpr14
.LBB4_5211:                             ;   in Loop: Header=BB4_4836 Depth=2
	s_andn2_saveexec_b64 s[18:19], s[54:55]
; %bb.5212:                             ;   in Loop: Header=BB4_4836 Depth=2
	v_or_b32_sdwa v14, v14, s69 dst_sel:DWORD dst_unused:UNUSED_PAD src0_sel:BYTE_3 src1_sel:DWORD
	v_cmp_eq_u64_e32 vcc, 0, v[36:37]
	v_cndmask_b32_e32 v16, v14, v16, vcc
; %bb.5213:                             ;   in Loop: Header=BB4_4836 Depth=2
	s_or_b64 exec, exec, s[18:19]
	v_and_b32_e32 v14, 0xff, v8
	v_cmp_ne_u16_e32 vcc, 0, v14
	v_mov_b32_e32 v15, 0
	v_mov_b32_e32 v23, 0
	s_and_saveexec_b64 s[18:19], vcc
	s_cbranch_execz .LBB4_5219
; %bb.5214:                             ;   in Loop: Header=BB4_4836 Depth=2
	v_cmp_ne_u16_e32 vcc, s71, v14
	v_bfrev_b32_e32 v23, 1
	s_and_saveexec_b64 s[54:55], vcc
	s_cbranch_execz .LBB4_5218
; %bb.5215:                             ;   in Loop: Header=BB4_4836 Depth=2
	v_and_b32_e32 v24, 0x7f, v8
	v_cmp_ne_u32_e32 vcc, s69, v24
	v_mov_b32_e32 v23, 0x7f800001
	s_and_saveexec_b64 s[56:57], vcc
	s_cbranch_execz .LBB4_5217
; %bb.5216:                             ;   in Loop: Header=BB4_4836 Depth=2
	v_and_b32_e32 v23, 7, v14
	v_ffbh_u32_e32 v26, v23
	v_min_u32_e32 v30, 32, v26
	v_subrev_u32_e32 v26, 28, v30
	v_lshlrev_b64 v[26:27], v26, v[14:15]
	v_lshrrev_b32_e32 v25, 3, v24
	v_sub_u32_e32 v14, 29, v30
	v_and_b32_e32 v26, 7, v26
	v_cmp_gt_u32_e32 vcc, 8, v24
	v_cndmask_b32_e32 v14, v25, v14, vcc
	v_cndmask_b32_e32 v23, v23, v26, vcc
	v_lshlrev_b32_e32 v8, 24, v8
	v_lshlrev_b32_e32 v23, 20, v23
	v_and_b32_e32 v8, 0x80000000, v8
	v_lshl_add_u32 v14, v14, 23, v55
	v_or3_b32 v23, v8, v14, v23
.LBB4_5217:                             ;   in Loop: Header=BB4_4836 Depth=2
	s_or_b64 exec, exec, s[56:57]
.LBB4_5218:                             ;   in Loop: Header=BB4_4836 Depth=2
	s_or_b64 exec, exec, s[54:55]
.LBB4_5219:                             ;   in Loop: Header=BB4_4836 Depth=2
	s_or_b64 exec, exec, s[18:19]
	v_and_b32_e32 v14, 0xff, v17
	v_cmp_ne_u16_e32 vcc, 0, v14
	s_and_saveexec_b64 s[18:19], vcc
	s_cbranch_execz .LBB4_5225
; %bb.5220:                             ;   in Loop: Header=BB4_4836 Depth=2
	v_cmp_ne_u16_e32 vcc, s71, v14
	v_bfrev_b32_e32 v15, 1
	s_and_saveexec_b64 s[54:55], vcc
	s_cbranch_execz .LBB4_5224
; %bb.5221:                             ;   in Loop: Header=BB4_4836 Depth=2
	v_and_b32_e32 v8, 0x7f, v17
	v_cmp_ne_u32_e32 vcc, s69, v8
	v_mov_b32_e32 v15, 0x7f800001
	s_and_saveexec_b64 s[56:57], vcc
	s_cbranch_execz .LBB4_5223
; %bb.5222:                             ;   in Loop: Header=BB4_4836 Depth=2
	v_and_b32_e32 v24, 7, v14
	v_ffbh_u32_e32 v15, v24
	v_min_u32_e32 v26, 32, v15
	v_subrev_u32_e32 v15, 28, v26
	v_lshlrev_b64 v[14:15], v15, v[14:15]
	v_lshrrev_b32_e32 v25, 3, v8
	v_sub_u32_e32 v15, 29, v26
	v_and_b32_e32 v14, 7, v14
	v_cmp_gt_u32_e32 vcc, 8, v8
	v_cndmask_b32_e32 v8, v25, v15, vcc
	v_cndmask_b32_e32 v14, v24, v14, vcc
	v_lshlrev_b32_e32 v15, 24, v17
	v_lshlrev_b32_e32 v14, 20, v14
	v_and_b32_e32 v15, 0x80000000, v15
	v_lshl_add_u32 v8, v8, 23, v55
	v_or3_b32 v15, v15, v8, v14
.LBB4_5223:                             ;   in Loop: Header=BB4_4836 Depth=2
	s_or_b64 exec, exec, s[56:57]
.LBB4_5224:                             ;   in Loop: Header=BB4_4836 Depth=2
	s_or_b64 exec, exec, s[54:55]
.LBB4_5225:                             ;   in Loop: Header=BB4_4836 Depth=2
	s_or_b64 exec, exec, s[18:19]
	v_add_f32_e32 v14, v23, v15
	v_and_b32_sdwa v17, v14, s71 dst_sel:DWORD dst_unused:UNUSED_PAD src0_sel:BYTE_3 src1_sel:DWORD
	v_and_b32_e32 v24, 0x7f800000, v14
	v_mov_b32_e32 v25, v37
	v_and_b32_e32 v36, 0x7fffff, v14
	v_or_b32_e32 v8, 0x7e, v17
	v_cmp_ne_u64_e32 vcc, s[38:39], v[24:25]
	s_and_saveexec_b64 s[18:19], vcc
	s_xor_b64 s[54:55], exec, s[18:19]
	s_cbranch_execz .LBB4_5239
; %bb.5226:                             ;   in Loop: Header=BB4_4836 Depth=2
	v_and_b32_e32 v24, 0x7fffffff, v14
	v_mov_b32_e32 v25, v37
	v_cmp_gt_u64_e32 vcc, s[40:41], v[24:25]
	s_and_saveexec_b64 s[18:19], vcc
	s_xor_b64 s[56:57], exec, s[18:19]
	s_cbranch_execz .LBB4_5238
; %bb.5227:                             ;   in Loop: Header=BB4_4836 Depth=2
	v_cmp_ne_u32_e32 vcc, 0, v14
	v_mov_b32_e32 v8, 0
	s_and_saveexec_b64 s[58:59], vcc
	s_cbranch_execz .LBB4_5237
; %bb.5228:                             ;   in Loop: Header=BB4_4836 Depth=2
	v_bfe_u32 v8, v14, 23, 8
	v_sub_u32_e32 v15, 0x79, v8
	v_cmp_gt_u32_e32 vcc, s72, v8
	v_add_u32_e32 v14, 0xffffff81, v8
	v_cndmask_b32_e32 v15, 0, v15, vcc
	v_cmp_eq_u32_e32 vcc, 0, v8
	v_mov_b32_e32 v8, 0xffffff82
	v_cndmask_b32_e32 v8, v14, v8, vcc
	v_mov_b32_e32 v14, 0x78
	v_or_b32_e32 v23, 0x800000, v36
	v_cndmask_b32_e32 v24, v15, v14, vcc
	v_cndmask_b32_e32 v36, v23, v36, vcc
	v_add_u32_e32 v14, 20, v24
	v_lshlrev_b64 v[14:15], v14, -1
	v_add_u32_e32 v23, 19, v24
	v_lshrrev_b64 v[30:31], v24, v[36:37]
	v_not_b32_e32 v15, v15
	v_not_b32_e32 v14, v14
	v_lshlrev_b64 v[26:27], v23, 1
	v_lshrrev_b32_e32 v23, 23, v30
	v_and_b32_e32 v15, 0, v15
	v_and_b32_e32 v14, v36, v14
	v_add3_u32 v24, v24, v8, v23
	v_bfe_u32 v23, v30, 20, 1
	v_add_u32_e32 v23, -1, v23
	v_cmp_eq_u64_e32 vcc, v[14:15], v[26:27]
	v_cndmask_b32_e32 v14, 0, v23, vcc
	v_add_u32_e32 v14, v14, v30
	v_and_b32_e32 v14, 0xfffff, v14
	v_add_co_u32_e32 v14, vcc, v14, v30
	v_add_u32_e32 v8, 6, v24
	v_addc_co_u32_e32 v15, vcc, 0, v31, vcc
	v_cmp_ne_u32_e32 vcc, 0, v8
                                        ; implicit-def: $vgpr23
	s_and_saveexec_b64 s[18:19], vcc
	s_xor_b64 s[18:19], exec, s[18:19]
; %bb.5229:                             ;   in Loop: Header=BB4_4836 Depth=2
	v_add_u32_e32 v23, 7, v24
	v_cmp_lt_u64_e32 vcc, s[44:45], v[14:15]
	v_cndmask_b32_e32 v23, v8, v23, vcc
	v_cndmask_b32_e64 v8, 0, 1, vcc
	v_lshrrev_b64 v[14:15], v8, v[14:15]
; %bb.5230:                             ;   in Loop: Header=BB4_4836 Depth=2
	s_andn2_saveexec_b64 s[18:19], s[18:19]
; %bb.5231:                             ;   in Loop: Header=BB4_4836 Depth=2
	v_bfe_u32 v23, v14, 23, 1
; %bb.5232:                             ;   in Loop: Header=BB4_4836 Depth=2
	s_or_b64 exec, exec, s[18:19]
	v_lshrrev_b64 v[14:15], 20, v[14:15]
	v_cmp_gt_i32_e32 vcc, 16, v23
	v_cndmask_b32_e32 v15, 0, v15, vcc
	v_cndmask_b32_e32 v14, 7, v14, vcc
	v_cmp_ne_u32_e32 vcc, 0, v23
	v_cmp_ne_u64_e64 s[18:19], 0, v[14:15]
	s_or_b64 s[18:19], vcc, s[18:19]
                                        ; implicit-def: $vgpr8
	s_and_saveexec_b64 vcc, s[18:19]
	s_xor_b64 s[18:19], exec, vcc
; %bb.5233:                             ;   in Loop: Header=BB4_4836 Depth=2
	v_min_i32_e32 v8, 15, v23
	v_lshl_or_b32 v8, v8, 3, v17
	v_and_or_b32 v8, v14, 7, v8
                                        ; implicit-def: $vgpr17
; %bb.5234:                             ;   in Loop: Header=BB4_4836 Depth=2
	s_andn2_saveexec_b64 s[18:19], s[18:19]
; %bb.5235:                             ;   in Loop: Header=BB4_4836 Depth=2
	v_mov_b32_e32 v8, v17
; %bb.5236:                             ;   in Loop: Header=BB4_4836 Depth=2
	s_or_b64 exec, exec, s[18:19]
.LBB4_5237:                             ;   in Loop: Header=BB4_4836 Depth=2
	s_or_b64 exec, exec, s[58:59]
.LBB4_5238:                             ;   in Loop: Header=BB4_4836 Depth=2
	s_andn2_saveexec_b64 s[18:19], s[56:57]
	s_or_b64 exec, exec, s[18:19]
                                        ; implicit-def: $vgpr14
.LBB4_5239:                             ;   in Loop: Header=BB4_4836 Depth=2
	s_andn2_saveexec_b64 s[18:19], s[54:55]
	s_cbranch_execz .LBB4_4835
; %bb.5240:                             ;   in Loop: Header=BB4_4836 Depth=2
	v_or_b32_sdwa v14, v14, s69 dst_sel:DWORD dst_unused:UNUSED_PAD src0_sel:BYTE_3 src1_sel:DWORD
	v_cmp_eq_u64_e32 vcc, 0, v[36:37]
	v_cndmask_b32_e32 v8, v14, v8, vcc
	s_branch .LBB4_4835
.LBB4_5241:                             ;   in Loop: Header=BB4_2718 Depth=1
	s_or_b64 exec, exec, s[52:53]
.LBB4_5242:                             ;   in Loop: Header=BB4_2718 Depth=1
	s_or_b64 exec, exec, s[50:51]
	v_lshlrev_b32_e32 v2, 9, v7
	v_cmp_ne_u32_e32 vcc, v5, v2
	s_and_b64 exec, exec, vcc
	s_cbranch_execz .LBB4_5301
; %bb.5243:                             ;   in Loop: Header=BB4_2718 Depth=1
	v_add_u32_e32 v1, v6, v1
	v_and_b32_e32 v1, 0xffffffc0, v1
	v_sub_u32_e32 v1, v6, v1
	v_lshlrev_b32_e32 v0, 6, v0
	v_sub_u32_e32 v0, v1, v0
	v_add_u32_e32 v1, v2, v0
	v_sub_u32_e32 v0, v5, v1
	v_cmp_lt_i32_e32 vcc, 0, v0
	s_and_b64 exec, exec, vcc
	s_cbranch_execz .LBB4_5301
; %bb.5244:                             ;   in Loop: Header=BB4_2718 Depth=1
	s_trap 2
	ds_read_b128 v[6:9], v0
	v_add_u32_e32 v1, v1, v4
	ds_read_b64 v[4:5], v0
	v_ashrrev_i32_e32 v13, 31, v1
	s_mov_b64 s[50:51], 0
	s_waitcnt lgkmcnt(0)
	v_add_co_u32_e32 v2, vcc, v6, v1
	v_addc_co_u32_e32 v3, vcc, v7, v13, vcc
	v_add_co_u32_e32 v10, vcc, v8, v1
	v_addc_co_u32_e32 v11, vcc, v9, v13, vcc
	;; [unrolled: 2-line block ×3, first 2 shown]
	s_branch .LBB4_5246
.LBB4_5245:                             ;   in Loop: Header=BB4_5246 Depth=2
	s_or_b64 exec, exec, s[18:19]
	v_add_co_u32_e32 v2, vcc, v2, v56
	v_addc_co_u32_e32 v3, vcc, v3, v47, vcc
	v_add_co_u32_e32 v10, vcc, v10, v56
	v_addc_co_u32_e32 v11, vcc, v11, v47, vcc
	v_sub_u32_e32 v0, v0, v56
	v_cmp_gt_i32_e32 vcc, 1, v0
	flat_store_byte v[12:13], v4 glc slc
	s_or_b64 s[50:51], vcc, s[50:51]
	v_add_co_u32_e32 v12, vcc, v12, v56
	v_addc_co_u32_e32 v13, vcc, v13, v47, vcc
	s_andn2_b64 exec, exec, s[50:51]
	s_cbranch_execz .LBB4_5301
.LBB4_5246:                             ;   Parent Loop BB4_2718 Depth=1
                                        ; =>  This Inner Loop Header: Depth=2
	s_trap 2
	ds_read_b64 v[14:15], v0
	s_waitcnt lgkmcnt(0)
	v_cmp_eq_u16_sdwa vcc, v14, v37 src0_sel:BYTE_0 src1_sel:DWORD
	v_readfirstlane_b32 s18, v14
	v_readfirstlane_b32 s19, v15
	s_and_b64 vcc, exec, vcc
	s_cbranch_vccnz .LBB4_5250
; %bb.5247:                             ;   in Loop: Header=BB4_5246 Depth=2
	v_cmp_eq_u32_sdwa vcc, v14, s71 src0_sel:BYTE_0 src1_sel:DWORD
	s_and_b64 vcc, exec, vcc
	s_brev_b32 s56, 1
	s_cbranch_vccnz .LBB4_5251
; %bb.5248:                             ;   in Loop: Header=BB4_5246 Depth=2
	s_and_b32 vcc_lo, s18, 0x7f
	s_cmpk_eq_i32 vcc_lo, 0x7f
	s_mov_b32 s56, 0x7f800001
	s_cbranch_scc1 .LBB4_5251
; %bb.5249:                             ;   in Loop: Header=BB4_5246 Depth=2
	s_and_b32 vcc_hi, s18, 7
	s_flbit_i32_b32 vcc_hi, vcc_hi
	s_min_u32 vcc_hi, vcc_hi, 32
	s_lshr_b32 s52, vcc_lo, 3
	s_sub_i32 s53, vcc_hi, 28
	s_sub_i32 vcc_hi, 29, vcc_hi
	s_cmp_lt_u32 vcc_lo, 8
	s_cselect_b32 vcc_lo, s53, 0
	s_cselect_b32 s52, vcc_hi, s52
	s_lshl_b64 vcc, s[18:19], vcc_lo
	s_lshl_b32 s19, vcc_lo, 20
	s_lshl_b32 s18, s18, 24
	s_lshl_b32 vcc_lo, s52, 23
	s_and_b32 s18, s18, 0x80000000
	s_add_i32 vcc_lo, vcc_lo, 0x3c000000
	s_and_b32 s19, s19, 0x700000
	s_or_b32 s18, s18, vcc_lo
	s_or_b32 s56, s18, s19
	s_branch .LBB4_5251
.LBB4_5250:                             ;   in Loop: Header=BB4_5246 Depth=2
	s_mov_b32 s56, 0
.LBB4_5251:                             ;   in Loop: Header=BB4_5246 Depth=2
	flat_load_ubyte v1, v[2:3] glc slc
	v_mov_b32_e32 v4, 0
	s_waitcnt vmcnt(0) lgkmcnt(0)
	v_cmp_ne_u16_e32 vcc, 0, v1
	s_and_saveexec_b64 s[18:19], vcc
	s_cbranch_execz .LBB4_5257
; %bb.5252:                             ;   in Loop: Header=BB4_5246 Depth=2
	v_cmp_ne_u16_e32 vcc, s71, v1
	v_bfrev_b32_e32 v4, 1
	s_and_saveexec_b64 s[52:53], vcc
	s_cbranch_execz .LBB4_5256
; %bb.5253:                             ;   in Loop: Header=BB4_5246 Depth=2
	v_and_b32_e32 v14, 0xffff, v1
	v_and_b32_e32 v5, 0x7f, v14
	v_cmp_ne_u32_e32 vcc, s69, v5
	v_mov_b32_e32 v4, 0x7f800001
	s_and_saveexec_b64 s[54:55], vcc
	s_cbranch_execz .LBB4_5255
; %bb.5254:                             ;   in Loop: Header=BB4_5246 Depth=2
	v_and_b32_e32 v4, 7, v14
	v_ffbh_u32_e32 v6, v4
	v_min_u32_e32 v9, 32, v6
	v_subrev_u32_e32 v6, 28, v9
	v_lshlrev_b64 v[6:7], v6, v[14:15]
	v_lshrrev_b32_e32 v8, 3, v5
	v_sub_u32_e32 v7, 29, v9
	v_and_b32_e32 v6, 7, v6
	v_cmp_gt_u32_e32 vcc, 8, v5
	v_cndmask_b32_e32 v5, v8, v7, vcc
	v_cndmask_b32_e32 v4, v4, v6, vcc
	v_lshlrev_b32_e32 v1, 24, v1
	v_lshlrev_b32_e32 v4, 20, v4
	v_and_b32_e32 v1, 0x80000000, v1
	v_lshl_add_u32 v5, v5, 23, v55
	v_or3_b32 v4, v1, v5, v4
.LBB4_5255:                             ;   in Loop: Header=BB4_5246 Depth=2
	s_or_b64 exec, exec, s[54:55]
.LBB4_5256:                             ;   in Loop: Header=BB4_5246 Depth=2
	s_or_b64 exec, exec, s[52:53]
.LBB4_5257:                             ;   in Loop: Header=BB4_5246 Depth=2
	s_or_b64 exec, exec, s[18:19]
	v_mul_f32_e32 v5, s56, v4
	v_and_b32_sdwa v4, v5, s71 dst_sel:DWORD dst_unused:UNUSED_PAD src0_sel:BYTE_3 src1_sel:DWORD
	v_and_b32_e32 v6, 0x7f800000, v5
	v_mov_b32_e32 v7, v37
	v_and_b32_e32 v36, 0x7fffff, v5
	v_or_b32_e32 v1, 0x7e, v4
	v_cmp_ne_u64_e32 vcc, s[38:39], v[6:7]
	s_and_saveexec_b64 s[18:19], vcc
	s_xor_b64 s[52:53], exec, s[18:19]
	s_cbranch_execz .LBB4_5271
; %bb.5258:                             ;   in Loop: Header=BB4_5246 Depth=2
	v_and_b32_e32 v6, 0x7fffffff, v5
	v_mov_b32_e32 v7, v37
	v_cmp_gt_u64_e32 vcc, s[40:41], v[6:7]
	s_and_saveexec_b64 s[18:19], vcc
	s_xor_b64 s[54:55], exec, s[18:19]
	s_cbranch_execz .LBB4_5270
; %bb.5259:                             ;   in Loop: Header=BB4_5246 Depth=2
	v_cmp_ne_u32_e32 vcc, 0, v5
	v_mov_b32_e32 v1, 0
	s_and_saveexec_b64 s[56:57], vcc
	s_cbranch_execz .LBB4_5269
; %bb.5260:                             ;   in Loop: Header=BB4_5246 Depth=2
	v_bfe_u32 v1, v5, 23, 8
	v_sub_u32_e32 v6, 0x79, v1
	v_cmp_gt_u32_e32 vcc, s72, v1
	v_add_u32_e32 v5, 0xffffff81, v1
	v_cndmask_b32_e32 v6, 0, v6, vcc
	v_cmp_eq_u32_e32 vcc, 0, v1
	v_mov_b32_e32 v1, 0xffffff82
	v_cndmask_b32_e32 v1, v5, v1, vcc
	v_mov_b32_e32 v5, 0x78
	v_cndmask_b32_e32 v5, v6, v5, vcc
	v_or_b32_e32 v7, 0x800000, v36
	v_add_u32_e32 v6, 20, v5
	v_cndmask_b32_e32 v36, v7, v36, vcc
	v_lshlrev_b64 v[6:7], v6, -1
	v_not_b32_e32 v6, v6
	v_and_b32_e32 v8, v36, v6
	v_add_u32_e32 v6, 19, v5
	v_lshrrev_b64 v[16:17], v5, v[36:37]
	v_not_b32_e32 v7, v7
	v_lshlrev_b64 v[14:15], v6, 1
	v_lshrrev_b32_e32 v6, 23, v16
	v_and_b32_e32 v9, 0, v7
	v_add3_u32 v6, v5, v1, v6
	v_bfe_u32 v5, v16, 20, 1
	v_add_u32_e32 v5, -1, v5
	v_cmp_eq_u64_e32 vcc, v[8:9], v[14:15]
	v_cndmask_b32_e32 v5, 0, v5, vcc
	v_add_u32_e32 v5, v5, v16
	v_and_b32_e32 v5, 0xfffff, v5
	v_add_co_u32_e32 v14, vcc, v5, v16
	v_add_u32_e32 v1, 6, v6
	v_addc_co_u32_e32 v15, vcc, 0, v17, vcc
	v_cmp_ne_u32_e32 vcc, 0, v1
                                        ; implicit-def: $vgpr5
	s_and_saveexec_b64 s[18:19], vcc
	s_xor_b64 s[18:19], exec, s[18:19]
; %bb.5261:                             ;   in Loop: Header=BB4_5246 Depth=2
	v_add_u32_e32 v5, 7, v6
	v_cmp_lt_u64_e32 vcc, s[44:45], v[14:15]
	v_cndmask_b32_e32 v5, v1, v5, vcc
	v_cndmask_b32_e64 v1, 0, 1, vcc
	v_lshrrev_b64 v[14:15], v1, v[14:15]
; %bb.5262:                             ;   in Loop: Header=BB4_5246 Depth=2
	s_andn2_saveexec_b64 s[18:19], s[18:19]
; %bb.5263:                             ;   in Loop: Header=BB4_5246 Depth=2
	v_bfe_u32 v5, v14, 23, 1
; %bb.5264:                             ;   in Loop: Header=BB4_5246 Depth=2
	s_or_b64 exec, exec, s[18:19]
	v_lshrrev_b64 v[6:7], 20, v[14:15]
	v_cmp_gt_i32_e32 vcc, 16, v5
	v_cndmask_b32_e32 v15, 0, v7, vcc
	v_cndmask_b32_e32 v14, 7, v6, vcc
	v_cmp_ne_u32_e32 vcc, 0, v5
	v_cmp_ne_u64_e64 s[18:19], 0, v[14:15]
	s_or_b64 s[18:19], vcc, s[18:19]
                                        ; implicit-def: $vgpr1
	s_and_saveexec_b64 vcc, s[18:19]
	s_xor_b64 s[18:19], exec, vcc
; %bb.5265:                             ;   in Loop: Header=BB4_5246 Depth=2
	v_min_i32_e32 v1, 15, v5
	v_lshl_or_b32 v1, v1, 3, v4
	v_and_or_b32 v1, v14, 7, v1
                                        ; implicit-def: $vgpr4
; %bb.5266:                             ;   in Loop: Header=BB4_5246 Depth=2
	s_andn2_saveexec_b64 s[18:19], s[18:19]
; %bb.5267:                             ;   in Loop: Header=BB4_5246 Depth=2
	v_mov_b32_e32 v1, v4
; %bb.5268:                             ;   in Loop: Header=BB4_5246 Depth=2
	s_or_b64 exec, exec, s[18:19]
.LBB4_5269:                             ;   in Loop: Header=BB4_5246 Depth=2
	s_or_b64 exec, exec, s[56:57]
.LBB4_5270:                             ;   in Loop: Header=BB4_5246 Depth=2
	s_andn2_saveexec_b64 s[18:19], s[54:55]
	s_or_b64 exec, exec, s[18:19]
                                        ; implicit-def: $vgpr5
.LBB4_5271:                             ;   in Loop: Header=BB4_5246 Depth=2
	s_andn2_saveexec_b64 s[18:19], s[52:53]
; %bb.5272:                             ;   in Loop: Header=BB4_5246 Depth=2
	v_or_b32_sdwa v4, v5, s69 dst_sel:DWORD dst_unused:UNUSED_PAD src0_sel:BYTE_3 src1_sel:DWORD
	v_cmp_eq_u64_e32 vcc, 0, v[36:37]
	v_cndmask_b32_e32 v1, v4, v1, vcc
; %bb.5273:                             ;   in Loop: Header=BB4_5246 Depth=2
	s_or_b64 exec, exec, s[18:19]
	flat_load_ubyte v5, v[10:11] glc slc
	v_and_b32_e32 v14, 0xff, v1
	v_cmp_ne_u16_e32 vcc, 0, v14
	v_mov_b32_e32 v4, 0
	v_mov_b32_e32 v6, 0
	s_and_saveexec_b64 s[18:19], vcc
	s_cbranch_execz .LBB4_5279
; %bb.5274:                             ;   in Loop: Header=BB4_5246 Depth=2
	v_cmp_ne_u16_e32 vcc, s71, v14
	v_bfrev_b32_e32 v6, 1
	s_and_saveexec_b64 s[52:53], vcc
	s_cbranch_execz .LBB4_5278
; %bb.5275:                             ;   in Loop: Header=BB4_5246 Depth=2
	v_and_b32_e32 v7, 0x7f, v1
	v_cmp_ne_u32_e32 vcc, s69, v7
	v_mov_b32_e32 v6, 0x7f800001
	s_and_saveexec_b64 s[54:55], vcc
	s_cbranch_execz .LBB4_5277
; %bb.5276:                             ;   in Loop: Header=BB4_5246 Depth=2
	v_and_b32_e32 v6, 7, v14
	v_ffbh_u32_e32 v8, v6
	v_min_u32_e32 v16, 32, v8
	v_lshrrev_b32_e32 v15, 3, v7
	v_subrev_u32_e32 v8, 28, v16
	v_lshlrev_b64 v[8:9], v8, v[14:15]
	v_sub_u32_e32 v9, 29, v16
	v_and_b32_e32 v8, 7, v8
	v_cmp_gt_u32_e32 vcc, 8, v7
	v_cndmask_b32_e32 v7, v15, v9, vcc
	v_cndmask_b32_e32 v6, v6, v8, vcc
	v_lshlrev_b32_e32 v1, 24, v1
	v_lshlrev_b32_e32 v6, 20, v6
	v_and_b32_e32 v1, 0x80000000, v1
	v_lshl_add_u32 v7, v7, 23, v55
	v_or3_b32 v6, v1, v7, v6
.LBB4_5277:                             ;   in Loop: Header=BB4_5246 Depth=2
	s_or_b64 exec, exec, s[54:55]
.LBB4_5278:                             ;   in Loop: Header=BB4_5246 Depth=2
	s_or_b64 exec, exec, s[52:53]
.LBB4_5279:                             ;   in Loop: Header=BB4_5246 Depth=2
	s_or_b64 exec, exec, s[18:19]
	s_waitcnt vmcnt(0) lgkmcnt(0)
	v_and_b32_e32 v14, 0xff, v5
	v_cmp_ne_u16_e32 vcc, 0, v14
	s_and_saveexec_b64 s[18:19], vcc
	s_cbranch_execz .LBB4_5285
; %bb.5280:                             ;   in Loop: Header=BB4_5246 Depth=2
	v_cmp_ne_u16_e32 vcc, s71, v14
	v_bfrev_b32_e32 v4, 1
	s_and_saveexec_b64 s[52:53], vcc
	s_cbranch_execz .LBB4_5284
; %bb.5281:                             ;   in Loop: Header=BB4_5246 Depth=2
	v_and_b32_e32 v1, 0x7f, v5
	v_cmp_ne_u32_e32 vcc, s69, v1
	v_mov_b32_e32 v4, 0x7f800001
	s_and_saveexec_b64 s[54:55], vcc
	s_cbranch_execz .LBB4_5283
; %bb.5282:                             ;   in Loop: Header=BB4_5246 Depth=2
	v_and_b32_e32 v7, 7, v14
	v_lshlrev_b32_e32 v4, 24, v5
	v_and_b32_e32 v9, 0x80000000, v4
	v_ffbh_u32_e32 v4, v7
	v_min_u32_e32 v15, 32, v4
	v_subrev_u32_e32 v4, 28, v15
	v_lshlrev_b64 v[4:5], v4, v[14:15]
	v_lshrrev_b32_e32 v8, 3, v1
	v_sub_u32_e32 v5, 29, v15
	v_and_b32_e32 v4, 7, v4
	v_cmp_gt_u32_e32 vcc, 8, v1
	v_cndmask_b32_e32 v1, v8, v5, vcc
	v_cndmask_b32_e32 v4, v7, v4, vcc
	v_lshlrev_b32_e32 v4, 20, v4
	v_lshl_add_u32 v1, v1, 23, v55
	v_or3_b32 v4, v9, v1, v4
.LBB4_5283:                             ;   in Loop: Header=BB4_5246 Depth=2
	s_or_b64 exec, exec, s[54:55]
.LBB4_5284:                             ;   in Loop: Header=BB4_5246 Depth=2
	s_or_b64 exec, exec, s[52:53]
.LBB4_5285:                             ;   in Loop: Header=BB4_5246 Depth=2
	s_or_b64 exec, exec, s[18:19]
	v_add_f32_e32 v5, v6, v4
	v_and_b32_sdwa v1, v5, s71 dst_sel:DWORD dst_unused:UNUSED_PAD src0_sel:BYTE_3 src1_sel:DWORD
	v_and_b32_e32 v6, 0x7f800000, v5
	v_mov_b32_e32 v7, v37
	v_and_b32_e32 v36, 0x7fffff, v5
	v_or_b32_e32 v4, 0x7e, v1
	v_cmp_ne_u64_e32 vcc, s[38:39], v[6:7]
	s_and_saveexec_b64 s[18:19], vcc
	s_xor_b64 s[52:53], exec, s[18:19]
	s_cbranch_execz .LBB4_5299
; %bb.5286:                             ;   in Loop: Header=BB4_5246 Depth=2
	v_and_b32_e32 v6, 0x7fffffff, v5
	v_mov_b32_e32 v7, v37
	v_cmp_gt_u64_e32 vcc, s[40:41], v[6:7]
	s_and_saveexec_b64 s[18:19], vcc
	s_xor_b64 s[54:55], exec, s[18:19]
	s_cbranch_execz .LBB4_5298
; %bb.5287:                             ;   in Loop: Header=BB4_5246 Depth=2
	v_cmp_ne_u32_e32 vcc, 0, v5
	v_mov_b32_e32 v4, 0
	s_and_saveexec_b64 s[56:57], vcc
	s_cbranch_execz .LBB4_5297
; %bb.5288:                             ;   in Loop: Header=BB4_5246 Depth=2
	v_bfe_u32 v4, v5, 23, 8
	v_sub_u32_e32 v6, 0x79, v4
	v_cmp_gt_u32_e32 vcc, s72, v4
	v_add_u32_e32 v5, 0xffffff81, v4
	v_cndmask_b32_e32 v6, 0, v6, vcc
	v_cmp_eq_u32_e32 vcc, 0, v4
	v_mov_b32_e32 v4, 0xffffff82
	v_cndmask_b32_e32 v18, v5, v4, vcc
	v_mov_b32_e32 v4, 0x78
	v_cndmask_b32_e32 v6, v6, v4, vcc
	v_add_u32_e32 v4, 20, v6
	v_or_b32_e32 v7, 0x800000, v36
	v_lshlrev_b64 v[4:5], v4, -1
	v_cndmask_b32_e32 v36, v7, v36, vcc
	v_not_b32_e32 v4, v4
	v_not_b32_e32 v5, v5
	v_and_b32_e32 v8, v36, v4
	v_add_u32_e32 v4, 19, v6
	v_lshrrev_b64 v[16:17], v6, v[36:37]
	v_and_b32_e32 v9, 0, v5
	v_lshlrev_b64 v[14:15], v4, 1
	v_bfe_u32 v5, v16, 20, 1
	v_add_u32_e32 v5, -1, v5
	v_cmp_eq_u64_e32 vcc, v[8:9], v[14:15]
	v_cndmask_b32_e32 v5, 0, v5, vcc
	v_add_u32_e32 v5, v5, v16
	v_lshrrev_b32_e32 v4, 23, v16
	v_and_b32_e32 v5, 0xfffff, v5
	v_add3_u32 v6, v6, v18, v4
	v_add_co_u32_e32 v14, vcc, v5, v16
	v_add_u32_e32 v4, 6, v6
	v_addc_co_u32_e32 v15, vcc, 0, v17, vcc
	v_cmp_ne_u32_e32 vcc, 0, v4
                                        ; implicit-def: $vgpr5
	s_and_saveexec_b64 s[18:19], vcc
	s_xor_b64 s[18:19], exec, s[18:19]
; %bb.5289:                             ;   in Loop: Header=BB4_5246 Depth=2
	v_add_u32_e32 v5, 7, v6
	v_cmp_lt_u64_e32 vcc, s[44:45], v[14:15]
	v_cndmask_b32_e32 v5, v4, v5, vcc
	v_cndmask_b32_e64 v4, 0, 1, vcc
	v_lshrrev_b64 v[14:15], v4, v[14:15]
; %bb.5290:                             ;   in Loop: Header=BB4_5246 Depth=2
	s_andn2_saveexec_b64 s[18:19], s[18:19]
; %bb.5291:                             ;   in Loop: Header=BB4_5246 Depth=2
	v_bfe_u32 v5, v14, 23, 1
; %bb.5292:                             ;   in Loop: Header=BB4_5246 Depth=2
	s_or_b64 exec, exec, s[18:19]
	v_lshrrev_b64 v[6:7], 20, v[14:15]
	v_cmp_gt_i32_e32 vcc, 16, v5
	v_cndmask_b32_e32 v15, 0, v7, vcc
	v_cndmask_b32_e32 v14, 7, v6, vcc
	v_cmp_ne_u32_e32 vcc, 0, v5
	v_cmp_ne_u64_e64 s[18:19], 0, v[14:15]
	s_or_b64 s[18:19], vcc, s[18:19]
                                        ; implicit-def: $vgpr4
	s_and_saveexec_b64 vcc, s[18:19]
	s_xor_b64 s[18:19], exec, vcc
; %bb.5293:                             ;   in Loop: Header=BB4_5246 Depth=2
	v_min_i32_e32 v4, 15, v5
	v_lshl_or_b32 v1, v4, 3, v1
	v_and_or_b32 v4, v14, 7, v1
                                        ; implicit-def: $vgpr1
; %bb.5294:                             ;   in Loop: Header=BB4_5246 Depth=2
	s_andn2_saveexec_b64 s[18:19], s[18:19]
; %bb.5295:                             ;   in Loop: Header=BB4_5246 Depth=2
	v_mov_b32_e32 v4, v1
; %bb.5296:                             ;   in Loop: Header=BB4_5246 Depth=2
	s_or_b64 exec, exec, s[18:19]
.LBB4_5297:                             ;   in Loop: Header=BB4_5246 Depth=2
	s_or_b64 exec, exec, s[56:57]
.LBB4_5298:                             ;   in Loop: Header=BB4_5246 Depth=2
	s_andn2_saveexec_b64 s[18:19], s[54:55]
	s_or_b64 exec, exec, s[18:19]
                                        ; implicit-def: $vgpr5
.LBB4_5299:                             ;   in Loop: Header=BB4_5246 Depth=2
	s_andn2_saveexec_b64 s[18:19], s[52:53]
	s_cbranch_execz .LBB4_5245
; %bb.5300:                             ;   in Loop: Header=BB4_5246 Depth=2
	v_or_b32_sdwa v1, v5, s69 dst_sel:DWORD dst_unused:UNUSED_PAD src0_sel:BYTE_3 src1_sel:DWORD
	v_cmp_eq_u64_e32 vcc, 0, v[36:37]
	v_cndmask_b32_e32 v4, v1, v4, vcc
	s_branch .LBB4_5245
.LBB4_5301:                             ;   in Loop: Header=BB4_2718 Depth=1
	s_or_b64 exec, exec, s[20:21]
	v_cmp_ne_u32_e64 s[18:19], 0, v41
.LBB4_5302:                             ;   in Loop: Header=BB4_2718 Depth=1
	s_and_saveexec_b64 s[20:21], s[10:11]
	s_cbranch_execz .LBB4_5321
; %bb.5303:                             ;   in Loop: Header=BB4_2718 Depth=1
	s_and_saveexec_b64 vcc, s[30:31]
	s_xor_b64 s[50:51], exec, vcc
	s_cbranch_execz .LBB4_5318
; %bb.5304:                             ;   in Loop: Header=BB4_2718 Depth=1
	s_and_saveexec_b64 s[52:53], s[12:13]
	s_cbranch_execz .LBB4_5317
; %bb.5305:                             ;   in Loop: Header=BB4_2718 Depth=1
	s_mov_b64 s[56:57], exec
	v_mbcnt_lo_u32_b32 v0, s56, 0
	v_mbcnt_hi_u32_b32 v0, s57, v0
	v_cmp_eq_u32_e32 vcc, 0, v0
	s_waitcnt vmcnt(0) lgkmcnt(0)
	buffer_wbinvl1_vol
	s_and_saveexec_b64 s[54:55], vcc
	s_cbranch_execz .LBB4_5307
; %bb.5306:                             ;   in Loop: Header=BB4_2718 Depth=1
	s_bcnt1_i32_b64 vcc_lo, s[56:57]
	v_mov_b32_e32 v36, vcc_lo
	ds_add_u64 v0, v[36:37]
	s_trap 2
.LBB4_5307:                             ;   in Loop: Header=BB4_2718 Depth=1
	s_or_b64 exec, exec, s[54:55]
	s_trap 2
	ds_read_b64 v[0:1], v0
	v_accvgpr_read_b32 v2, a22
	v_accvgpr_read_b32 v3, a23
	v_add_co_u32_e32 v2, vcc, v2, v50
	v_addc_co_u32_e32 v3, vcc, 0, v3, vcc
	v_accvgpr_write_b32 a23, v3
	v_accvgpr_write_b32 a22, v2
	s_waitcnt lgkmcnt(0)
	v_cmp_lt_u64_e32 vcc, v[0:1], v[2:3]
	s_and_saveexec_b64 s[54:55], vcc
	s_cbranch_execz .LBB4_5316
; %bb.5308:                             ;   in Loop: Header=BB4_2718 Depth=1
	s_mov_b32 s76, 0
	s_mov_b64 s[56:57], 0
                                        ; implicit-def: $sgpr58_sgpr59
                                        ; implicit-def: $sgpr60_sgpr61
	s_branch .LBB4_5310
.LBB4_5309:                             ;   in Loop: Header=BB4_5310 Depth=2
	s_or_b64 exec, exec, s[64:65]
	s_and_b64 vcc, exec, vcc
	s_or_b64 s[56:57], vcc, s[56:57]
	s_andn2_b64 vcc, s[58:59], exec
	s_and_b64 s[58:59], s[60:61], exec
	s_or_b64 s[58:59], vcc, s[58:59]
	s_andn2_b64 exec, exec, s[56:57]
	s_cbranch_execz .LBB4_5314
.LBB4_5310:                             ;   Parent Loop BB4_2718 Depth=1
                                        ; =>  This Inner Loop Header: Depth=2
	s_add_i32 s76, s76, 1
	s_cmpk_lg_i32 s76, 0x2710
	s_cselect_b64 s[62:63], -1, 0
	s_and_b64 vcc, exec, s[62:63]
                                        ; implicit-def: $sgpr64_sgpr65
	s_cbranch_vccnz .LBB4_5312
; %bb.5311:                             ;   in Loop: Header=BB4_5310 Depth=2
	s_trap 2
	ds_read_b64 v[0:1], v0
	s_andn2_b64 s[62:63], s[62:63], exec
	s_mov_b32 s76, 0
	s_mov_b64 s[64:65], -1
	s_waitcnt lgkmcnt(0)
	flat_load_dword v0, v[0:1] glc
	s_waitcnt vmcnt(0) lgkmcnt(0)
	buffer_invl2
	buffer_wbinvl1_vol
	v_cmp_eq_u32_e32 vcc, 0, v0
	s_and_b64 vcc, vcc, exec
	s_or_b64 s[62:63], s[62:63], vcc
.LBB4_5312:                             ;   in Loop: Header=BB4_5310 Depth=2
	s_andn2_b64 s[60:61], s[60:61], exec
	s_and_b64 s[64:65], s[64:65], exec
	s_mov_b64 vcc, -1
	s_or_b64 s[60:61], s[60:61], s[64:65]
	s_and_saveexec_b64 s[64:65], s[62:63]
	s_cbranch_execz .LBB4_5309
; %bb.5313:                             ;   in Loop: Header=BB4_5310 Depth=2
	s_sleep 1
	s_trap 2
	ds_read_b64 v[0:1], v0
	v_accvgpr_read_b32 v2, a22
	v_accvgpr_read_b32 v3, a23
	s_andn2_b64 s[60:61], s[60:61], exec
	s_waitcnt lgkmcnt(0)
	v_cmp_ge_u64_e32 vcc, v[0:1], v[2:3]
	s_orn2_b64 vcc, vcc, exec
	s_branch .LBB4_5309
.LBB4_5314:                             ;   in Loop: Header=BB4_2718 Depth=1
	s_or_b64 exec, exec, s[56:57]
	s_and_saveexec_b64 vcc, s[58:59]
	s_xor_b64 vcc, exec, vcc
	s_cbranch_execz .LBB4_5316
; %bb.5315:                             ;   in Loop: Header=BB4_2718 Depth=1
	v_mov_b32_e32 v0, 1
	ds_write_b32 v0, v0
	s_trap 2
.LBB4_5316:                             ;   in Loop: Header=BB4_2718 Depth=1
	s_or_b64 exec, exec, s[54:55]
	;;#ASMSTART
	s_wakeup
	;;#ASMEND
.LBB4_5317:                             ;   in Loop: Header=BB4_2718 Depth=1
	s_or_b64 exec, exec, s[52:53]
.LBB4_5318:                             ;   in Loop: Header=BB4_2718 Depth=1
	s_andn2_saveexec_b64 vcc, s[50:51]
	s_cbranch_execz .LBB4_5320
; %bb.5319:                             ;   in Loop: Header=BB4_2718 Depth=1
	s_waitcnt vmcnt(0) lgkmcnt(0)
	buffer_wbinvl1_vol
	s_barrier
.LBB4_5320:                             ;   in Loop: Header=BB4_2718 Depth=1
	s_or_b64 exec, exec, vcc
.LBB4_5321:                             ;   in Loop: Header=BB4_2718 Depth=1
	s_or_b64 exec, exec, s[20:21]
	v_and_b32_e32 v0, 16, v59
	v_cmp_ne_u32_e32 vcc, 0, v0
	s_and_b64 s[20:21], vcc, s[18:19]
	s_and_saveexec_b64 s[18:19], s[20:21]
	s_cbranch_execz .LBB4_5323
; %bb.5322:                             ;   in Loop: Header=BB4_2718 Depth=1
	s_waitcnt vmcnt(0) lgkmcnt(0)
	buffer_wbinvl1_vol
.LBB4_5323:                             ;   in Loop: Header=BB4_2718 Depth=1
	s_or_b64 exec, exec, s[18:19]
	v_and_b32_e32 v0, 32, v59
	v_cmp_ne_u32_e32 vcc, 0, v0
	s_and_saveexec_b64 s[18:19], vcc
	s_cbranch_execz .LBB4_5325
; %bb.5324:                             ;   in Loop: Header=BB4_2718 Depth=1
	v_accvgpr_read_b32 v0, a12
	v_accvgpr_read_b32 v2, a14
	;; [unrolled: 1-line block ×3, first 2 shown]
	v_add_co_u32_e32 v2, vcc, 1, v2
	v_addc_co_u32_e32 v3, vcc, 0, v3, vcc
	v_accvgpr_read_b32 v1, a13
	v_accvgpr_write_b32 a15, v3
	v_accvgpr_write_b32 a14, v2
	;; [unrolled: 1-line block ×4, first 2 shown]
	v_accvgpr_read_b32 v0, a16
	v_accvgpr_read_b32 v1, a17
	flat_store_dwordx2 v[0:1], v[2:3]
.LBB4_5325:                             ;   in Loop: Header=BB4_2718 Depth=1
	s_or_b64 exec, exec, s[18:19]
	v_mov_b32_e32 v0, v53
.LBB4_5326:                             ;   in Loop: Header=BB4_2718 Depth=1
	s_or_b64 exec, exec, s[48:49]
	s_and_saveexec_b64 s[20:21], s[46:47]
	s_cbranch_execz .LBB4_2717
; %bb.5327:                             ;   in Loop: Header=BB4_2718 Depth=1
	v_and_b32_e32 v1, 4, v59
	v_cmp_ne_u32_e32 vcc, 0, v1
	s_mov_b64 s[46:47], -1
	s_and_saveexec_b64 s[18:19], vcc
	s_cbranch_execnz .LBB4_5330
; %bb.5328:                             ;   in Loop: Header=BB4_2718 Depth=1
	s_or_b64 exec, exec, s[18:19]
	s_xor_b64 s[18:19], s[46:47], -1
	s_and_saveexec_b64 s[46:47], s[18:19]
	s_cbranch_execnz .LBB4_5341
.LBB4_5329:                             ;   in Loop: Header=BB4_2718 Depth=1
	s_or_b64 exec, exec, s[46:47]
	s_and_saveexec_b64 s[18:19], s[10:11]
	s_cbranch_execnz .LBB4_5350
	s_branch .LBB4_5368
.LBB4_5330:                             ;   in Loop: Header=BB4_2718 Depth=1
	v_accvgpr_read_b32 v2, a12
	v_accvgpr_read_b32 v4, a14
	;; [unrolled: 1-line block ×4, first 2 shown]
	v_add_co_u32_e32 v2, vcc, 1, v4
	v_addc_co_u32_e32 v3, vcc, 0, v5, vcc
	v_cmp_lt_u64_e32 vcc, v[28:29], v[2:3]
	v_mov_b32_e32 v1, 1
	s_and_saveexec_b64 s[46:47], vcc
	s_cbranch_execz .LBB4_5340
; %bb.5331:                             ;   in Loop: Header=BB4_2718 Depth=1
	s_mov_b64 s[48:49], 0
	v_mov_b32_e32 v1, 0
                                        ; implicit-def: $sgpr50_sgpr51
	s_branch .LBB4_5335
.LBB4_5332:                             ;   in Loop: Header=BB4_5335 Depth=2
	s_or_b64 exec, exec, s[58:59]
	v_mov_b32_e32 v4, 0
	s_orn2_b64 s[56:57], s[56:57], exec
.LBB4_5333:                             ;   in Loop: Header=BB4_5335 Depth=2
	s_or_b64 exec, exec, s[54:55]
	s_andn2_b64 vcc, s[50:51], exec
	s_and_b64 s[50:51], s[56:57], exec
	s_or_b64 s[50:51], vcc, s[50:51]
	v_mov_b32_e32 v1, v4
.LBB4_5334:                             ;   in Loop: Header=BB4_5335 Depth=2
	s_or_b64 exec, exec, s[52:53]
	s_waitcnt vmcnt(0) lgkmcnt(0)
	v_cmp_ge_u64_e32 vcc, v[28:29], v[2:3]
	s_xor_b64 s[52:53], s[50:51], -1
	s_or_b64 vcc, s[52:53], vcc
	s_and_b64 vcc, exec, vcc
	s_or_b64 s[48:49], vcc, s[48:49]
	s_andn2_b64 exec, exec, s[48:49]
	s_cbranch_execz .LBB4_5339
.LBB4_5335:                             ;   Parent Loop BB4_2718 Depth=1
                                        ; =>  This Inner Loop Header: Depth=2
	v_accvgpr_read_b32 v4, a16
	v_accvgpr_read_b32 v5, a17
	s_sleep 1
	flat_load_dwordx2 v[28:29], v[4:5] glc
	v_and_b32_e32 v4, 64, v59
	v_cmp_eq_u32_e32 vcc, 0, v4
	s_andn2_b64 s[50:51], s[50:51], exec
	s_and_saveexec_b64 s[52:53], vcc
	s_cbranch_execz .LBB4_5334
; %bb.5336:                             ;   in Loop: Header=BB4_5335 Depth=2
	v_add_u32_e32 v4, 1, v1
	v_cmp_lt_i32_e32 vcc, s68, v1
	s_mov_b64 s[56:57], -1
	s_and_saveexec_b64 s[54:55], vcc
	s_cbranch_execz .LBB4_5333
; %bb.5337:                             ;   in Loop: Header=BB4_5335 Depth=2
	s_trap 2
	ds_read_b64 v[4:5], v0
	s_waitcnt vmcnt(0) lgkmcnt(0)
	flat_load_dword v1, v[4:5] glc
	s_waitcnt vmcnt(0) lgkmcnt(0)
	buffer_invl2
	buffer_wbinvl1_vol
	v_cmp_ne_u32_e32 vcc, 0, v1
	s_and_saveexec_b64 s[58:59], vcc
	s_cbranch_execz .LBB4_5332
; %bb.5338:                             ;   in Loop: Header=BB4_5335 Depth=2
	v_or_b32_e32 v59, 64, v59
	s_xor_b64 s[56:57], exec, -1
	ds_write_b32 v0, v1
	s_trap 2
	s_branch .LBB4_5332
.LBB4_5339:                             ;   in Loop: Header=BB4_2718 Depth=1
	s_or_b64 exec, exec, s[48:49]
	v_and_b32_e32 v1, 4, v59
.LBB4_5340:                             ;   in Loop: Header=BB4_2718 Depth=1
	s_or_b64 exec, exec, s[46:47]
	v_cmp_eq_u32_e32 vcc, 0, v1
	s_orn2_b64 s[46:47], vcc, exec
	;;#ASMSTART
	s_wakeup
	;;#ASMEND
	s_or_b64 exec, exec, s[18:19]
	s_xor_b64 s[18:19], s[46:47], -1
	s_and_saveexec_b64 s[46:47], s[18:19]
	s_cbranch_execz .LBB4_5329
.LBB4_5341:                             ;   in Loop: Header=BB4_2718 Depth=1
	v_accvgpr_read_b32 v2, a12
	v_and_b32_e32 v1, 0x100, v59
	v_accvgpr_read_b32 v4, a14
	v_cmp_ne_u32_e32 vcc, 0, v1
	v_accvgpr_read_b32 v3, a13
	v_and_b32_e32 v1, 7, v4
	s_mov_b64 s[18:19], -1
	v_accvgpr_read_b32 v5, a15
                                        ; implicit-def: $vgpr2_vgpr3
	s_and_saveexec_b64 s[48:49], vcc
	s_cbranch_execz .LBB4_5345
; %bb.5342:                             ;   in Loop: Header=BB4_2718 Depth=1
	v_accvgpr_read_b32 v2, a12
	v_accvgpr_read_b32 v3, a13
	v_mad_u64_u32 v[10:11], s[18:19], v1, 24, v[2:3]
	flat_load_dword v2, v[10:11]
	v_accvgpr_read_b32 v4, a14
	v_accvgpr_read_b32 v5, a15
	s_waitcnt vmcnt(0) lgkmcnt(0)
	v_cmp_ne_u32_e32 vcc, 1, v2
	v_cmp_eq_u32_e64 s[18:19], 1, v2
                                        ; implicit-def: $vgpr2_vgpr3
	s_and_saveexec_b64 s[50:51], s[18:19]
	s_cbranch_execz .LBB4_5344
; %bb.5343:                             ;   in Loop: Header=BB4_2718 Depth=1
	flat_load_dword v2, v[10:11] offset:4 glc
	s_waitcnt vmcnt(0) lgkmcnt(0)
	v_ashrrev_i32_e32 v3, 31, v2
.LBB4_5344:                             ;   in Loop: Header=BB4_2718 Depth=1
	s_or_b64 exec, exec, s[50:51]
	s_orn2_b64 s[18:19], vcc, exec
.LBB4_5345:                             ;   in Loop: Header=BB4_2718 Depth=1
	s_or_b64 exec, exec, s[48:49]
	s_and_saveexec_b64 vcc, s[18:19]
; %bb.5346:                             ;   in Loop: Header=BB4_2718 Depth=1
	v_accvgpr_read_b32 v2, a18
	v_mad_i64_i32 v[2:3], s[18:19], v1, v2, 0
; %bb.5347:                             ;   in Loop: Header=BB4_2718 Depth=1
	s_or_b64 exec, exec, vcc
	v_accvgpr_read_b32 v4, a20
	v_accvgpr_read_b32 v5, a21
	v_add_co_u32_e32 v2, vcc, v4, v2
	v_addc_co_u32_e32 v3, vcc, v5, v3, vcc
	v_and_b32_e32 v1, 0x2000, v59
	v_cmp_ne_u32_e32 vcc, 0, v1
	ds_write_b64 v0, v[2:3] offset:728
	s_and_saveexec_b64 s[18:19], vcc
	s_cbranch_execz .LBB4_5349
; %bb.5348:                             ;   in Loop: Header=BB4_2718 Depth=1
	ds_read_b64 v[2:3], v0 offset:584
	s_waitcnt lgkmcnt(0)
	v_add_co_u32_e32 v2, vcc, 1, v2
	v_addc_co_u32_e32 v3, vcc, 0, v3, vcc
	ds_write_b64 v0, v[2:3] offset:584
.LBB4_5349:                             ;   in Loop: Header=BB4_2718 Depth=1
	s_or_b64 exec, exec, s[18:19]
	v_accvgpr_read_b32 v2, a12
	v_accvgpr_read_b32 v4, a14
	;; [unrolled: 1-line block ×3, first 2 shown]
	v_add_co_u32_e32 v4, vcc, 1, v4
	v_addc_co_u32_e32 v5, vcc, 0, v5, vcc
	v_accvgpr_read_b32 v3, a13
	v_accvgpr_write_b32 a15, v5
	v_accvgpr_write_b32 a14, v4
	;; [unrolled: 1-line block ×4, first 2 shown]
	s_or_b64 exec, exec, s[46:47]
	s_and_saveexec_b64 s[18:19], s[10:11]
	s_cbranch_execz .LBB4_5368
.LBB4_5350:                             ;   in Loop: Header=BB4_2718 Depth=1
	s_and_saveexec_b64 vcc, s[30:31]
	s_xor_b64 s[46:47], exec, vcc
	s_cbranch_execz .LBB4_5365
; %bb.5351:                             ;   in Loop: Header=BB4_2718 Depth=1
	s_and_saveexec_b64 s[48:49], s[12:13]
	s_cbranch_execz .LBB4_5364
; %bb.5352:                             ;   in Loop: Header=BB4_2718 Depth=1
	s_mov_b64 s[52:53], exec
	v_mbcnt_lo_u32_b32 v1, s52, 0
	v_mbcnt_hi_u32_b32 v1, s53, v1
	v_cmp_eq_u32_e32 vcc, 0, v1
	s_waitcnt vmcnt(0) lgkmcnt(0)
	buffer_wbinvl1_vol
	s_and_saveexec_b64 s[50:51], vcc
	s_cbranch_execz .LBB4_5354
; %bb.5353:                             ;   in Loop: Header=BB4_2718 Depth=1
	s_bcnt1_i32_b64 vcc_lo, s[52:53]
	v_mov_b32_e32 v36, vcc_lo
	ds_add_u64 v0, v[36:37]
	s_trap 2
.LBB4_5354:                             ;   in Loop: Header=BB4_2718 Depth=1
	s_or_b64 exec, exec, s[50:51]
	s_trap 2
	ds_read_b64 v[2:3], v0
	v_accvgpr_read_b32 v4, a22
	v_accvgpr_read_b32 v5, a23
	v_add_co_u32_e32 v4, vcc, v4, v50
	v_addc_co_u32_e32 v5, vcc, 0, v5, vcc
	v_accvgpr_write_b32 a23, v5
	v_accvgpr_write_b32 a22, v4
	s_waitcnt lgkmcnt(0)
	v_cmp_lt_u64_e32 vcc, v[2:3], v[4:5]
	s_and_saveexec_b64 s[50:51], vcc
	s_cbranch_execz .LBB4_5363
; %bb.5355:                             ;   in Loop: Header=BB4_2718 Depth=1
	s_mov_b32 s62, 0
	s_mov_b64 s[52:53], 0
                                        ; implicit-def: $sgpr54_sgpr55
                                        ; implicit-def: $sgpr56_sgpr57
	s_branch .LBB4_5357
.LBB4_5356:                             ;   in Loop: Header=BB4_5357 Depth=2
	s_or_b64 exec, exec, s[60:61]
	s_and_b64 vcc, exec, vcc
	s_or_b64 s[52:53], vcc, s[52:53]
	s_andn2_b64 vcc, s[54:55], exec
	s_and_b64 s[54:55], s[56:57], exec
	s_or_b64 s[54:55], vcc, s[54:55]
	s_andn2_b64 exec, exec, s[52:53]
	s_cbranch_execz .LBB4_5361
.LBB4_5357:                             ;   Parent Loop BB4_2718 Depth=1
                                        ; =>  This Inner Loop Header: Depth=2
	s_add_i32 s62, s62, 1
	s_cmpk_lg_i32 s62, 0x2710
	s_cselect_b64 s[58:59], -1, 0
	s_and_b64 vcc, exec, s[58:59]
                                        ; implicit-def: $sgpr60_sgpr61
	s_cbranch_vccnz .LBB4_5359
; %bb.5358:                             ;   in Loop: Header=BB4_5357 Depth=2
	s_trap 2
	ds_read_b64 v[2:3], v0
	s_andn2_b64 s[58:59], s[58:59], exec
	s_mov_b32 s62, 0
	s_mov_b64 s[60:61], -1
	s_waitcnt lgkmcnt(0)
	flat_load_dword v1, v[2:3] glc
	s_waitcnt vmcnt(0) lgkmcnt(0)
	buffer_invl2
	buffer_wbinvl1_vol
	v_cmp_eq_u32_e32 vcc, 0, v1
	s_and_b64 vcc, vcc, exec
	s_or_b64 s[58:59], s[58:59], vcc
.LBB4_5359:                             ;   in Loop: Header=BB4_5357 Depth=2
	s_andn2_b64 s[56:57], s[56:57], exec
	s_and_b64 s[60:61], s[60:61], exec
	s_mov_b64 vcc, -1
	s_or_b64 s[56:57], s[56:57], s[60:61]
	s_and_saveexec_b64 s[60:61], s[58:59]
	s_cbranch_execz .LBB4_5356
; %bb.5360:                             ;   in Loop: Header=BB4_5357 Depth=2
	s_sleep 1
	s_trap 2
	ds_read_b64 v[2:3], v0
	v_accvgpr_read_b32 v4, a22
	v_accvgpr_read_b32 v5, a23
	s_andn2_b64 s[56:57], s[56:57], exec
	s_waitcnt lgkmcnt(0)
	v_cmp_ge_u64_e32 vcc, v[2:3], v[4:5]
	s_orn2_b64 vcc, vcc, exec
	s_branch .LBB4_5356
.LBB4_5361:                             ;   in Loop: Header=BB4_2718 Depth=1
	s_or_b64 exec, exec, s[52:53]
	s_and_saveexec_b64 vcc, s[54:55]
	s_xor_b64 vcc, exec, vcc
	s_cbranch_execz .LBB4_5363
; %bb.5362:                             ;   in Loop: Header=BB4_2718 Depth=1
	v_mov_b32_e32 v1, 1
	ds_write_b32 v0, v1
	s_trap 2
.LBB4_5363:                             ;   in Loop: Header=BB4_2718 Depth=1
	s_or_b64 exec, exec, s[50:51]
	;;#ASMSTART
	s_wakeup
	;;#ASMEND
.LBB4_5364:                             ;   in Loop: Header=BB4_2718 Depth=1
	s_or_b64 exec, exec, s[48:49]
.LBB4_5365:                             ;   in Loop: Header=BB4_2718 Depth=1
	s_andn2_saveexec_b64 vcc, s[46:47]
	s_cbranch_execz .LBB4_5367
; %bb.5366:                             ;   in Loop: Header=BB4_2718 Depth=1
	s_waitcnt vmcnt(0) lgkmcnt(0)
	buffer_wbinvl1_vol
	s_barrier
.LBB4_5367:                             ;   in Loop: Header=BB4_2718 Depth=1
	s_or_b64 exec, exec, vcc
.LBB4_5368:                             ;   in Loop: Header=BB4_2718 Depth=1
	s_or_b64 exec, exec, s[18:19]
	s_trap 2
	ds_read_b32 v1, v0
	v_sub_u32_e32 v0, v40, v0
	v_min_i32_e32 v0, v53, v0
	v_cmp_lt_i32_e32 vcc, 0, v0
	v_and_b32_e32 v0, 16, v59
	s_waitcnt lgkmcnt(0)
	v_readfirstlane_b32 s18, v1
	s_cmp_eq_u32 s18, 0
	s_cselect_b64 s[18:19], -1, 0
	s_and_b64 s[18:19], vcc, s[18:19]
	v_cmp_ne_u32_e32 vcc, 0, v0
	s_and_b64 vcc, vcc, s[18:19]
	s_and_saveexec_b64 s[18:19], vcc
	s_cbranch_execz .LBB4_5370
; %bb.5369:                             ;   in Loop: Header=BB4_2718 Depth=1
	s_waitcnt vmcnt(0)
	buffer_wbinvl1_vol
.LBB4_5370:                             ;   in Loop: Header=BB4_2718 Depth=1
	s_or_b64 exec, exec, s[18:19]
	v_and_b32_e32 v0, 32, v59
	v_cmp_ne_u32_e32 vcc, 0, v0
	s_and_saveexec_b64 s[18:19], vcc
	s_cbranch_execz .LBB4_2716
; %bb.5371:                             ;   in Loop: Header=BB4_2718 Depth=1
	v_accvgpr_read_b32 v0, a12
	v_accvgpr_read_b32 v2, a14
	;; [unrolled: 1-line block ×3, first 2 shown]
	v_add_co_u32_e32 v2, vcc, 1, v2
	v_addc_co_u32_e32 v3, vcc, 0, v3, vcc
	v_accvgpr_read_b32 v1, a13
	v_accvgpr_write_b32 a15, v3
	v_accvgpr_write_b32 a14, v2
	;; [unrolled: 1-line block ×4, first 2 shown]
	v_accvgpr_read_b32 v0, a16
	v_accvgpr_read_b32 v1, a17
	flat_store_dwordx2 v[0:1], v[2:3]
	s_branch .LBB4_2716
.LBB4_5372:
	s_or_b64 exec, exec, s[34:35]
	v_accvgpr_read_b32 v23, a15
	v_accvgpr_read_b32 v22, a14
	;; [unrolled: 1-line block ×4, first 2 shown]
.LBB4_5373:
	s_or_b64 exec, exec, s[24:25]
.LBB4_5374:
	s_or_b64 exec, exec, s[22:23]
                                        ; implicit-def: $agpr6_agpr7
                                        ; implicit-def: $vgpr18_vgpr19
                                        ; implicit-def: $agpr26_agpr27
                                        ; implicit-def: $agpr18
                                        ; implicit-def: $vgpr28_vgpr29
                                        ; implicit-def: $agpr20_agpr21
                                        ; implicit-def: $agpr16_agpr17
                                        ; implicit-def: $agpr3
                                        ; implicit-def: $vgpr0
                                        ; implicit-def: $agpr24_agpr25
.LBB4_5375:
	s_andn2_saveexec_b64 s[24:25], s[28:29]
	s_cbranch_execz .LBB4_6812
; %bb.5376:
	v_pk_mov_b32 v[2:3], 0, 0
	v_accvgpr_write_b32 a23, v3
	s_mov_b64 s[30:31], 0
	v_cmp_ne_u64_e32 vcc, 0, v[18:19]
	v_accvgpr_write_b32 a22, v2
	s_and_saveexec_b64 s[28:29], vcc
	s_cbranch_execz .LBB4_6811
; %bb.5377:
	v_accvgpr_read_b32 v3, a0
	s_waitcnt vmcnt(0)
	v_accvgpr_read_b32 v1, a2
	v_cmp_ne_u32_sdwa s[34:35], v1, v3 src0_sel:WORD_0 src1_sel:DWORD
	v_accvgpr_read_b32 v1, a1
	v_accvgpr_read_b32 v4, a3
	v_and_b32_e32 v1, 63, v1
	v_cmp_eq_u32_e64 s[12:13], 0, v1
	v_ashrrev_i32_e32 v1, 31, v4
	v_lshrrev_b32_e32 v1, 26, v1
	v_add_u32_e32 v1, v4, v1
	v_and_b32_e32 v2, 0xffffffc0, v1
	v_sub_u32_e32 v2, v4, v2
	v_cmp_lt_i32_e64 s[16:17], v2, v0
	v_ashrrev_i32_e32 v0, 6, v1
	v_accvgpr_write_b32 a29, v0
	v_lshlrev_b32_e32 v0, 11, v0
	v_lshl_add_u32 v0, v2, 4, v0
	v_ashrrev_i32_e32 v1, 31, v0
	v_accvgpr_write_b32 a31, v1
	v_lshrrev_b32_e32 v56, 6, v3
	v_accvgpr_write_b32 a30, v0
	v_mov_b32_e32 v0, 0xfffff800
	v_lshl_add_u32 v0, v56, 11, v0
	s_movk_i32 s18, 0x800
	v_ashrrev_i32_e32 v1, 31, v0
	v_add_co_u32_e64 v57, s[18:19], s18, v0
	v_addc_co_u32_e64 v0, s[18:19], 0, v1, s[18:19]
	v_accvgpr_write_b32 a33, v0
	v_lshlrev_b32_e32 v0, 10, v56
	v_accvgpr_write_b32 a34, v0
	v_add_u32_e32 v0, 0xfffffc00, v0
	s_movk_i32 s18, 0x400
	v_ashrrev_i32_e32 v1, 31, v0
	v_add_co_u32_e64 v52, s[18:19], s18, v0
	v_and_b32_e32 v0, 0xffffffc0, v3
	s_ashr_i32 s6, s70, 31
	v_addc_co_u32_e64 v44, s[18:19], 0, v1, s[18:19]
	v_ashrrev_i32_e32 v1, 31, v0
	s_lshr_b32 s6, s6, 24
	v_accvgpr_write_b32 a36, v0
	v_accvgpr_write_b32 a37, v1
	s_waitcnt lgkmcnt(0)
	v_accvgpr_read_b32 v0, a26
	v_pk_mov_b32 v[48:49], 0, 0
	v_accvgpr_write_b32 a12, v20
	s_add_i32 s70, s70, s6
	v_cmp_ge_i32_e64 s[6:7], v4, v3
	v_cmp_eq_u32_e32 vcc, 64, v3
	v_cmp_ne_u32_e64 s[10:11], 64, v3
	v_cmp_gt_i32_e64 s[14:15], 1, v2
	v_accvgpr_write_b32 a19, v2
	v_accvgpr_read_b32 v1, a27
	s_mov_b32 s42, -1
	v_accvgpr_write_b32 a22, v48
	v_accvgpr_read_b32 v2, a24
	v_accvgpr_write_b32 a13, v21
	v_accvgpr_write_b32 a14, v22
	;; [unrolled: 1-line block ×3, first 2 shown]
	s_ashr_i32 s66, s70, 8
	v_mov_b32_e32 v17, 0
	v_cmp_ne_u64_e64 s[18:19], 0, v[0:1]
	s_movk_i32 s67, 0x270e
	s_xor_b64 s[36:37], vcc, -1
	s_movk_i32 s68, 0x7f
	s_movk_i32 s69, 0x80
	s_mov_b64 s[38:39], 0x7f800000
	s_mov_b64 s[40:41], 0x43e00001
	s_movk_i32 s70, 0x7a
	s_mov_b32 s43, 0xffffff
	s_mov_b64 s[44:45], 0xffffff
	s_mov_b32 s71, 0x6050400
	s_mov_b32 s72, 0xc0c0500
	v_bfrev_b32_e32 v47, 60
	v_mov_b32_e32 v14, 0xffffff82
	v_mov_b32_e32 v37, 0x78
	v_accvgpr_write_b32 a23, v49
	v_accvgpr_read_b32 v3, a25
	v_accvgpr_write_b32 a28, v56
	v_accvgpr_write_b32 a32, v57
	v_accvgpr_write_b32 a35, v52
	s_trap 2
	s_branch .LBB4_5381
.LBB4_5378:                             ;   in Loop: Header=BB4_5381 Depth=1
	s_or_b64 exec, exec, vcc
	v_accvgpr_read_b32 v0, a12
	v_accvgpr_read_b32 v2, a14
	;; [unrolled: 1-line block ×3, first 2 shown]
	v_add_co_u32_e32 v2, vcc, 1, v2
	v_addc_co_u32_e32 v3, vcc, 0, v3, vcc
	v_accvgpr_read_b32 v1, a13
	v_accvgpr_write_b32 a15, v3
	v_accvgpr_write_b32 a14, v2
	;; [unrolled: 1-line block ×4, first 2 shown]
	v_accvgpr_read_b32 v0, a16
	v_accvgpr_read_b32 v1, a17
	flat_store_dwordx2 v[0:1], v[2:3]
.LBB4_5379:                             ;   in Loop: Header=BB4_5381 Depth=1
	s_or_b64 exec, exec, s[20:21]
.LBB4_5380:                             ;   in Loop: Header=BB4_5381 Depth=1
	s_or_b64 exec, exec, s[22:23]
	v_accvgpr_read_b32 v2, a24
	v_add_co_u32_e32 v48, vcc, v48, v2
	v_accvgpr_read_b32 v19, a5
	v_addc_co_u32_e32 v49, vcc, 0, v49, vcc
	v_accvgpr_read_b32 v18, a4
	v_cmp_ge_u64_e32 vcc, v[48:49], v[18:19]
	v_accvgpr_read_b32 v3, a25
	s_or_b64 s[30:31], vcc, s[30:31]
	s_andn2_b64 exec, exec, s[30:31]
	s_cbranch_execz .LBB4_6810
.LBB4_5381:                             ; =>This Loop Header: Depth=1
                                        ;     Child Loop BB4_5390 Depth 2
                                        ;     Child Loop BB4_5414 Depth 2
                                        ;     Child Loop BB4_5433 Depth 2
                                        ;     Child Loop BB4_5454 Depth 2
                                        ;     Child Loop BB4_6043 Depth 2
                                        ;     Child Loop BB4_6347 Depth 2
                                        ;     Child Loop BB4_6709 Depth 2
                                        ;     Child Loop BB4_6745 Depth 2
                                        ;     Child Loop BB4_6770 Depth 2
                                        ;     Child Loop BB4_6794 Depth 2
	v_sub_co_u32_e32 v0, vcc, v18, v48
	v_subb_co_u32_e32 v1, vcc, v19, v49, vcc
	v_cmp_lt_u64_e32 vcc, v[2:3], v[0:1]
	v_cndmask_b32_e64 v7, v1, 0, vcc
	v_cndmask_b32_e32 v6, v0, v2, vcc
	v_add_u32_e32 v0, 15, v6
	v_cmp_eq_u64_e32 vcc, 0, v[6:7]
	v_accvgpr_write_b32 a4, v18
	v_and_b32_e32 v0, 0x7ffffff0, v0
	s_or_b64 s[46:47], s[6:7], vcc
	v_accvgpr_write_b32 a5, v19
	v_max_i32_e32 v8, s66, v0
	s_xor_b64 s[20:21], s[46:47], -1
	v_mov_b32_e32 v0, v17
	s_and_saveexec_b64 s[48:49], s[20:21]
	s_cbranch_execz .LBB4_6763
; %bb.5382:                             ;   in Loop: Header=BB4_5381 Depth=1
	s_and_saveexec_b64 s[20:21], s[4:5]
	s_cbranch_execz .LBB4_5384
; %bb.5383:                             ;   in Loop: Header=BB4_5381 Depth=1
	s_trap 2
	ds_read_b64 v[0:1], v0
	v_accvgpr_read_b32 v2, a6
	v_accvgpr_read_b32 v3, a7
	v_mov_b32_e32 v16, v17
	s_waitcnt lgkmcnt(0)
	v_add_co_u32_e32 v0, vcc, v0, v2
	v_addc_co_u32_e32 v1, vcc, v1, v3, vcc
	v_add_co_u32_e32 v0, vcc, v0, v48
	v_addc_co_u32_e32 v1, vcc, v1, v49, vcc
	ds_write_b64 v0, v[0:1]
	ds_write_b64 v0, v[16:17]
.LBB4_5384:                             ;   in Loop: Header=BB4_5381 Depth=1
	s_or_b64 exec, exec, s[20:21]
	v_and_b32_e32 v0, 8, v59
	v_cmp_ne_u32_e32 vcc, 0, v0
	s_mov_b64 s[22:23], -1
	s_and_saveexec_b64 s[20:21], vcc
	s_cbranch_execz .LBB4_5396
; %bb.5385:                             ;   in Loop: Header=BB4_5381 Depth=1
	v_add_co_u32_e32 v0, vcc, 8, v28
	v_accvgpr_read_b32 v2, a12
	v_addc_co_u32_e32 v1, vcc, 0, v29, vcc
	v_accvgpr_read_b32 v4, a14
	v_accvgpr_read_b32 v3, a13
	;; [unrolled: 1-line block ×3, first 2 shown]
	v_add_co_u32_e32 v2, vcc, 1, v4
	v_addc_co_u32_e32 v3, vcc, 0, v5, vcc
	v_cmp_lt_u64_e32 vcc, v[0:1], v[2:3]
	v_mov_b32_e32 v0, 1
	s_and_saveexec_b64 s[22:23], vcc
	s_cbranch_execz .LBB4_5395
; %bb.5386:                             ;   in Loop: Header=BB4_5381 Depth=1
	s_mov_b64 s[50:51], 0
	v_mov_b32_e32 v0, 0
                                        ; implicit-def: $sgpr52_sgpr53
	s_branch .LBB4_5390
.LBB4_5387:                             ;   in Loop: Header=BB4_5390 Depth=2
	s_or_b64 exec, exec, s[60:61]
	v_mov_b32_e32 v1, 0
	s_orn2_b64 s[58:59], s[58:59], exec
.LBB4_5388:                             ;   in Loop: Header=BB4_5390 Depth=2
	s_or_b64 exec, exec, s[56:57]
	s_andn2_b64 vcc, s[52:53], exec
	s_and_b64 s[52:53], s[58:59], exec
	s_or_b64 s[52:53], vcc, s[52:53]
	v_mov_b32_e32 v0, v1
.LBB4_5389:                             ;   in Loop: Header=BB4_5390 Depth=2
	s_or_b64 exec, exec, s[54:55]
	s_waitcnt vmcnt(0) lgkmcnt(0)
	v_add_co_u32_e32 v4, vcc, 8, v28
	v_addc_co_u32_e32 v5, vcc, 0, v29, vcc
	v_cmp_ge_u64_e32 vcc, v[4:5], v[2:3]
	s_xor_b64 s[54:55], s[52:53], -1
	s_or_b64 vcc, s[54:55], vcc
	s_and_b64 vcc, exec, vcc
	s_or_b64 s[50:51], vcc, s[50:51]
	s_andn2_b64 exec, exec, s[50:51]
	s_cbranch_execz .LBB4_5394
.LBB4_5390:                             ;   Parent Loop BB4_5381 Depth=1
                                        ; =>  This Inner Loop Header: Depth=2
	v_accvgpr_read_b32 v4, a16
	v_accvgpr_read_b32 v5, a17
	s_sleep 1
	flat_load_dwordx2 v[28:29], v[4:5] glc
	v_and_b32_e32 v1, 64, v59
	v_cmp_eq_u32_e32 vcc, 0, v1
	s_andn2_b64 s[52:53], s[52:53], exec
	s_and_saveexec_b64 s[54:55], vcc
	s_cbranch_execz .LBB4_5389
; %bb.5391:                             ;   in Loop: Header=BB4_5390 Depth=2
	v_add_u32_e32 v1, 1, v0
	v_cmp_lt_i32_e32 vcc, s67, v0
	s_mov_b64 s[58:59], -1
	s_and_saveexec_b64 s[56:57], vcc
	s_cbranch_execz .LBB4_5388
; %bb.5392:                             ;   in Loop: Header=BB4_5390 Depth=2
	s_trap 2
	ds_read_b64 v[0:1], v0
	s_waitcnt vmcnt(0) lgkmcnt(0)
	flat_load_dword v0, v[0:1] glc
	s_waitcnt vmcnt(0) lgkmcnt(0)
	buffer_invl2
	buffer_wbinvl1_vol
	v_cmp_ne_u32_e32 vcc, 0, v0
	s_and_saveexec_b64 s[60:61], vcc
	s_cbranch_execz .LBB4_5387
; %bb.5393:                             ;   in Loop: Header=BB4_5390 Depth=2
	v_or_b32_e32 v59, 64, v59
	s_xor_b64 s[58:59], exec, -1
	ds_write_b32 v0, v0
	s_trap 2
	s_branch .LBB4_5387
.LBB4_5394:                             ;   in Loop: Header=BB4_5381 Depth=1
	s_or_b64 exec, exec, s[50:51]
	v_and_b32_e32 v0, 8, v59
.LBB4_5395:                             ;   in Loop: Header=BB4_5381 Depth=1
	s_or_b64 exec, exec, s[22:23]
	v_cmp_eq_u32_e32 vcc, 0, v0
	s_orn2_b64 s[22:23], vcc, exec
	;;#ASMSTART
	s_wakeup
	;;#ASMEND
.LBB4_5396:                             ;   in Loop: Header=BB4_5381 Depth=1
	s_or_b64 exec, exec, s[20:21]
	s_xor_b64 s[20:21], s[22:23], -1
	v_min_u32_e32 v8, v8, v6
	s_and_saveexec_b64 s[22:23], s[20:21]
	s_cbranch_execz .LBB4_5406
; %bb.5397:                             ;   in Loop: Header=BB4_5381 Depth=1
	v_and_b32_e32 v0, 0x100, v59
	v_cmp_ne_u32_e32 vcc, 0, v0
	v_accvgpr_read_b32 v0, a12
	v_accvgpr_read_b32 v2, a14
	v_accvgpr_read_b32 v3, a15
	v_and_b32_e32 v0, 7, v2
	s_mov_b64 s[20:21], -1
	v_accvgpr_read_b32 v1, a13
                                        ; implicit-def: $vgpr2_vgpr3
	s_and_saveexec_b64 s[50:51], vcc
	s_cbranch_execz .LBB4_5401
; %bb.5398:                             ;   in Loop: Header=BB4_5381 Depth=1
	v_accvgpr_read_b32 v2, a12
	v_accvgpr_read_b32 v3, a13
	v_mad_u64_u32 v[10:11], s[20:21], v0, 24, v[2:3]
	flat_load_dword v1, v[10:11]
	v_mov_b32_e32 v9, v17
	v_accvgpr_read_b32 v4, a14
	v_accvgpr_read_b32 v5, a15
	flat_store_dwordx2 v[10:11], v[8:9] offset:8
                                        ; implicit-def: $vgpr2_vgpr3
	s_waitcnt vmcnt(0) lgkmcnt(0)
	v_cmp_ne_u32_e32 vcc, 1, v1
	v_cmp_eq_u32_e64 s[20:21], 1, v1
	s_and_saveexec_b64 s[52:53], s[20:21]
	s_cbranch_execz .LBB4_5400
; %bb.5399:                             ;   in Loop: Header=BB4_5381 Depth=1
	flat_load_dword v2, v[10:11] offset:4 glc
	s_waitcnt vmcnt(0) lgkmcnt(0)
	v_ashrrev_i32_e32 v3, 31, v2
.LBB4_5400:                             ;   in Loop: Header=BB4_5381 Depth=1
	s_or_b64 exec, exec, s[52:53]
	s_orn2_b64 s[20:21], vcc, exec
.LBB4_5401:                             ;   in Loop: Header=BB4_5381 Depth=1
	s_or_b64 exec, exec, s[50:51]
	s_and_saveexec_b64 vcc, s[20:21]
; %bb.5402:                             ;   in Loop: Header=BB4_5381 Depth=1
	v_accvgpr_read_b32 v2, a18
	v_mad_i64_i32 v[2:3], s[20:21], v0, v2, 0
; %bb.5403:                             ;   in Loop: Header=BB4_5381 Depth=1
	s_or_b64 exec, exec, vcc
	v_accvgpr_read_b32 v0, a20
	v_accvgpr_read_b32 v1, a21
	v_add_co_u32_e32 v0, vcc, v0, v2
	v_addc_co_u32_e32 v1, vcc, v1, v3, vcc
	ds_write_b64 v0, v[0:1] offset:784
	v_and_b32_e32 v0, 0x2000, v59
	v_cmp_ne_u32_e32 vcc, 0, v0
	s_and_saveexec_b64 s[20:21], vcc
	s_cbranch_execz .LBB4_5405
; %bb.5404:                             ;   in Loop: Header=BB4_5381 Depth=1
	ds_read_b64 v[0:1], v0 offset:584
	s_waitcnt lgkmcnt(0)
	v_add_co_u32_e32 v0, vcc, 1, v0
	v_addc_co_u32_e32 v1, vcc, 0, v1, vcc
	ds_write_b64 v0, v[0:1] offset:584
.LBB4_5405:                             ;   in Loop: Header=BB4_5381 Depth=1
	s_or_b64 exec, exec, s[20:21]
	v_accvgpr_read_b32 v0, a12
	v_accvgpr_read_b32 v2, a14
	v_accvgpr_read_b32 v3, a15
	v_add_co_u32_e32 v2, vcc, 1, v2
	v_addc_co_u32_e32 v3, vcc, 0, v3, vcc
	v_accvgpr_read_b32 v1, a13
	v_accvgpr_write_b32 a15, v3
	v_accvgpr_write_b32 a14, v2
	;; [unrolled: 1-line block ×4, first 2 shown]
.LBB4_5406:                             ;   in Loop: Header=BB4_5381 Depth=1
	s_or_b64 exec, exec, s[22:23]
	s_and_saveexec_b64 s[20:21], s[10:11]
	s_cbranch_execz .LBB4_5425
; %bb.5407:                             ;   in Loop: Header=BB4_5381 Depth=1
	s_and_saveexec_b64 s[22:23], s[34:35]
	s_xor_b64 s[22:23], exec, s[22:23]
	s_cbranch_execz .LBB4_5422
; %bb.5408:                             ;   in Loop: Header=BB4_5381 Depth=1
	s_and_saveexec_b64 s[50:51], s[12:13]
	s_cbranch_execz .LBB4_5421
; %bb.5409:                             ;   in Loop: Header=BB4_5381 Depth=1
	s_mov_b64 s[54:55], exec
	v_mbcnt_lo_u32_b32 v0, s54, 0
	v_mbcnt_hi_u32_b32 v0, s55, v0
	v_cmp_eq_u32_e32 vcc, 0, v0
	s_waitcnt vmcnt(0) lgkmcnt(0)
	buffer_wbinvl1_vol
	s_and_saveexec_b64 s[52:53], vcc
	s_cbranch_execz .LBB4_5411
; %bb.5410:                             ;   in Loop: Header=BB4_5381 Depth=1
	s_bcnt1_i32_b64 vcc_lo, s[54:55]
	v_mov_b32_e32 v16, vcc_lo
	ds_add_u64 v0, v[16:17]
	s_trap 2
.LBB4_5411:                             ;   in Loop: Header=BB4_5381 Depth=1
	s_or_b64 exec, exec, s[52:53]
	s_trap 2
	ds_read_b64 v[0:1], v0
	v_accvgpr_read_b32 v2, a22
	v_accvgpr_read_b32 v3, a23
	v_add_co_u32_e32 v2, vcc, v2, v56
	v_addc_co_u32_e32 v3, vcc, 0, v3, vcc
	v_accvgpr_write_b32 a23, v3
	v_accvgpr_write_b32 a22, v2
	s_waitcnt lgkmcnt(0)
	v_cmp_lt_u64_e32 vcc, v[0:1], v[2:3]
	s_and_saveexec_b64 s[52:53], vcc
	s_cbranch_execz .LBB4_5420
; %bb.5412:                             ;   in Loop: Header=BB4_5381 Depth=1
	s_mov_b32 s64, 0
	s_mov_b64 s[54:55], 0
                                        ; implicit-def: $sgpr56_sgpr57
                                        ; implicit-def: $sgpr58_sgpr59
	s_branch .LBB4_5414
.LBB4_5413:                             ;   in Loop: Header=BB4_5414 Depth=2
	s_or_b64 exec, exec, s[62:63]
	s_and_b64 vcc, exec, vcc
	s_or_b64 s[54:55], vcc, s[54:55]
	s_andn2_b64 vcc, s[56:57], exec
	s_and_b64 s[56:57], s[58:59], exec
	s_or_b64 s[56:57], vcc, s[56:57]
	s_andn2_b64 exec, exec, s[54:55]
	s_cbranch_execz .LBB4_5418
.LBB4_5414:                             ;   Parent Loop BB4_5381 Depth=1
                                        ; =>  This Inner Loop Header: Depth=2
	s_add_i32 s64, s64, 1
	s_cmpk_lg_i32 s64, 0x2710
	s_cselect_b64 s[60:61], -1, 0
	s_and_b64 vcc, exec, s[60:61]
                                        ; implicit-def: $sgpr62_sgpr63
	s_cbranch_vccnz .LBB4_5416
; %bb.5415:                             ;   in Loop: Header=BB4_5414 Depth=2
	s_trap 2
	ds_read_b64 v[0:1], v0
	s_andn2_b64 s[60:61], s[60:61], exec
	s_mov_b32 s64, 0
	s_mov_b64 s[62:63], -1
	s_waitcnt lgkmcnt(0)
	flat_load_dword v0, v[0:1] glc
	s_waitcnt vmcnt(0) lgkmcnt(0)
	buffer_invl2
	buffer_wbinvl1_vol
	v_cmp_eq_u32_e32 vcc, 0, v0
	s_and_b64 vcc, vcc, exec
	s_or_b64 s[60:61], s[60:61], vcc
.LBB4_5416:                             ;   in Loop: Header=BB4_5414 Depth=2
	s_andn2_b64 s[58:59], s[58:59], exec
	s_and_b64 s[62:63], s[62:63], exec
	s_mov_b64 vcc, -1
	s_or_b64 s[58:59], s[58:59], s[62:63]
	s_and_saveexec_b64 s[62:63], s[60:61]
	s_cbranch_execz .LBB4_5413
; %bb.5417:                             ;   in Loop: Header=BB4_5414 Depth=2
	s_sleep 1
	s_trap 2
	ds_read_b64 v[0:1], v0
	v_accvgpr_read_b32 v2, a22
	v_accvgpr_read_b32 v3, a23
	s_andn2_b64 s[58:59], s[58:59], exec
	s_waitcnt lgkmcnt(0)
	v_cmp_ge_u64_e32 vcc, v[0:1], v[2:3]
	s_orn2_b64 vcc, vcc, exec
	s_branch .LBB4_5413
.LBB4_5418:                             ;   in Loop: Header=BB4_5381 Depth=1
	s_or_b64 exec, exec, s[54:55]
	s_and_saveexec_b64 vcc, s[56:57]
	s_xor_b64 vcc, exec, vcc
	s_cbranch_execz .LBB4_5420
; %bb.5419:                             ;   in Loop: Header=BB4_5381 Depth=1
	v_mov_b32_e32 v0, 1
	ds_write_b32 v0, v0
	s_trap 2
.LBB4_5420:                             ;   in Loop: Header=BB4_5381 Depth=1
	s_or_b64 exec, exec, s[52:53]
	;;#ASMSTART
	s_wakeup
	;;#ASMEND
.LBB4_5421:                             ;   in Loop: Header=BB4_5381 Depth=1
	s_or_b64 exec, exec, s[50:51]
.LBB4_5422:                             ;   in Loop: Header=BB4_5381 Depth=1
	s_andn2_saveexec_b64 s[22:23], s[22:23]
	s_cbranch_execz .LBB4_5424
; %bb.5423:                             ;   in Loop: Header=BB4_5381 Depth=1
	s_waitcnt vmcnt(0) lgkmcnt(0)
	buffer_wbinvl1_vol
	s_barrier
.LBB4_5424:                             ;   in Loop: Header=BB4_5381 Depth=1
	s_or_b64 exec, exec, s[22:23]
.LBB4_5425:                             ;   in Loop: Header=BB4_5381 Depth=1
	s_or_b64 exec, exec, s[20:21]
	s_trap 2
	ds_read_b32 v0, v0
	v_and_b32_e32 v1, 0x4000, v59
	v_cmp_ne_u32_e32 vcc, 0, v1
	s_and_b64 s[22:23], s[36:37], vcc
	s_and_saveexec_b64 s[20:21], s[22:23]
	s_cbranch_execz .LBB4_5444
; %bb.5426:                             ;   in Loop: Header=BB4_5381 Depth=1
	s_and_saveexec_b64 s[22:23], s[34:35]
	s_xor_b64 s[22:23], exec, s[22:23]
	s_cbranch_execz .LBB4_5441
; %bb.5427:                             ;   in Loop: Header=BB4_5381 Depth=1
	s_and_saveexec_b64 s[50:51], s[12:13]
	s_cbranch_execz .LBB4_5440
; %bb.5428:                             ;   in Loop: Header=BB4_5381 Depth=1
	s_mov_b64 s[54:55], exec
	v_mbcnt_lo_u32_b32 v1, s54, 0
	v_mbcnt_hi_u32_b32 v1, s55, v1
	v_cmp_eq_u32_e32 vcc, 0, v1
	s_waitcnt vmcnt(0) lgkmcnt(0)
	buffer_wbinvl1_vol
	s_and_saveexec_b64 s[52:53], vcc
	s_cbranch_execz .LBB4_5430
; %bb.5429:                             ;   in Loop: Header=BB4_5381 Depth=1
	s_bcnt1_i32_b64 vcc_lo, s[54:55]
	v_mov_b32_e32 v16, vcc_lo
	ds_add_u64 v0, v[16:17]
	s_trap 2
.LBB4_5430:                             ;   in Loop: Header=BB4_5381 Depth=1
	s_or_b64 exec, exec, s[52:53]
	s_trap 2
	ds_read_b64 v[2:3], v0
	v_accvgpr_read_b32 v4, a22
	v_accvgpr_read_b32 v5, a23
	v_add_co_u32_e32 v4, vcc, v4, v56
	v_addc_co_u32_e32 v5, vcc, 0, v5, vcc
	v_accvgpr_write_b32 a23, v5
	v_accvgpr_write_b32 a22, v4
	s_waitcnt lgkmcnt(0)
	v_cmp_lt_u64_e32 vcc, v[2:3], v[4:5]
	s_and_saveexec_b64 s[52:53], vcc
	s_cbranch_execz .LBB4_5439
; %bb.5431:                             ;   in Loop: Header=BB4_5381 Depth=1
	s_mov_b32 s64, 0
	s_mov_b64 s[54:55], 0
                                        ; implicit-def: $sgpr56_sgpr57
                                        ; implicit-def: $sgpr58_sgpr59
	s_branch .LBB4_5433
.LBB4_5432:                             ;   in Loop: Header=BB4_5433 Depth=2
	s_or_b64 exec, exec, s[62:63]
	s_and_b64 vcc, exec, vcc
	s_or_b64 s[54:55], vcc, s[54:55]
	s_andn2_b64 vcc, s[56:57], exec
	s_and_b64 s[56:57], s[58:59], exec
	s_or_b64 s[56:57], vcc, s[56:57]
	s_andn2_b64 exec, exec, s[54:55]
	s_cbranch_execz .LBB4_5437
.LBB4_5433:                             ;   Parent Loop BB4_5381 Depth=1
                                        ; =>  This Inner Loop Header: Depth=2
	s_add_i32 s64, s64, 1
	s_cmpk_lg_i32 s64, 0x2710
	s_cselect_b64 s[60:61], -1, 0
	s_and_b64 vcc, exec, s[60:61]
                                        ; implicit-def: $sgpr62_sgpr63
	s_cbranch_vccnz .LBB4_5435
; %bb.5434:                             ;   in Loop: Header=BB4_5433 Depth=2
	s_trap 2
	ds_read_b64 v[2:3], v0
	s_andn2_b64 s[60:61], s[60:61], exec
	s_mov_b32 s64, 0
	s_mov_b64 s[62:63], -1
	s_waitcnt lgkmcnt(0)
	flat_load_dword v1, v[2:3] glc
	s_waitcnt vmcnt(0) lgkmcnt(0)
	buffer_invl2
	buffer_wbinvl1_vol
	v_cmp_eq_u32_e32 vcc, 0, v1
	s_and_b64 vcc, vcc, exec
	s_or_b64 s[60:61], s[60:61], vcc
.LBB4_5435:                             ;   in Loop: Header=BB4_5433 Depth=2
	s_andn2_b64 s[58:59], s[58:59], exec
	s_and_b64 s[62:63], s[62:63], exec
	s_mov_b64 vcc, -1
	s_or_b64 s[58:59], s[58:59], s[62:63]
	s_and_saveexec_b64 s[62:63], s[60:61]
	s_cbranch_execz .LBB4_5432
; %bb.5436:                             ;   in Loop: Header=BB4_5433 Depth=2
	s_sleep 1
	s_trap 2
	ds_read_b64 v[2:3], v0
	v_accvgpr_read_b32 v4, a22
	v_accvgpr_read_b32 v5, a23
	s_andn2_b64 s[58:59], s[58:59], exec
	s_waitcnt lgkmcnt(0)
	v_cmp_ge_u64_e32 vcc, v[2:3], v[4:5]
	s_orn2_b64 vcc, vcc, exec
	s_branch .LBB4_5432
.LBB4_5437:                             ;   in Loop: Header=BB4_5381 Depth=1
	s_or_b64 exec, exec, s[54:55]
	s_and_saveexec_b64 vcc, s[56:57]
	s_xor_b64 vcc, exec, vcc
	s_cbranch_execz .LBB4_5439
; %bb.5438:                             ;   in Loop: Header=BB4_5381 Depth=1
	v_mov_b32_e32 v1, 1
	ds_write_b32 v0, v1
	s_trap 2
.LBB4_5439:                             ;   in Loop: Header=BB4_5381 Depth=1
	s_or_b64 exec, exec, s[52:53]
	;;#ASMSTART
	s_wakeup
	;;#ASMEND
.LBB4_5440:                             ;   in Loop: Header=BB4_5381 Depth=1
	s_or_b64 exec, exec, s[50:51]
.LBB4_5441:                             ;   in Loop: Header=BB4_5381 Depth=1
	s_andn2_saveexec_b64 s[22:23], s[22:23]
	s_cbranch_execz .LBB4_5443
; %bb.5442:                             ;   in Loop: Header=BB4_5381 Depth=1
	s_waitcnt vmcnt(0) lgkmcnt(0)
	buffer_wbinvl1_vol
	s_barrier
.LBB4_5443:                             ;   in Loop: Header=BB4_5381 Depth=1
	s_or_b64 exec, exec, s[22:23]
.LBB4_5444:                             ;   in Loop: Header=BB4_5381 Depth=1
	s_or_b64 exec, exec, s[20:21]
	s_trap 2
	s_waitcnt lgkmcnt(0)
	ds_read_b64 v[2:3], v0
	s_waitcnt lgkmcnt(0)
	v_readfirstlane_b32 s20, v2
	v_readfirstlane_b32 s21, v3
	s_cmp_eq_u64 s[20:21], 0
	s_cselect_b64 s[20:21], -1, 0
	s_or_b64 s[22:23], s[20:21], s[20:21]
	s_mov_b64 s[20:21], 0
	s_and_b64 vcc, exec, s[22:23]
	s_cbranch_vccnz .LBB4_6737
; %bb.5445:                             ;   in Loop: Header=BB4_5381 Depth=1
	s_mov_b64 s[22:23], -1
	s_and_saveexec_b64 s[20:21], s[14:15]
	s_cbranch_execz .LBB4_5447
; %bb.5446:                             ;   in Loop: Header=BB4_5381 Depth=1
	ds_read_b32 v1, v0 offset:720
	s_waitcnt lgkmcnt(0)
	v_and_b32_e32 v1, 15, v1
	v_cmp_eq_u32_e32 vcc, 0, v1
	s_orn2_b64 s[22:23], vcc, exec
.LBB4_5447:                             ;   in Loop: Header=BB4_5381 Depth=1
	s_or_b64 exec, exec, s[20:21]
	s_and_saveexec_b64 s[20:21], s[16:17]
	s_cbranch_execz .LBB4_5449
; %bb.5448:                             ;   in Loop: Header=BB4_5381 Depth=1
	ds_read_b32 v1, v0 offset:784
	s_waitcnt lgkmcnt(0)
	v_and_b32_e32 v1, 15, v1
	v_cmp_eq_u32_e32 vcc, 0, v1
	s_and_b64 vcc, s[22:23], vcc
	s_andn2_b64 s[22:23], s[22:23], exec
	s_and_b64 vcc, vcc, exec
	s_or_b64 s[22:23], s[22:23], vcc
.LBB4_5449:                             ;   in Loop: Header=BB4_5381 Depth=1
	s_or_b64 exec, exec, s[20:21]
	v_cmp_eq_u32_e32 vcc, 0, v0
	s_xor_b64 s[22:23], s[22:23], -1
	v_cndmask_b32_e32 v4, 0, v8, vcc
	v_cndmask_b32_e64 v0, 0, 1, s[22:23]
	v_accvgpr_write_b32 a38, v6
	v_mov_b32_e32 v1, 0
	v_accvgpr_write_b32 a40, v8
	s_mov_b64 s[20:21], -1
	;;#ASMSTART
	;;#ASMEND
	v_cmp_ne_u32_e32 vcc, 0, v0
	v_accvgpr_write_b32 a39, v4
	v_accvgpr_read_b32 v5, a3
	v_accvgpr_read_b32 v8, a29
	s_cbranch_vccz .LBB4_5451
; %bb.5450:                             ;   in Loop: Header=BB4_5381 Depth=1
	s_and_saveexec_b64 s[22:23], s[20:21]
	s_cbranch_execnz .LBB4_6344
	s_branch .LBB4_6736
.LBB4_5451:                             ;   in Loop: Header=BB4_5381 Depth=1
	v_accvgpr_read_b32 v0, a39
	v_lshrrev_b32_e32 v0, 11, v0
	v_accvgpr_read_b32 v1, a29
	v_sub_u32_e32 v0, v0, v1
	v_cmp_lt_i32_e32 vcc, 0, v0
	s_and_saveexec_b64 s[22:23], vcc
	s_cbranch_execz .LBB4_6039
; %bb.5452:                             ;   in Loop: Header=BB4_5381 Depth=1
	s_trap 2
	ds_read_b64 v[54:55], v0
	v_accvgpr_read_b32 v41, a31
	v_accvgpr_read_b32 v40, a30
	s_waitcnt lgkmcnt(0)
	v_readfirstlane_b32 s20, v54
	s_and_b32 s21, s20, 7
	s_flbit_i32_b32 s21, s21
	s_min_u32 s21, s21, 32
	s_and_b32 vcc_lo, s20, 0x7f
	s_bfe_u32 vcc_hi, s20, 0x40003
	s_sub_i32 s50, s21, 28
	s_sub_i32 s21, 29, s21
	s_cmp_lt_u32 vcc_lo, 8
	s_cselect_b32 s21, s21, vcc_hi
	s_cselect_b32 vcc_hi, s50, 0
	s_lshl_b32 s20, s20, 24
	s_lshl_b32 s21, s21, 23
	v_lshlrev_b64 v[2:3], vcc_hi, v[54:55]
	s_and_b32 s20, s20, 0x80000000
	s_add_i32 s21, s21, 0x3c000000
	v_lshlrev_b32_e32 v1, 20, v2
	s_or_b32 s20, s20, s21
	v_and_b32_e32 v1, 0x700000, v1
	s_cmpk_lg_i32 vcc_lo, 0x7f
	v_or_b32_e32 v1, s20, v1
	s_cselect_b64 vcc, -1, 0
	v_mov_b32_e32 v2, 0x7f800001
	v_cndmask_b32_e32 v1, v2, v1, vcc
	v_accvgpr_write_b32 a41, v1
	s_mov_b64 s[50:51], 0
	s_branch .LBB4_5454
.LBB4_5453:                             ;   in Loop: Header=BB4_5454 Depth=2
	s_or_b64 exec, exec, s[20:21]
	v_lshlrev_b32_e32 v1, 16, v22
	v_perm_b32 v3, v19, v9, s71
	v_lshlrev_b32_e32 v5, 24, v23
	v_or3_b32 v5, v1, v3, v5
	v_and_b32_e32 v1, 0xff, v7
	v_lshlrev_b32_e32 v6, 8, v6
	v_lshlrev_b32_e32 v3, 24, v8
	;; [unrolled: 1-line block ×3, first 2 shown]
	v_perm_b32 v4, v6, v4, s72
	v_or3_b32 v4, v3, v1, v4
	v_and_b32_e32 v1, 0xff, v26
	v_lshlrev_b32_e32 v6, 8, v25
	v_lshlrev_b32_e32 v3, 24, v27
	;; [unrolled: 1-line block ×3, first 2 shown]
	v_perm_b32 v6, v6, v24, s72
	v_or3_b32 v6, v3, v1, v6
	v_perm_b32 v1, v33, v32, s71
	v_lshlrev_b32_e32 v3, 24, v35
	v_lshlrev_b32_e32 v7, 16, v34
	v_or3_b32 v7, v7, v1, v3
	v_lshlrev_b32_e32 v1, 16, v38
	v_perm_b32 v3, v46, v62, s71
	v_lshlrev_b32_e32 v8, 24, v10
	v_or3_b32 v9, v1, v3, v8
	v_and_b32_e32 v1, 0xff, v60
	v_lshlrev_b32_e32 v8, 8, v58
	v_lshlrev_b32_e32 v3, 24, v61
	;; [unrolled: 1-line block ×3, first 2 shown]
	v_perm_b32 v8, v8, v53, s72
	v_or3_b32 v8, v3, v1, v8
	v_and_b32_e32 v1, 0xff, v18
	v_lshlrev_b32_e32 v10, 8, v39
	v_lshlrev_b32_e32 v3, 24, v45
	;; [unrolled: 1-line block ×3, first 2 shown]
	v_perm_b32 v10, v10, v11, s72
	v_sub_u32_e32 v0, v0, v56
	v_or3_b32 v10, v3, v1, v10
	v_perm_b32 v1, v36, v20, s71
	v_lshlrev_b32_e32 v2, 24, v2
	v_lshlrev_b32_e32 v3, 16, v15
	v_cmp_gt_i32_e32 vcc, 1, v0
	v_or3_b32 v11, v3, v1, v2
	s_or_b64 s[50:51], vcc, s[50:51]
	v_add_co_u32_e32 v40, vcc, v40, v57
	v_accvgpr_read_b32 v1, a33
	v_addc_co_u32_e32 v41, vcc, v41, v1, vcc
	global_store_dwordx4 v[42:43], v[4:7], off glc slc
	global_store_dwordx4 v[42:43], v[8:11], off offset:1024 glc slc
	s_andn2_b64 exec, exec, s[50:51]
	s_cbranch_execz .LBB4_6038
.LBB4_5454:                             ;   Parent Loop BB4_5381 Depth=1
                                        ; =>  This Inner Loop Header: Depth=2
	v_cmp_lt_i16_sdwa s[20:21], v54, s69 src0_sel:BYTE_0 src1_sel:DWORD
	s_and_b64 vcc, exec, s[20:21]
	s_cbranch_vccnz .LBB4_5458
; %bb.5455:                             ;   in Loop: Header=BB4_5454 Depth=2
	v_cmp_eq_u16_sdwa vcc, v54, s69 src0_sel:BYTE_0 src1_sel:DWORD
	s_mov_b64 s[20:21], -1
	s_and_b64 vcc, exec, vcc
                                        ; implicit-def: $sgpr52
	s_cbranch_vccz .LBB4_5457
; %bb.5456:                             ;   in Loop: Header=BB4_5454 Depth=2
	s_mov_b64 s[20:21], 0
	s_brev_b32 s52, 1
.LBB4_5457:                             ;   in Loop: Header=BB4_5454 Depth=2
	s_branch .LBB4_5460
.LBB4_5458:                             ;   in Loop: Header=BB4_5454 Depth=2
	s_mov_b64 s[20:21], 0
                                        ; implicit-def: $sgpr52
	s_cbranch_execz .LBB4_5460
; %bb.5459:                             ;   in Loop: Header=BB4_5454 Depth=2
	v_cmp_ne_u16_sdwa s[20:21], v54, v17 src0_sel:BYTE_0 src1_sel:DWORD
	s_mov_b32 s52, 0
.LBB4_5460:                             ;   in Loop: Header=BB4_5454 Depth=2
	s_andn2_b64 vcc, exec, s[20:21]
	v_mov_b32_e32 v5, s52
	s_cbranch_vccnz .LBB4_5462
; %bb.5461:                             ;   in Loop: Header=BB4_5454 Depth=2
	v_accvgpr_read_b32 v5, a41
.LBB4_5462:                             ;   in Loop: Header=BB4_5454 Depth=2
	v_add_co_u32_e32 v42, vcc, v54, v40
	v_addc_co_u32_e32 v43, vcc, v55, v41, vcc
	global_load_dwordx4 v[10:13], v[42:43], off glc slc
	v_mov_b32_e32 v2, 0
	s_waitcnt vmcnt(0)
	v_cmp_ne_u16_sdwa vcc, v10, v17 src0_sel:BYTE_0 src1_sel:DWORD
	s_and_saveexec_b64 s[20:21], vcc
	s_cbranch_execz .LBB4_5468
; %bb.5463:                             ;   in Loop: Header=BB4_5454 Depth=2
	v_cmp_ne_u16_sdwa vcc, v10, s69 src0_sel:BYTE_0 src1_sel:DWORD
	v_bfrev_b32_e32 v2, 1
	s_and_saveexec_b64 s[52:53], vcc
	s_cbranch_execz .LBB4_5467
; %bb.5464:                             ;   in Loop: Header=BB4_5454 Depth=2
	v_and_b32_e32 v1, 0x7f, v10
	v_cmp_ne_u32_e32 vcc, s68, v1
	v_mov_b32_e32 v2, 0x7f800001
	s_and_saveexec_b64 s[54:55], vcc
	s_cbranch_execz .LBB4_5466
; %bb.5465:                             ;   in Loop: Header=BB4_5454 Depth=2
	v_and_b32_e32 v2, 7, v10
	v_ffbh_u32_e32 v2, v2
	v_min_u32_e32 v2, 32, v2
	v_lshrrev_b32_e32 v3, 3, v1
	v_subrev_u32_e32 v4, 28, v2
	v_sub_u32_e32 v2, 29, v2
	v_cmp_gt_u32_e32 vcc, 8, v1
	v_cndmask_b32_e32 v1, v3, v2, vcc
	v_cndmask_b32_e32 v2, 0, v4, vcc
	v_lshlrev_b64 v[2:3], v2, v[10:11]
	v_lshlrev_b32_e32 v2, 20, v2
	v_lshlrev_b32_e32 v3, 24, v10
	v_and_b32_e32 v2, 0x700000, v2
	v_and_b32_e32 v3, 0x80000000, v3
	v_lshl_add_u32 v1, v1, 23, v47
	v_or3_b32 v2, v3, v1, v2
.LBB4_5466:                             ;   in Loop: Header=BB4_5454 Depth=2
	s_or_b64 exec, exec, s[54:55]
.LBB4_5467:                             ;   in Loop: Header=BB4_5454 Depth=2
	s_or_b64 exec, exec, s[52:53]
.LBB4_5468:                             ;   in Loop: Header=BB4_5454 Depth=2
	s_or_b64 exec, exec, s[20:21]
	v_mul_f32_e32 v2, v5, v2
	v_and_b32_sdwa v6, v2, s69 dst_sel:DWORD dst_unused:UNUSED_PAD src0_sel:BYTE_3 src1_sel:DWORD
	v_and_b32_e32 v8, 0x7f800000, v2
	v_mov_b32_e32 v9, v17
	v_and_b32_e32 v16, 0x7fffff, v2
	v_or_b32_e32 v4, 0x7e, v6
	v_cmp_ne_u64_e32 vcc, s[38:39], v[8:9]
	s_and_saveexec_b64 s[20:21], vcc
	s_xor_b64 s[52:53], exec, s[20:21]
	s_cbranch_execz .LBB4_5478
; %bb.5469:                             ;   in Loop: Header=BB4_5454 Depth=2
	v_and_b32_e32 v8, 0x7fffffff, v2
	v_mov_b32_e32 v9, v17
	v_cmp_gt_u64_e32 vcc, s[40:41], v[8:9]
	s_and_saveexec_b64 s[54:55], vcc
	s_cbranch_execz .LBB4_5477
; %bb.5470:                             ;   in Loop: Header=BB4_5454 Depth=2
	v_cmp_ne_u32_e32 vcc, 0, v2
	v_mov_b32_e32 v4, 0
	s_and_saveexec_b64 s[56:57], vcc
	s_cbranch_execz .LBB4_5476
; %bb.5471:                             ;   in Loop: Header=BB4_5454 Depth=2
	v_bfe_u32 v1, v2, 23, 8
	v_sub_u32_e32 v3, 0x79, v1
	v_cmp_gt_u32_e32 vcc, s70, v1
	v_cndmask_b32_e32 v3, 0, v3, vcc
	v_cmp_eq_u32_e32 vcc, 0, v1
	v_add_u32_e32 v2, 0xffffff81, v1
	v_or_b32_e32 v4, 0x800000, v16
	v_cndmask_b32_e32 v7, v3, v37, vcc
	v_cndmask_b32_e32 v1, v2, v14, vcc
	;; [unrolled: 1-line block ×3, first 2 shown]
	v_add_u32_e32 v2, 20, v7
	v_lshlrev_b64 v[2:3], v2, -1
	v_add_u32_e32 v4, 19, v7
	v_lshrrev_b64 v[22:23], v7, v[16:17]
	v_not_b32_e32 v3, v3
	v_not_b32_e32 v2, v2
	v_lshlrev_b64 v[18:19], v4, 1
	v_lshrrev_b32_e32 v4, 23, v22
	v_and_b32_e32 v3, 0, v3
	v_and_b32_e32 v2, v16, v2
	v_add3_u32 v8, v7, v1, v4
	v_bfe_u32 v1, v22, 20, 1
	v_add_u32_e32 v1, -1, v1
	v_cmp_eq_u64_e32 vcc, v[2:3], v[18:19]
	v_cndmask_b32_e32 v1, 0, v1, vcc
	v_add_u32_e32 v1, v1, v22
	v_and_b32_e32 v1, 0xfffff, v1
	v_add_co_u32_e32 v2, vcc, v1, v22
	v_add_u32_e32 v7, 6, v8
	v_addc_co_u32_e32 v3, vcc, 0, v23, vcc
	v_cmp_ne_u32_e32 vcc, 0, v7
                                        ; implicit-def: $vgpr4
	s_and_saveexec_b64 s[20:21], vcc
	s_xor_b64 s[20:21], exec, s[20:21]
; %bb.5472:                             ;   in Loop: Header=BB4_5454 Depth=2
	v_add_u32_e32 v1, 7, v8
	v_cmp_lt_u64_e32 vcc, s[44:45], v[2:3]
	v_cndmask_b32_e32 v4, v7, v1, vcc
	v_cndmask_b32_e64 v1, 0, 1, vcc
	v_lshrrev_b64 v[2:3], v1, v[2:3]
; %bb.5473:                             ;   in Loop: Header=BB4_5454 Depth=2
	s_andn2_saveexec_b64 s[20:21], s[20:21]
; %bb.5474:                             ;   in Loop: Header=BB4_5454 Depth=2
	v_bfe_u32 v4, v2, 23, 1
; %bb.5475:                             ;   in Loop: Header=BB4_5454 Depth=2
	s_or_b64 exec, exec, s[20:21]
	v_lshrrev_b64 v[2:3], 20, v[2:3]
	v_cmp_gt_i32_e32 vcc, 16, v4
	v_cndmask_b32_e32 v3, 0, v3, vcc
	v_cndmask_b32_e32 v2, 7, v2, vcc
	v_min_i32_e32 v1, 15, v4
	v_cmp_eq_u32_e32 vcc, 0, v4
	v_cmp_eq_u64_e64 s[20:21], 0, v[2:3]
	v_lshlrev_b32_e32 v1, 3, v1
	v_and_or_b32 v1, v2, 7, v1
	s_and_b64 s[20:21], vcc, s[20:21]
	v_cndmask_b32_e64 v1, v1, 0, s[20:21]
	v_or_b32_e32 v4, v1, v6
.LBB4_5476:                             ;   in Loop: Header=BB4_5454 Depth=2
	s_or_b64 exec, exec, s[56:57]
.LBB4_5477:                             ;   in Loop: Header=BB4_5454 Depth=2
	s_or_b64 exec, exec, s[54:55]
                                        ; implicit-def: $vgpr2
.LBB4_5478:                             ;   in Loop: Header=BB4_5454 Depth=2
	s_andn2_saveexec_b64 s[20:21], s[52:53]
; %bb.5479:                             ;   in Loop: Header=BB4_5454 Depth=2
	v_or_b32_sdwa v1, v2, s68 dst_sel:DWORD dst_unused:UNUSED_PAD src0_sel:BYTE_3 src1_sel:DWORD
	v_cmp_eq_u64_e32 vcc, 0, v[16:17]
	v_cndmask_b32_e32 v4, v1, v4, vcc
; %bb.5480:                             ;   in Loop: Header=BB4_5454 Depth=2
	s_or_b64 exec, exec, s[20:21]
	v_lshrrev_b16_e32 v2, 8, v10
	v_cmp_ne_u16_e32 vcc, 0, v2
	v_mov_b32_e32 v3, 0
	s_and_saveexec_b64 s[20:21], vcc
	s_cbranch_execz .LBB4_5486
; %bb.5481:                             ;   in Loop: Header=BB4_5454 Depth=2
	v_cmp_ne_u16_e32 vcc, s69, v2
	v_bfrev_b32_e32 v3, 1
	s_and_saveexec_b64 s[52:53], vcc
	s_cbranch_execz .LBB4_5485
; %bb.5482:                             ;   in Loop: Header=BB4_5454 Depth=2
	v_and_b32_e32 v1, 0x7f, v2
	v_cmp_ne_u32_e32 vcc, s68, v1
	v_mov_b32_e32 v3, 0x7f800001
	s_and_saveexec_b64 s[54:55], vcc
	s_cbranch_execz .LBB4_5484
; %bb.5483:                             ;   in Loop: Header=BB4_5454 Depth=2
	v_and_b32_e32 v6, 7, v2
	v_ffbh_u32_e32 v3, v6
	v_min_u32_e32 v8, 32, v3
	v_subrev_u32_e32 v3, 28, v8
	v_lshlrev_b64 v[2:3], v3, v[2:3]
	v_lshrrev_b32_e32 v7, 3, v1
	v_sub_u32_e32 v3, 29, v8
	v_and_b32_e32 v2, 7, v2
	v_cmp_gt_u32_e32 vcc, 8, v1
	v_cndmask_b32_e32 v1, v7, v3, vcc
	v_cndmask_b32_e32 v2, v6, v2, vcc
	v_lshlrev_b32_e32 v3, 16, v10
	v_lshlrev_b32_e32 v2, 20, v2
	v_and_b32_e32 v3, 0x80000000, v3
	v_lshl_add_u32 v1, v1, 23, v47
	v_or3_b32 v3, v3, v1, v2
.LBB4_5484:                             ;   in Loop: Header=BB4_5454 Depth=2
	s_or_b64 exec, exec, s[54:55]
.LBB4_5485:                             ;   in Loop: Header=BB4_5454 Depth=2
	s_or_b64 exec, exec, s[52:53]
.LBB4_5486:                             ;   in Loop: Header=BB4_5454 Depth=2
	s_or_b64 exec, exec, s[20:21]
	v_mul_f32_e32 v2, v5, v3
	v_and_b32_sdwa v7, v2, s69 dst_sel:DWORD dst_unused:UNUSED_PAD src0_sel:BYTE_3 src1_sel:DWORD
	v_and_b32_e32 v8, 0x7f800000, v2
	v_mov_b32_e32 v9, v17
	v_and_b32_e32 v16, 0x7fffff, v2
	v_or_b32_e32 v6, 0x7e, v7
	v_cmp_ne_u64_e32 vcc, s[38:39], v[8:9]
	s_and_saveexec_b64 s[20:21], vcc
	s_xor_b64 s[52:53], exec, s[20:21]
	s_cbranch_execz .LBB4_5496
; %bb.5487:                             ;   in Loop: Header=BB4_5454 Depth=2
	v_and_b32_e32 v8, 0x7fffffff, v2
	v_mov_b32_e32 v9, v17
	v_cmp_gt_u64_e32 vcc, s[40:41], v[8:9]
	s_and_saveexec_b64 s[54:55], vcc
	s_cbranch_execz .LBB4_5495
; %bb.5488:                             ;   in Loop: Header=BB4_5454 Depth=2
	v_cmp_ne_u32_e32 vcc, 0, v2
	v_mov_b32_e32 v6, 0
	s_and_saveexec_b64 s[56:57], vcc
	s_cbranch_execz .LBB4_5494
; %bb.5489:                             ;   in Loop: Header=BB4_5454 Depth=2
	v_bfe_u32 v1, v2, 23, 8
	v_sub_u32_e32 v3, 0x79, v1
	v_cmp_gt_u32_e32 vcc, s70, v1
	v_cndmask_b32_e32 v3, 0, v3, vcc
	v_cmp_eq_u32_e32 vcc, 0, v1
	v_add_u32_e32 v2, 0xffffff81, v1
	v_or_b32_e32 v6, 0x800000, v16
	v_cndmask_b32_e32 v8, v3, v37, vcc
	v_cndmask_b32_e32 v1, v2, v14, vcc
	;; [unrolled: 1-line block ×3, first 2 shown]
	v_add_u32_e32 v2, 20, v8
	v_lshlrev_b64 v[2:3], v2, -1
	v_add_u32_e32 v6, 19, v8
	v_lshrrev_b64 v[22:23], v8, v[16:17]
	v_not_b32_e32 v3, v3
	v_not_b32_e32 v2, v2
	v_lshlrev_b64 v[18:19], v6, 1
	v_lshrrev_b32_e32 v6, 23, v22
	v_and_b32_e32 v3, 0, v3
	v_and_b32_e32 v2, v16, v2
	v_add3_u32 v9, v8, v1, v6
	v_bfe_u32 v1, v22, 20, 1
	v_add_u32_e32 v1, -1, v1
	v_cmp_eq_u64_e32 vcc, v[2:3], v[18:19]
	v_cndmask_b32_e32 v1, 0, v1, vcc
	v_add_u32_e32 v1, v1, v22
	v_and_b32_e32 v1, 0xfffff, v1
	v_add_co_u32_e32 v2, vcc, v1, v22
	v_add_u32_e32 v8, 6, v9
	v_addc_co_u32_e32 v3, vcc, 0, v23, vcc
	v_cmp_ne_u32_e32 vcc, 0, v8
                                        ; implicit-def: $vgpr6
	s_and_saveexec_b64 s[20:21], vcc
	s_xor_b64 s[20:21], exec, s[20:21]
; %bb.5490:                             ;   in Loop: Header=BB4_5454 Depth=2
	v_add_u32_e32 v1, 7, v9
	v_cmp_lt_u64_e32 vcc, s[44:45], v[2:3]
	v_cndmask_b32_e32 v6, v8, v1, vcc
	v_cndmask_b32_e64 v1, 0, 1, vcc
	v_lshrrev_b64 v[2:3], v1, v[2:3]
; %bb.5491:                             ;   in Loop: Header=BB4_5454 Depth=2
	s_andn2_saveexec_b64 s[20:21], s[20:21]
; %bb.5492:                             ;   in Loop: Header=BB4_5454 Depth=2
	v_bfe_u32 v6, v2, 23, 1
; %bb.5493:                             ;   in Loop: Header=BB4_5454 Depth=2
	s_or_b64 exec, exec, s[20:21]
	v_lshrrev_b64 v[2:3], 20, v[2:3]
	v_cmp_gt_i32_e32 vcc, 16, v6
	v_cndmask_b32_e32 v3, 0, v3, vcc
	v_cndmask_b32_e32 v2, 7, v2, vcc
	v_min_i32_e32 v1, 15, v6
	v_cmp_eq_u32_e32 vcc, 0, v6
	v_cmp_eq_u64_e64 s[20:21], 0, v[2:3]
	v_lshlrev_b32_e32 v1, 3, v1
	v_and_or_b32 v1, v2, 7, v1
	s_and_b64 s[20:21], vcc, s[20:21]
	v_cndmask_b32_e64 v1, v1, 0, s[20:21]
	v_or_b32_e32 v6, v1, v7
.LBB4_5494:                             ;   in Loop: Header=BB4_5454 Depth=2
	s_or_b64 exec, exec, s[56:57]
.LBB4_5495:                             ;   in Loop: Header=BB4_5454 Depth=2
	s_or_b64 exec, exec, s[54:55]
                                        ; implicit-def: $vgpr2
.LBB4_5496:                             ;   in Loop: Header=BB4_5454 Depth=2
	s_andn2_saveexec_b64 s[20:21], s[52:53]
; %bb.5497:                             ;   in Loop: Header=BB4_5454 Depth=2
	v_or_b32_sdwa v1, v2, s68 dst_sel:DWORD dst_unused:UNUSED_PAD src0_sel:BYTE_3 src1_sel:DWORD
	v_cmp_eq_u64_e32 vcc, 0, v[16:17]
	v_cndmask_b32_e32 v6, v1, v6, vcc
; %bb.5498:                             ;   in Loop: Header=BB4_5454 Depth=2
	s_or_b64 exec, exec, s[20:21]
	v_lshrrev_b32_e32 v2, 16, v10
	v_cmp_ne_u16_sdwa vcc, v2, v17 src0_sel:BYTE_0 src1_sel:DWORD
	v_mov_b32_e32 v3, 0
	s_and_saveexec_b64 s[20:21], vcc
	s_cbranch_execz .LBB4_5504
; %bb.5499:                             ;   in Loop: Header=BB4_5454 Depth=2
	v_cmp_ne_u16_sdwa vcc, v2, s69 src0_sel:BYTE_0 src1_sel:DWORD
	v_bfrev_b32_e32 v3, 1
	s_and_saveexec_b64 s[52:53], vcc
	s_cbranch_execz .LBB4_5503
; %bb.5500:                             ;   in Loop: Header=BB4_5454 Depth=2
	v_bfe_u32 v1, v10, 16, 7
	v_cmp_ne_u32_e32 vcc, s68, v1
	v_mov_b32_e32 v3, 0x7f800001
	s_and_saveexec_b64 s[54:55], vcc
	s_cbranch_execz .LBB4_5502
; %bb.5501:                             ;   in Loop: Header=BB4_5454 Depth=2
	v_and_b32_e32 v3, 7, v2
	v_ffbh_u32_e32 v8, v3
	v_min_u32_e32 v15, 32, v8
	v_subrev_u32_e32 v8, 28, v15
	v_lshlrev_b64 v[8:9], v8, v[2:3]
	v_lshrrev_b32_e32 v7, 3, v1
	v_sub_u32_e32 v9, 29, v15
	v_and_b32_e32 v8, 7, v8
	v_cmp_gt_u32_e32 vcc, 8, v1
	v_cndmask_b32_e32 v1, v7, v9, vcc
	v_cndmask_b32_e32 v3, v3, v8, vcc
	v_lshlrev_b32_e32 v2, 24, v2
	v_lshlrev_b32_e32 v3, 20, v3
	v_and_b32_e32 v2, 0x80000000, v2
	v_lshl_add_u32 v1, v1, 23, v47
	v_or3_b32 v3, v2, v1, v3
.LBB4_5502:                             ;   in Loop: Header=BB4_5454 Depth=2
	s_or_b64 exec, exec, s[54:55]
.LBB4_5503:                             ;   in Loop: Header=BB4_5454 Depth=2
	s_or_b64 exec, exec, s[52:53]
.LBB4_5504:                             ;   in Loop: Header=BB4_5454 Depth=2
	s_or_b64 exec, exec, s[20:21]
	v_mul_f32_e32 v2, v5, v3
	v_and_b32_sdwa v8, v2, s69 dst_sel:DWORD dst_unused:UNUSED_PAD src0_sel:BYTE_3 src1_sel:DWORD
	v_and_b32_e32 v18, 0x7f800000, v2
	v_mov_b32_e32 v19, v17
	v_and_b32_e32 v16, 0x7fffff, v2
	v_or_b32_e32 v7, 0x7e, v8
	v_cmp_ne_u64_e32 vcc, s[38:39], v[18:19]
	s_and_saveexec_b64 s[20:21], vcc
	s_xor_b64 s[52:53], exec, s[20:21]
	s_cbranch_execz .LBB4_5514
; %bb.5505:                             ;   in Loop: Header=BB4_5454 Depth=2
	v_and_b32_e32 v18, 0x7fffffff, v2
	v_mov_b32_e32 v19, v17
	v_cmp_gt_u64_e32 vcc, s[40:41], v[18:19]
	s_and_saveexec_b64 s[54:55], vcc
	s_cbranch_execz .LBB4_5513
; %bb.5506:                             ;   in Loop: Header=BB4_5454 Depth=2
	v_cmp_ne_u32_e32 vcc, 0, v2
	v_mov_b32_e32 v7, 0
	s_and_saveexec_b64 s[56:57], vcc
	s_cbranch_execz .LBB4_5512
; %bb.5507:                             ;   in Loop: Header=BB4_5454 Depth=2
	v_bfe_u32 v1, v2, 23, 8
	v_sub_u32_e32 v3, 0x79, v1
	v_cmp_gt_u32_e32 vcc, s70, v1
	v_cndmask_b32_e32 v3, 0, v3, vcc
	v_cmp_eq_u32_e32 vcc, 0, v1
	v_add_u32_e32 v2, 0xffffff81, v1
	v_or_b32_e32 v7, 0x800000, v16
	v_cndmask_b32_e32 v9, v3, v37, vcc
	v_cndmask_b32_e32 v1, v2, v14, vcc
	;; [unrolled: 1-line block ×3, first 2 shown]
	v_add_u32_e32 v2, 20, v9
	v_lshlrev_b64 v[2:3], v2, -1
	v_add_u32_e32 v7, 19, v9
	v_lshrrev_b64 v[22:23], v9, v[16:17]
	v_not_b32_e32 v3, v3
	v_not_b32_e32 v2, v2
	v_lshlrev_b64 v[18:19], v7, 1
	v_lshrrev_b32_e32 v7, 23, v22
	v_and_b32_e32 v3, 0, v3
	v_and_b32_e32 v2, v16, v2
	v_add3_u32 v15, v9, v1, v7
	v_bfe_u32 v1, v22, 20, 1
	v_add_u32_e32 v1, -1, v1
	v_cmp_eq_u64_e32 vcc, v[2:3], v[18:19]
	v_cndmask_b32_e32 v1, 0, v1, vcc
	v_add_u32_e32 v1, v1, v22
	v_and_b32_e32 v1, 0xfffff, v1
	v_add_co_u32_e32 v2, vcc, v1, v22
	v_add_u32_e32 v9, 6, v15
	v_addc_co_u32_e32 v3, vcc, 0, v23, vcc
	v_cmp_ne_u32_e32 vcc, 0, v9
                                        ; implicit-def: $vgpr7
	s_and_saveexec_b64 s[20:21], vcc
	s_xor_b64 s[20:21], exec, s[20:21]
; %bb.5508:                             ;   in Loop: Header=BB4_5454 Depth=2
	v_add_u32_e32 v1, 7, v15
	v_cmp_lt_u64_e32 vcc, s[44:45], v[2:3]
	v_cndmask_b32_e32 v7, v9, v1, vcc
	v_cndmask_b32_e64 v1, 0, 1, vcc
	v_lshrrev_b64 v[2:3], v1, v[2:3]
; %bb.5509:                             ;   in Loop: Header=BB4_5454 Depth=2
	s_andn2_saveexec_b64 s[20:21], s[20:21]
; %bb.5510:                             ;   in Loop: Header=BB4_5454 Depth=2
	v_bfe_u32 v7, v2, 23, 1
; %bb.5511:                             ;   in Loop: Header=BB4_5454 Depth=2
	s_or_b64 exec, exec, s[20:21]
	v_lshrrev_b64 v[2:3], 20, v[2:3]
	v_cmp_gt_i32_e32 vcc, 16, v7
	v_cndmask_b32_e32 v3, 0, v3, vcc
	v_cndmask_b32_e32 v2, 7, v2, vcc
	v_min_i32_e32 v1, 15, v7
	v_cmp_eq_u32_e32 vcc, 0, v7
	v_cmp_eq_u64_e64 s[20:21], 0, v[2:3]
	v_lshlrev_b32_e32 v1, 3, v1
	v_and_or_b32 v1, v2, 7, v1
	s_and_b64 s[20:21], vcc, s[20:21]
	v_cndmask_b32_e64 v1, v1, 0, s[20:21]
	v_or_b32_e32 v7, v1, v8
.LBB4_5512:                             ;   in Loop: Header=BB4_5454 Depth=2
	s_or_b64 exec, exec, s[56:57]
.LBB4_5513:                             ;   in Loop: Header=BB4_5454 Depth=2
	s_or_b64 exec, exec, s[54:55]
                                        ; implicit-def: $vgpr2
.LBB4_5514:                             ;   in Loop: Header=BB4_5454 Depth=2
	s_andn2_saveexec_b64 s[20:21], s[52:53]
; %bb.5515:                             ;   in Loop: Header=BB4_5454 Depth=2
	v_or_b32_sdwa v1, v2, s68 dst_sel:DWORD dst_unused:UNUSED_PAD src0_sel:BYTE_3 src1_sel:DWORD
	v_cmp_eq_u64_e32 vcc, 0, v[16:17]
	v_cndmask_b32_e32 v7, v1, v7, vcc
; %bb.5516:                             ;   in Loop: Header=BB4_5454 Depth=2
	s_or_b64 exec, exec, s[20:21]
	v_cmp_lt_u32_e32 vcc, s43, v10
	v_mov_b32_e32 v3, 0
	s_and_saveexec_b64 s[20:21], vcc
	s_cbranch_execz .LBB4_5522
; %bb.5517:                             ;   in Loop: Header=BB4_5454 Depth=2
	v_lshrrev_b32_e32 v2, 24, v10
	v_cmp_ne_u32_e32 vcc, s69, v2
	v_bfrev_b32_e32 v3, 1
	s_and_saveexec_b64 s[52:53], vcc
	s_cbranch_execz .LBB4_5521
; %bb.5518:                             ;   in Loop: Header=BB4_5454 Depth=2
	v_bfe_u32 v1, v10, 24, 7
	v_cmp_ne_u32_e32 vcc, s68, v1
	v_mov_b32_e32 v3, 0x7f800001
	s_and_saveexec_b64 s[54:55], vcc
	s_cbranch_execz .LBB4_5520
; %bb.5519:                             ;   in Loop: Header=BB4_5454 Depth=2
	v_and_b32_e32 v3, 7, v2
	v_ffbh_u32_e32 v8, v3
	v_min_u32_e32 v16, 32, v8
	v_subrev_u32_e32 v8, 28, v16
	v_lshlrev_b64 v[8:9], v8, v[2:3]
	v_lshrrev_b32_e32 v15, 3, v1
	v_sub_u32_e32 v9, 29, v16
	v_and_b32_e32 v8, 7, v8
	v_cmp_gt_u32_e32 vcc, 8, v1
	v_cndmask_b32_e32 v1, v15, v9, vcc
	v_cndmask_b32_e32 v3, v3, v8, vcc
	v_lshlrev_b32_e32 v2, 24, v2
	v_lshlrev_b32_e32 v3, 20, v3
	v_and_b32_e32 v2, 0x80000000, v2
	v_lshl_add_u32 v1, v1, 23, v47
	v_or3_b32 v3, v2, v1, v3
.LBB4_5520:                             ;   in Loop: Header=BB4_5454 Depth=2
	s_or_b64 exec, exec, s[54:55]
.LBB4_5521:                             ;   in Loop: Header=BB4_5454 Depth=2
	s_or_b64 exec, exec, s[52:53]
.LBB4_5522:                             ;   in Loop: Header=BB4_5454 Depth=2
	s_or_b64 exec, exec, s[20:21]
	v_mul_f32_e32 v2, v5, v3
	v_and_b32_sdwa v9, v2, s69 dst_sel:DWORD dst_unused:UNUSED_PAD src0_sel:BYTE_3 src1_sel:DWORD
	v_and_b32_e32 v18, 0x7f800000, v2
	v_mov_b32_e32 v19, v17
	v_and_b32_e32 v16, 0x7fffff, v2
	v_or_b32_e32 v8, 0x7e, v9
	v_cmp_ne_u64_e32 vcc, s[38:39], v[18:19]
	s_and_saveexec_b64 s[20:21], vcc
	s_xor_b64 s[52:53], exec, s[20:21]
	s_cbranch_execz .LBB4_5532
; %bb.5523:                             ;   in Loop: Header=BB4_5454 Depth=2
	v_and_b32_e32 v18, 0x7fffffff, v2
	v_mov_b32_e32 v19, v17
	v_cmp_gt_u64_e32 vcc, s[40:41], v[18:19]
	s_and_saveexec_b64 s[54:55], vcc
	s_cbranch_execz .LBB4_5531
; %bb.5524:                             ;   in Loop: Header=BB4_5454 Depth=2
	v_cmp_ne_u32_e32 vcc, 0, v2
	v_mov_b32_e32 v8, 0
	s_and_saveexec_b64 s[56:57], vcc
	s_cbranch_execz .LBB4_5530
; %bb.5525:                             ;   in Loop: Header=BB4_5454 Depth=2
	v_bfe_u32 v1, v2, 23, 8
	v_sub_u32_e32 v3, 0x79, v1
	v_cmp_gt_u32_e32 vcc, s70, v1
	v_cndmask_b32_e32 v3, 0, v3, vcc
	v_cmp_eq_u32_e32 vcc, 0, v1
	v_add_u32_e32 v2, 0xffffff81, v1
	v_or_b32_e32 v8, 0x800000, v16
	v_cndmask_b32_e32 v15, v3, v37, vcc
	v_cndmask_b32_e32 v1, v2, v14, vcc
	;; [unrolled: 1-line block ×3, first 2 shown]
	v_add_u32_e32 v2, 20, v15
	v_lshlrev_b64 v[2:3], v2, -1
	v_add_u32_e32 v8, 19, v15
	v_lshrrev_b64 v[22:23], v15, v[16:17]
	v_not_b32_e32 v3, v3
	v_not_b32_e32 v2, v2
	v_lshlrev_b64 v[18:19], v8, 1
	v_lshrrev_b32_e32 v8, 23, v22
	v_and_b32_e32 v3, 0, v3
	v_and_b32_e32 v2, v16, v2
	v_add3_u32 v16, v15, v1, v8
	v_bfe_u32 v1, v22, 20, 1
	v_add_u32_e32 v1, -1, v1
	v_cmp_eq_u64_e32 vcc, v[2:3], v[18:19]
	v_cndmask_b32_e32 v1, 0, v1, vcc
	v_add_u32_e32 v1, v1, v22
	v_and_b32_e32 v1, 0xfffff, v1
	v_add_co_u32_e32 v2, vcc, v1, v22
	v_add_u32_e32 v15, 6, v16
	v_addc_co_u32_e32 v3, vcc, 0, v23, vcc
	v_cmp_ne_u32_e32 vcc, 0, v15
                                        ; implicit-def: $vgpr8
	s_and_saveexec_b64 s[20:21], vcc
	s_xor_b64 s[20:21], exec, s[20:21]
; %bb.5526:                             ;   in Loop: Header=BB4_5454 Depth=2
	v_add_u32_e32 v1, 7, v16
	v_cmp_lt_u64_e32 vcc, s[44:45], v[2:3]
	v_cndmask_b32_e32 v8, v15, v1, vcc
	v_cndmask_b32_e64 v1, 0, 1, vcc
	v_lshrrev_b64 v[2:3], v1, v[2:3]
; %bb.5527:                             ;   in Loop: Header=BB4_5454 Depth=2
	s_andn2_saveexec_b64 s[20:21], s[20:21]
; %bb.5528:                             ;   in Loop: Header=BB4_5454 Depth=2
	v_bfe_u32 v8, v2, 23, 1
; %bb.5529:                             ;   in Loop: Header=BB4_5454 Depth=2
	s_or_b64 exec, exec, s[20:21]
	v_lshrrev_b64 v[2:3], 20, v[2:3]
	v_cmp_gt_i32_e32 vcc, 16, v8
	v_cndmask_b32_e32 v3, 0, v3, vcc
	v_cndmask_b32_e32 v2, 7, v2, vcc
	v_min_i32_e32 v1, 15, v8
	v_cmp_eq_u32_e32 vcc, 0, v8
	v_cmp_eq_u64_e64 s[20:21], 0, v[2:3]
	v_lshlrev_b32_e32 v1, 3, v1
	v_and_or_b32 v1, v2, 7, v1
	s_and_b64 s[20:21], vcc, s[20:21]
	v_cndmask_b32_e64 v1, v1, 0, s[20:21]
	v_or_b32_e32 v8, v1, v9
.LBB4_5530:                             ;   in Loop: Header=BB4_5454 Depth=2
	s_or_b64 exec, exec, s[56:57]
.LBB4_5531:                             ;   in Loop: Header=BB4_5454 Depth=2
	s_or_b64 exec, exec, s[54:55]
                                        ; implicit-def: $vgpr2
.LBB4_5532:                             ;   in Loop: Header=BB4_5454 Depth=2
	s_andn2_saveexec_b64 s[20:21], s[52:53]
; %bb.5533:                             ;   in Loop: Header=BB4_5454 Depth=2
	v_or_b32_sdwa v1, v2, s68 dst_sel:DWORD dst_unused:UNUSED_PAD src0_sel:BYTE_3 src1_sel:DWORD
	v_cmp_eq_u64_e32 vcc, 0, v[16:17]
	v_cndmask_b32_e32 v8, v1, v8, vcc
; %bb.5534:                             ;   in Loop: Header=BB4_5454 Depth=2
	s_or_b64 exec, exec, s[20:21]
	v_mov_b32_e32 v16, v11
	v_cmp_ne_u16_sdwa vcc, v11, v17 src0_sel:BYTE_0 src1_sel:DWORD
	v_mov_b32_e32 v2, 0
	s_and_saveexec_b64 s[20:21], vcc
	s_cbranch_execz .LBB4_5540
; %bb.5535:                             ;   in Loop: Header=BB4_5454 Depth=2
	v_cmp_ne_u16_sdwa vcc, v11, s69 src0_sel:BYTE_0 src1_sel:DWORD
	v_bfrev_b32_e32 v2, 1
	s_and_saveexec_b64 s[52:53], vcc
	s_cbranch_execz .LBB4_5539
; %bb.5536:                             ;   in Loop: Header=BB4_5454 Depth=2
	v_and_b32_e32 v1, 0x7f, v11
	v_cmp_ne_u32_e32 vcc, s68, v1
	v_mov_b32_e32 v2, 0x7f800001
	s_and_saveexec_b64 s[54:55], vcc
	s_cbranch_execz .LBB4_5538
; %bb.5537:                             ;   in Loop: Header=BB4_5454 Depth=2
	v_and_b32_e32 v2, 7, v11
	v_ffbh_u32_e32 v2, v2
	v_min_u32_e32 v2, 32, v2
	v_lshrrev_b32_e32 v3, 3, v1
	v_subrev_u32_e32 v9, 28, v2
	v_sub_u32_e32 v2, 29, v2
	v_cmp_gt_u32_e32 vcc, 8, v1
	v_cndmask_b32_e32 v1, v3, v2, vcc
	v_cndmask_b32_e32 v2, 0, v9, vcc
	v_lshlrev_b64 v[2:3], v2, v[16:17]
	v_lshlrev_b32_e32 v2, 20, v2
	v_lshlrev_b32_e32 v3, 24, v16
	v_and_b32_e32 v2, 0x700000, v2
	v_and_b32_e32 v3, 0x80000000, v3
	v_lshl_add_u32 v1, v1, 23, v47
	v_or3_b32 v2, v3, v1, v2
.LBB4_5538:                             ;   in Loop: Header=BB4_5454 Depth=2
	s_or_b64 exec, exec, s[54:55]
.LBB4_5539:                             ;   in Loop: Header=BB4_5454 Depth=2
	s_or_b64 exec, exec, s[52:53]
.LBB4_5540:                             ;   in Loop: Header=BB4_5454 Depth=2
	s_or_b64 exec, exec, s[20:21]
	v_mul_f32_e32 v18, v5, v2
	v_and_b32_sdwa v15, v18, s69 dst_sel:DWORD dst_unused:UNUSED_PAD src0_sel:BYTE_3 src1_sel:DWORD
	v_and_b32_e32 v22, 0x7f800000, v18
	v_mov_b32_e32 v23, v17
	v_and_b32_e32 v2, 0x7fffff, v18
	v_mov_b32_e32 v3, v17
	v_or_b32_e32 v9, 0x7e, v15
	v_cmp_ne_u64_e32 vcc, s[38:39], v[22:23]
	s_and_saveexec_b64 s[20:21], vcc
	s_xor_b64 s[52:53], exec, s[20:21]
	s_cbranch_execz .LBB4_5550
; %bb.5541:                             ;   in Loop: Header=BB4_5454 Depth=2
	v_and_b32_e32 v22, 0x7fffffff, v18
	v_mov_b32_e32 v23, v17
	v_cmp_gt_u64_e32 vcc, s[40:41], v[22:23]
	s_and_saveexec_b64 s[54:55], vcc
	s_cbranch_execz .LBB4_5549
; %bb.5542:                             ;   in Loop: Header=BB4_5454 Depth=2
	v_cmp_ne_u32_e32 vcc, 0, v18
	v_mov_b32_e32 v9, 0
	s_and_saveexec_b64 s[56:57], vcc
	s_cbranch_execz .LBB4_5548
; %bb.5543:                             ;   in Loop: Header=BB4_5454 Depth=2
	v_bfe_u32 v1, v18, 23, 8
	v_sub_u32_e32 v18, 0x79, v1
	v_cmp_gt_u32_e32 vcc, s70, v1
	v_add_u32_e32 v9, 0xffffff81, v1
	v_cndmask_b32_e32 v18, 0, v18, vcc
	v_cmp_eq_u32_e32 vcc, 0, v1
	v_cndmask_b32_e32 v1, v9, v14, vcc
	v_cndmask_b32_e32 v9, v18, v37, vcc
	v_or_b32_e32 v19, 0x800000, v2
	v_add_u32_e32 v18, 20, v9
	v_cndmask_b32_e32 v2, v19, v2, vcc
	v_lshlrev_b64 v[18:19], v18, -1
	v_not_b32_e32 v18, v18
	v_and_b32_e32 v22, v2, v18
	v_add_u32_e32 v18, 19, v9
	v_lshrrev_b64 v[2:3], v9, v[2:3]
	v_not_b32_e32 v19, v19
	v_lshlrev_b64 v[24:25], v18, 1
	v_lshrrev_b32_e32 v18, 23, v2
	v_and_b32_e32 v23, 0, v19
	v_add3_u32 v19, v9, v1, v18
	v_bfe_u32 v1, v2, 20, 1
	v_add_u32_e32 v1, -1, v1
	v_cmp_eq_u64_e32 vcc, v[22:23], v[24:25]
	v_cndmask_b32_e32 v1, 0, v1, vcc
	v_add_u32_e32 v1, v1, v2
	v_and_b32_e32 v1, 0xfffff, v1
	v_add_co_u32_e32 v2, vcc, v1, v2
	v_add_u32_e32 v18, 6, v19
	v_addc_co_u32_e32 v3, vcc, 0, v3, vcc
	v_cmp_ne_u32_e32 vcc, 0, v18
                                        ; implicit-def: $vgpr9
	s_and_saveexec_b64 s[20:21], vcc
	s_xor_b64 s[20:21], exec, s[20:21]
; %bb.5544:                             ;   in Loop: Header=BB4_5454 Depth=2
	v_add_u32_e32 v1, 7, v19
	v_cmp_lt_u64_e32 vcc, s[44:45], v[2:3]
	v_cndmask_b32_e32 v9, v18, v1, vcc
	v_cndmask_b32_e64 v1, 0, 1, vcc
	v_lshrrev_b64 v[2:3], v1, v[2:3]
; %bb.5545:                             ;   in Loop: Header=BB4_5454 Depth=2
	s_andn2_saveexec_b64 s[20:21], s[20:21]
; %bb.5546:                             ;   in Loop: Header=BB4_5454 Depth=2
	v_bfe_u32 v9, v2, 23, 1
; %bb.5547:                             ;   in Loop: Header=BB4_5454 Depth=2
	s_or_b64 exec, exec, s[20:21]
	v_lshrrev_b64 v[2:3], 20, v[2:3]
	v_cmp_gt_i32_e32 vcc, 16, v9
	v_cndmask_b32_e32 v3, 0, v3, vcc
	v_cndmask_b32_e32 v2, 7, v2, vcc
	v_min_i32_e32 v1, 15, v9
	v_cmp_eq_u32_e32 vcc, 0, v9
	v_cmp_eq_u64_e64 s[20:21], 0, v[2:3]
	v_lshlrev_b32_e32 v1, 3, v1
	v_and_or_b32 v1, v2, 7, v1
	s_and_b64 s[20:21], vcc, s[20:21]
	v_cndmask_b32_e64 v1, v1, 0, s[20:21]
	v_or_b32_e32 v9, v1, v15
.LBB4_5548:                             ;   in Loop: Header=BB4_5454 Depth=2
	s_or_b64 exec, exec, s[56:57]
.LBB4_5549:                             ;   in Loop: Header=BB4_5454 Depth=2
	s_or_b64 exec, exec, s[54:55]
                                        ; implicit-def: $vgpr18
                                        ; implicit-def: $vgpr2_vgpr3
.LBB4_5550:                             ;   in Loop: Header=BB4_5454 Depth=2
	s_andn2_saveexec_b64 s[20:21], s[52:53]
; %bb.5551:                             ;   in Loop: Header=BB4_5454 Depth=2
	v_or_b32_sdwa v1, v18, s68 dst_sel:DWORD dst_unused:UNUSED_PAD src0_sel:BYTE_3 src1_sel:DWORD
	v_cmp_eq_u64_e32 vcc, 0, v[2:3]
	v_cndmask_b32_e32 v9, v1, v9, vcc
; %bb.5552:                             ;   in Loop: Header=BB4_5454 Depth=2
	s_or_b64 exec, exec, s[20:21]
	v_lshrrev_b16_e32 v2, 8, v16
	v_cmp_ne_u16_e32 vcc, 0, v2
	v_mov_b32_e32 v3, 0
	s_and_saveexec_b64 s[20:21], vcc
	s_cbranch_execz .LBB4_5558
; %bb.5553:                             ;   in Loop: Header=BB4_5454 Depth=2
	v_cmp_ne_u16_e32 vcc, s69, v2
	v_bfrev_b32_e32 v3, 1
	s_and_saveexec_b64 s[52:53], vcc
	s_cbranch_execz .LBB4_5557
; %bb.5554:                             ;   in Loop: Header=BB4_5454 Depth=2
	v_and_b32_e32 v1, 0x7f, v2
	v_cmp_ne_u32_e32 vcc, s68, v1
	v_mov_b32_e32 v3, 0x7f800001
	s_and_saveexec_b64 s[54:55], vcc
	s_cbranch_execz .LBB4_5556
; %bb.5555:                             ;   in Loop: Header=BB4_5454 Depth=2
	v_and_b32_e32 v15, 7, v2
	v_ffbh_u32_e32 v3, v15
	v_min_u32_e32 v19, 32, v3
	v_subrev_u32_e32 v3, 28, v19
	v_lshlrev_b64 v[2:3], v3, v[2:3]
	v_lshrrev_b32_e32 v18, 3, v1
	v_sub_u32_e32 v3, 29, v19
	v_and_b32_e32 v2, 7, v2
	v_cmp_gt_u32_e32 vcc, 8, v1
	v_cndmask_b32_e32 v1, v18, v3, vcc
	v_cndmask_b32_e32 v2, v15, v2, vcc
	v_lshlrev_b32_e32 v3, 16, v16
	v_lshlrev_b32_e32 v2, 20, v2
	v_and_b32_e32 v3, 0x80000000, v3
	v_lshl_add_u32 v1, v1, 23, v47
	v_or3_b32 v3, v3, v1, v2
.LBB4_5556:                             ;   in Loop: Header=BB4_5454 Depth=2
	s_or_b64 exec, exec, s[54:55]
.LBB4_5557:                             ;   in Loop: Header=BB4_5454 Depth=2
	s_or_b64 exec, exec, s[52:53]
.LBB4_5558:                             ;   in Loop: Header=BB4_5454 Depth=2
	s_or_b64 exec, exec, s[20:21]
	v_mul_f32_e32 v2, v5, v3
	v_and_b32_sdwa v15, v2, s69 dst_sel:DWORD dst_unused:UNUSED_PAD src0_sel:BYTE_3 src1_sel:DWORD
	v_and_b32_e32 v22, 0x7f800000, v2
	v_mov_b32_e32 v23, v17
	v_and_b32_e32 v16, 0x7fffff, v2
	v_or_b32_e32 v19, 0x7e, v15
	v_cmp_ne_u64_e32 vcc, s[38:39], v[22:23]
	s_and_saveexec_b64 s[20:21], vcc
	s_xor_b64 s[52:53], exec, s[20:21]
	s_cbranch_execz .LBB4_5568
; %bb.5559:                             ;   in Loop: Header=BB4_5454 Depth=2
	v_and_b32_e32 v22, 0x7fffffff, v2
	v_mov_b32_e32 v23, v17
	v_cmp_gt_u64_e32 vcc, s[40:41], v[22:23]
	s_and_saveexec_b64 s[54:55], vcc
	s_cbranch_execz .LBB4_5567
; %bb.5560:                             ;   in Loop: Header=BB4_5454 Depth=2
	v_cmp_ne_u32_e32 vcc, 0, v2
	v_mov_b32_e32 v19, 0
	s_and_saveexec_b64 s[56:57], vcc
	s_cbranch_execz .LBB4_5566
; %bb.5561:                             ;   in Loop: Header=BB4_5454 Depth=2
	v_bfe_u32 v1, v2, 23, 8
	v_sub_u32_e32 v3, 0x79, v1
	v_cmp_gt_u32_e32 vcc, s70, v1
	v_cndmask_b32_e32 v3, 0, v3, vcc
	v_cmp_eq_u32_e32 vcc, 0, v1
	v_add_u32_e32 v2, 0xffffff81, v1
	v_cndmask_b32_e32 v19, v3, v37, vcc
	v_or_b32_e32 v18, 0x800000, v16
	v_cndmask_b32_e32 v1, v2, v14, vcc
	v_add_u32_e32 v2, 20, v19
	v_cndmask_b32_e32 v16, v18, v16, vcc
	v_lshlrev_b64 v[2:3], v2, -1
	v_not_b32_e32 v2, v2
	v_lshrrev_b64 v[24:25], v19, v[16:17]
	v_not_b32_e32 v3, v3
	v_and_b32_e32 v2, v16, v2
	v_add_u32_e32 v18, 19, v19
	v_lshrrev_b32_e32 v16, 23, v24
	v_and_b32_e32 v3, 0, v3
	v_lshlrev_b64 v[22:23], v18, 1
	v_add3_u32 v19, v19, v1, v16
	v_bfe_u32 v1, v24, 20, 1
	v_add_u32_e32 v1, -1, v1
	v_cmp_eq_u64_e32 vcc, v[2:3], v[22:23]
	v_cndmask_b32_e32 v1, 0, v1, vcc
	v_add_u32_e32 v1, v1, v24
	v_and_b32_e32 v1, 0xfffff, v1
	v_add_co_u32_e32 v2, vcc, v1, v24
	v_add_u32_e32 v18, 6, v19
	v_addc_co_u32_e32 v3, vcc, 0, v25, vcc
	v_cmp_ne_u32_e32 vcc, 0, v18
                                        ; implicit-def: $vgpr16
	s_and_saveexec_b64 s[20:21], vcc
	s_xor_b64 s[20:21], exec, s[20:21]
; %bb.5562:                             ;   in Loop: Header=BB4_5454 Depth=2
	v_add_u32_e32 v1, 7, v19
	v_cmp_lt_u64_e32 vcc, s[44:45], v[2:3]
	v_cndmask_b32_e32 v16, v18, v1, vcc
	v_cndmask_b32_e64 v1, 0, 1, vcc
	v_lshrrev_b64 v[2:3], v1, v[2:3]
; %bb.5563:                             ;   in Loop: Header=BB4_5454 Depth=2
	s_andn2_saveexec_b64 s[20:21], s[20:21]
; %bb.5564:                             ;   in Loop: Header=BB4_5454 Depth=2
	v_bfe_u32 v16, v2, 23, 1
; %bb.5565:                             ;   in Loop: Header=BB4_5454 Depth=2
	s_or_b64 exec, exec, s[20:21]
	v_lshrrev_b64 v[2:3], 20, v[2:3]
	v_cmp_gt_i32_e32 vcc, 16, v16
	v_min_i32_e32 v1, 15, v16
	v_cndmask_b32_e32 v3, 0, v3, vcc
	v_cndmask_b32_e32 v2, 7, v2, vcc
	v_lshlrev_b32_e32 v1, 3, v1
	v_cmp_eq_u32_e32 vcc, 0, v16
	v_cmp_eq_u64_e64 s[20:21], 0, v[2:3]
	v_and_b32_e32 v1, 0xf8, v1
	v_and_or_b32 v1, v2, 7, v1
	s_and_b64 s[20:21], vcc, s[20:21]
	v_cndmask_b32_e64 v1, v1, 0, s[20:21]
	v_or_b32_e32 v19, v1, v15
.LBB4_5566:                             ;   in Loop: Header=BB4_5454 Depth=2
	s_or_b64 exec, exec, s[56:57]
.LBB4_5567:                             ;   in Loop: Header=BB4_5454 Depth=2
	s_or_b64 exec, exec, s[54:55]
                                        ; implicit-def: $vgpr2
.LBB4_5568:                             ;   in Loop: Header=BB4_5454 Depth=2
	s_andn2_saveexec_b64 s[20:21], s[52:53]
; %bb.5569:                             ;   in Loop: Header=BB4_5454 Depth=2
	v_or_b32_sdwa v1, v2, s68 dst_sel:DWORD dst_unused:UNUSED_PAD src0_sel:BYTE_3 src1_sel:DWORD
	v_cmp_eq_u64_e32 vcc, 0, v[16:17]
	v_cndmask_b32_e32 v19, v1, v19, vcc
; %bb.5570:                             ;   in Loop: Header=BB4_5454 Depth=2
	s_or_b64 exec, exec, s[20:21]
	v_lshrrev_b32_e32 v2, 16, v11
	v_cmp_ne_u16_sdwa vcc, v2, v17 src0_sel:BYTE_0 src1_sel:DWORD
	v_mov_b32_e32 v3, 0
	s_and_saveexec_b64 s[20:21], vcc
	s_cbranch_execz .LBB4_5576
; %bb.5571:                             ;   in Loop: Header=BB4_5454 Depth=2
	v_cmp_ne_u16_sdwa vcc, v2, s69 src0_sel:BYTE_0 src1_sel:DWORD
	v_bfrev_b32_e32 v3, 1
	s_and_saveexec_b64 s[52:53], vcc
	s_cbranch_execz .LBB4_5575
; %bb.5572:                             ;   in Loop: Header=BB4_5454 Depth=2
	v_bfe_u32 v1, v11, 16, 7
	v_cmp_ne_u32_e32 vcc, s68, v1
	v_mov_b32_e32 v3, 0x7f800001
	s_and_saveexec_b64 s[54:55], vcc
	s_cbranch_execz .LBB4_5574
; %bb.5573:                             ;   in Loop: Header=BB4_5454 Depth=2
	v_and_b32_e32 v3, 7, v2
	v_ffbh_u32_e32 v16, v3
	v_min_u32_e32 v16, 32, v16
	v_subrev_u32_e32 v18, 28, v16
	v_lshlrev_b64 v[22:23], v18, v[2:3]
	v_lshrrev_b32_e32 v15, 3, v1
	v_sub_u32_e32 v16, 29, v16
	v_and_b32_e32 v18, 7, v22
	v_cmp_gt_u32_e32 vcc, 8, v1
	v_cndmask_b32_e32 v1, v15, v16, vcc
	v_cndmask_b32_e32 v3, v3, v18, vcc
	v_lshlrev_b32_e32 v2, 24, v2
	v_lshlrev_b32_e32 v3, 20, v3
	v_and_b32_e32 v2, 0x80000000, v2
	v_lshl_add_u32 v1, v1, 23, v47
	v_or3_b32 v3, v2, v1, v3
.LBB4_5574:                             ;   in Loop: Header=BB4_5454 Depth=2
	s_or_b64 exec, exec, s[54:55]
.LBB4_5575:                             ;   in Loop: Header=BB4_5454 Depth=2
	s_or_b64 exec, exec, s[52:53]
.LBB4_5576:                             ;   in Loop: Header=BB4_5454 Depth=2
	s_or_b64 exec, exec, s[20:21]
	v_mul_f32_e32 v2, v5, v3
	v_and_b32_sdwa v15, v2, s69 dst_sel:DWORD dst_unused:UNUSED_PAD src0_sel:BYTE_3 src1_sel:DWORD
	v_and_b32_e32 v24, 0x7f800000, v2
	v_mov_b32_e32 v25, v17
	v_and_b32_e32 v16, 0x7fffff, v2
	v_or_b32_e32 v22, 0x7e, v15
	v_cmp_ne_u64_e32 vcc, s[38:39], v[24:25]
	s_and_saveexec_b64 s[20:21], vcc
	s_xor_b64 s[52:53], exec, s[20:21]
	s_cbranch_execz .LBB4_5586
; %bb.5577:                             ;   in Loop: Header=BB4_5454 Depth=2
	v_and_b32_e32 v24, 0x7fffffff, v2
	v_mov_b32_e32 v25, v17
	v_cmp_gt_u64_e32 vcc, s[40:41], v[24:25]
	s_and_saveexec_b64 s[54:55], vcc
	s_cbranch_execz .LBB4_5585
; %bb.5578:                             ;   in Loop: Header=BB4_5454 Depth=2
	v_cmp_ne_u32_e32 vcc, 0, v2
	v_mov_b32_e32 v22, 0
	s_and_saveexec_b64 s[56:57], vcc
	s_cbranch_execz .LBB4_5584
; %bb.5579:                             ;   in Loop: Header=BB4_5454 Depth=2
	v_bfe_u32 v1, v2, 23, 8
	v_sub_u32_e32 v3, 0x79, v1
	v_cmp_gt_u32_e32 vcc, s70, v1
	v_cndmask_b32_e32 v3, 0, v3, vcc
	v_cmp_eq_u32_e32 vcc, 0, v1
	v_add_u32_e32 v2, 0xffffff81, v1
	v_cndmask_b32_e32 v20, v3, v37, vcc
	v_or_b32_e32 v18, 0x800000, v16
	v_cndmask_b32_e32 v1, v2, v14, vcc
	v_add_u32_e32 v2, 20, v20
	v_cndmask_b32_e32 v16, v18, v16, vcc
	v_lshlrev_b64 v[2:3], v2, -1
	v_not_b32_e32 v2, v2
	v_lshrrev_b64 v[24:25], v20, v[16:17]
	v_not_b32_e32 v3, v3
	v_and_b32_e32 v2, v16, v2
	v_add_u32_e32 v18, 19, v20
	v_lshrrev_b32_e32 v16, 23, v24
	v_and_b32_e32 v3, 0, v3
	v_lshlrev_b64 v[22:23], v18, 1
	v_add3_u32 v20, v20, v1, v16
	v_bfe_u32 v1, v24, 20, 1
	v_add_u32_e32 v1, -1, v1
	v_cmp_eq_u64_e32 vcc, v[2:3], v[22:23]
	v_cndmask_b32_e32 v1, 0, v1, vcc
	v_add_u32_e32 v1, v1, v24
	v_and_b32_e32 v1, 0xfffff, v1
	v_add_co_u32_e32 v2, vcc, v1, v24
	v_add_u32_e32 v18, 6, v20
	v_addc_co_u32_e32 v3, vcc, 0, v25, vcc
	v_cmp_ne_u32_e32 vcc, 0, v18
                                        ; implicit-def: $vgpr16
	s_and_saveexec_b64 s[20:21], vcc
	s_xor_b64 s[20:21], exec, s[20:21]
; %bb.5580:                             ;   in Loop: Header=BB4_5454 Depth=2
	v_add_u32_e32 v1, 7, v20
	v_cmp_lt_u64_e32 vcc, s[44:45], v[2:3]
	v_cndmask_b32_e32 v16, v18, v1, vcc
	v_cndmask_b32_e64 v1, 0, 1, vcc
	v_lshrrev_b64 v[2:3], v1, v[2:3]
; %bb.5581:                             ;   in Loop: Header=BB4_5454 Depth=2
	s_andn2_saveexec_b64 s[20:21], s[20:21]
; %bb.5582:                             ;   in Loop: Header=BB4_5454 Depth=2
	v_bfe_u32 v16, v2, 23, 1
; %bb.5583:                             ;   in Loop: Header=BB4_5454 Depth=2
	s_or_b64 exec, exec, s[20:21]
	v_lshrrev_b64 v[2:3], 20, v[2:3]
	v_cmp_gt_i32_e32 vcc, 16, v16
	v_min_i32_e32 v1, 15, v16
	v_cndmask_b32_e32 v3, 0, v3, vcc
	v_cndmask_b32_e32 v2, 7, v2, vcc
	v_lshlrev_b32_e32 v1, 3, v1
	v_cmp_eq_u32_e32 vcc, 0, v16
	v_cmp_eq_u64_e64 s[20:21], 0, v[2:3]
	v_and_b32_e32 v1, 0xf8, v1
	v_and_or_b32 v1, v2, 7, v1
	s_and_b64 s[20:21], vcc, s[20:21]
	v_cndmask_b32_e64 v1, v1, 0, s[20:21]
	v_or_b32_e32 v22, v1, v15
.LBB4_5584:                             ;   in Loop: Header=BB4_5454 Depth=2
	s_or_b64 exec, exec, s[56:57]
.LBB4_5585:                             ;   in Loop: Header=BB4_5454 Depth=2
	s_or_b64 exec, exec, s[54:55]
                                        ; implicit-def: $vgpr2
.LBB4_5586:                             ;   in Loop: Header=BB4_5454 Depth=2
	s_andn2_saveexec_b64 s[20:21], s[52:53]
; %bb.5587:                             ;   in Loop: Header=BB4_5454 Depth=2
	v_or_b32_sdwa v1, v2, s68 dst_sel:DWORD dst_unused:UNUSED_PAD src0_sel:BYTE_3 src1_sel:DWORD
	v_cmp_eq_u64_e32 vcc, 0, v[16:17]
	v_cndmask_b32_e32 v22, v1, v22, vcc
; %bb.5588:                             ;   in Loop: Header=BB4_5454 Depth=2
	s_or_b64 exec, exec, s[20:21]
	v_cmp_lt_u64_e32 vcc, s[42:43], v[10:11]
	v_mov_b32_e32 v3, 0
	s_and_saveexec_b64 s[20:21], vcc
	s_cbranch_execz .LBB4_5594
; %bb.5589:                             ;   in Loop: Header=BB4_5454 Depth=2
	v_lshrrev_b32_e32 v2, 24, v11
	v_cmp_ne_u32_e32 vcc, s69, v2
	v_bfrev_b32_e32 v3, 1
	s_and_saveexec_b64 s[52:53], vcc
	s_cbranch_execz .LBB4_5593
; %bb.5590:                             ;   in Loop: Header=BB4_5454 Depth=2
	v_bfe_u32 v1, v11, 24, 7
	v_cmp_ne_u32_e32 vcc, s68, v1
	v_mov_b32_e32 v3, 0x7f800001
	s_and_saveexec_b64 s[54:55], vcc
	s_cbranch_execz .LBB4_5592
; %bb.5591:                             ;   in Loop: Header=BB4_5454 Depth=2
	v_and_b32_e32 v3, 7, v2
	v_ffbh_u32_e32 v10, v3
	v_min_u32_e32 v16, 32, v10
	v_subrev_u32_e32 v10, 28, v16
	v_lshlrev_b64 v[10:11], v10, v[2:3]
	v_lshrrev_b32_e32 v15, 3, v1
	v_sub_u32_e32 v11, 29, v16
	v_and_b32_e32 v10, 7, v10
	v_cmp_gt_u32_e32 vcc, 8, v1
	v_cndmask_b32_e32 v1, v15, v11, vcc
	v_cndmask_b32_e32 v3, v3, v10, vcc
	v_lshlrev_b32_e32 v2, 24, v2
	v_lshlrev_b32_e32 v3, 20, v3
	v_and_b32_e32 v2, 0x80000000, v2
	v_lshl_add_u32 v1, v1, 23, v47
	v_or3_b32 v3, v2, v1, v3
.LBB4_5592:                             ;   in Loop: Header=BB4_5454 Depth=2
	s_or_b64 exec, exec, s[54:55]
.LBB4_5593:                             ;   in Loop: Header=BB4_5454 Depth=2
	s_or_b64 exec, exec, s[52:53]
.LBB4_5594:                             ;   in Loop: Header=BB4_5454 Depth=2
	s_or_b64 exec, exec, s[20:21]
	v_mul_f32_e32 v2, v5, v3
	v_and_b32_sdwa v10, v2, s69 dst_sel:DWORD dst_unused:UNUSED_PAD src0_sel:BYTE_3 src1_sel:DWORD
	v_and_b32_e32 v24, 0x7f800000, v2
	v_mov_b32_e32 v25, v17
	v_and_b32_e32 v16, 0x7fffff, v2
	v_or_b32_e32 v23, 0x7e, v10
	v_cmp_ne_u64_e32 vcc, s[38:39], v[24:25]
	s_and_saveexec_b64 s[20:21], vcc
	s_xor_b64 s[52:53], exec, s[20:21]
	s_cbranch_execz .LBB4_5604
; %bb.5595:                             ;   in Loop: Header=BB4_5454 Depth=2
	v_and_b32_e32 v24, 0x7fffffff, v2
	v_mov_b32_e32 v25, v17
	v_cmp_gt_u64_e32 vcc, s[40:41], v[24:25]
	s_and_saveexec_b64 s[54:55], vcc
	s_cbranch_execz .LBB4_5603
; %bb.5596:                             ;   in Loop: Header=BB4_5454 Depth=2
	v_cmp_ne_u32_e32 vcc, 0, v2
	v_mov_b32_e32 v23, 0
	s_and_saveexec_b64 s[56:57], vcc
	s_cbranch_execz .LBB4_5602
; %bb.5597:                             ;   in Loop: Header=BB4_5454 Depth=2
	v_bfe_u32 v1, v2, 23, 8
	v_sub_u32_e32 v3, 0x79, v1
	v_cmp_gt_u32_e32 vcc, s70, v1
	v_cndmask_b32_e32 v3, 0, v3, vcc
	v_cmp_eq_u32_e32 vcc, 0, v1
	v_add_u32_e32 v2, 0xffffff81, v1
	v_or_b32_e32 v11, 0x800000, v16
	v_cndmask_b32_e32 v15, v3, v37, vcc
	v_cndmask_b32_e32 v1, v2, v14, vcc
	;; [unrolled: 1-line block ×3, first 2 shown]
	v_add_u32_e32 v2, 20, v15
	v_lshlrev_b64 v[2:3], v2, -1
	v_add_u32_e32 v11, 19, v15
	v_lshrrev_b64 v[26:27], v15, v[16:17]
	v_not_b32_e32 v3, v3
	v_not_b32_e32 v2, v2
	v_lshlrev_b64 v[24:25], v11, 1
	v_lshrrev_b32_e32 v11, 23, v26
	v_and_b32_e32 v3, 0, v3
	v_and_b32_e32 v2, v16, v2
	v_add3_u32 v16, v15, v1, v11
	v_bfe_u32 v1, v26, 20, 1
	v_add_u32_e32 v1, -1, v1
	v_cmp_eq_u64_e32 vcc, v[2:3], v[24:25]
	v_cndmask_b32_e32 v1, 0, v1, vcc
	v_add_u32_e32 v1, v1, v26
	v_and_b32_e32 v1, 0xfffff, v1
	v_add_co_u32_e32 v2, vcc, v1, v26
	v_add_u32_e32 v15, 6, v16
	v_addc_co_u32_e32 v3, vcc, 0, v27, vcc
	v_cmp_ne_u32_e32 vcc, 0, v15
                                        ; implicit-def: $vgpr11
	s_and_saveexec_b64 s[20:21], vcc
	s_xor_b64 s[20:21], exec, s[20:21]
; %bb.5598:                             ;   in Loop: Header=BB4_5454 Depth=2
	v_add_u32_e32 v1, 7, v16
	v_cmp_lt_u64_e32 vcc, s[44:45], v[2:3]
	v_cndmask_b32_e32 v11, v15, v1, vcc
	v_cndmask_b32_e64 v1, 0, 1, vcc
	v_lshrrev_b64 v[2:3], v1, v[2:3]
; %bb.5599:                             ;   in Loop: Header=BB4_5454 Depth=2
	s_andn2_saveexec_b64 s[20:21], s[20:21]
; %bb.5600:                             ;   in Loop: Header=BB4_5454 Depth=2
	v_bfe_u32 v11, v2, 23, 1
; %bb.5601:                             ;   in Loop: Header=BB4_5454 Depth=2
	s_or_b64 exec, exec, s[20:21]
	v_lshrrev_b64 v[2:3], 20, v[2:3]
	v_cmp_gt_i32_e32 vcc, 16, v11
	v_min_i32_e32 v1, 15, v11
	v_cndmask_b32_e32 v3, 0, v3, vcc
	v_cndmask_b32_e32 v2, 7, v2, vcc
	v_lshlrev_b32_e32 v1, 3, v1
	v_cmp_eq_u32_e32 vcc, 0, v11
	v_cmp_eq_u64_e64 s[20:21], 0, v[2:3]
	v_and_b32_e32 v1, 0xf8, v1
	v_and_or_b32 v1, v2, 7, v1
	s_and_b64 s[20:21], vcc, s[20:21]
	v_cndmask_b32_e64 v1, v1, 0, s[20:21]
	v_or_b32_e32 v23, v1, v10
.LBB4_5602:                             ;   in Loop: Header=BB4_5454 Depth=2
	s_or_b64 exec, exec, s[56:57]
.LBB4_5603:                             ;   in Loop: Header=BB4_5454 Depth=2
	s_or_b64 exec, exec, s[54:55]
                                        ; implicit-def: $vgpr2
.LBB4_5604:                             ;   in Loop: Header=BB4_5454 Depth=2
	s_andn2_saveexec_b64 s[20:21], s[52:53]
; %bb.5605:                             ;   in Loop: Header=BB4_5454 Depth=2
	v_or_b32_sdwa v1, v2, s68 dst_sel:DWORD dst_unused:UNUSED_PAD src0_sel:BYTE_3 src1_sel:DWORD
	v_cmp_eq_u64_e32 vcc, 0, v[16:17]
	v_cndmask_b32_e32 v23, v1, v23, vcc
; %bb.5606:                             ;   in Loop: Header=BB4_5454 Depth=2
	s_or_b64 exec, exec, s[20:21]
	v_cmp_ne_u16_sdwa vcc, v12, v17 src0_sel:BYTE_0 src1_sel:DWORD
	v_mov_b32_e32 v2, 0
	s_and_saveexec_b64 s[20:21], vcc
	s_cbranch_execz .LBB4_5612
; %bb.5607:                             ;   in Loop: Header=BB4_5454 Depth=2
	v_cmp_ne_u16_sdwa vcc, v12, s69 src0_sel:BYTE_0 src1_sel:DWORD
	v_bfrev_b32_e32 v2, 1
	s_and_saveexec_b64 s[52:53], vcc
	s_cbranch_execz .LBB4_5611
; %bb.5608:                             ;   in Loop: Header=BB4_5454 Depth=2
	v_and_b32_e32 v1, 0x7f, v12
	v_cmp_ne_u32_e32 vcc, s68, v1
	v_mov_b32_e32 v2, 0x7f800001
	s_and_saveexec_b64 s[54:55], vcc
	s_cbranch_execz .LBB4_5610
; %bb.5609:                             ;   in Loop: Header=BB4_5454 Depth=2
	v_and_b32_e32 v2, 7, v12
	v_ffbh_u32_e32 v2, v2
	v_min_u32_e32 v2, 32, v2
	v_lshrrev_b32_e32 v3, 3, v1
	v_subrev_u32_e32 v10, 28, v2
	v_sub_u32_e32 v2, 29, v2
	v_cmp_gt_u32_e32 vcc, 8, v1
	v_cndmask_b32_e32 v1, v3, v2, vcc
	v_cndmask_b32_e32 v2, 0, v10, vcc
	v_lshlrev_b64 v[2:3], v2, v[12:13]
	v_lshlrev_b32_e32 v2, 20, v2
	v_lshlrev_b32_e32 v3, 24, v12
	v_and_b32_e32 v2, 0x700000, v2
	v_and_b32_e32 v3, 0x80000000, v3
	v_lshl_add_u32 v1, v1, 23, v47
	v_or3_b32 v2, v3, v1, v2
.LBB4_5610:                             ;   in Loop: Header=BB4_5454 Depth=2
	s_or_b64 exec, exec, s[54:55]
.LBB4_5611:                             ;   in Loop: Header=BB4_5454 Depth=2
	s_or_b64 exec, exec, s[52:53]
.LBB4_5612:                             ;   in Loop: Header=BB4_5454 Depth=2
	s_or_b64 exec, exec, s[20:21]
	v_mul_f32_e32 v2, v5, v2
	v_and_b32_sdwa v10, v2, s69 dst_sel:DWORD dst_unused:UNUSED_PAD src0_sel:BYTE_3 src1_sel:DWORD
	v_and_b32_e32 v26, 0x7f800000, v2
	v_mov_b32_e32 v27, v17
	v_and_b32_e32 v16, 0x7fffff, v2
	v_or_b32_e32 v24, 0x7e, v10
	v_cmp_ne_u64_e32 vcc, s[38:39], v[26:27]
	s_and_saveexec_b64 s[20:21], vcc
	s_xor_b64 s[52:53], exec, s[20:21]
	s_cbranch_execz .LBB4_5622
; %bb.5613:                             ;   in Loop: Header=BB4_5454 Depth=2
	v_and_b32_e32 v26, 0x7fffffff, v2
	v_mov_b32_e32 v27, v17
	v_cmp_gt_u64_e32 vcc, s[40:41], v[26:27]
	s_and_saveexec_b64 s[54:55], vcc
	s_cbranch_execz .LBB4_5621
; %bb.5614:                             ;   in Loop: Header=BB4_5454 Depth=2
	v_cmp_ne_u32_e32 vcc, 0, v2
	v_mov_b32_e32 v24, 0
	s_and_saveexec_b64 s[56:57], vcc
	s_cbranch_execz .LBB4_5620
; %bb.5615:                             ;   in Loop: Header=BB4_5454 Depth=2
	v_bfe_u32 v1, v2, 23, 8
	v_sub_u32_e32 v3, 0x79, v1
	v_cmp_gt_u32_e32 vcc, s70, v1
	v_cndmask_b32_e32 v3, 0, v3, vcc
	v_cmp_eq_u32_e32 vcc, 0, v1
	v_add_u32_e32 v2, 0xffffff81, v1
	v_or_b32_e32 v11, 0x800000, v16
	v_cndmask_b32_e32 v15, v3, v37, vcc
	v_cndmask_b32_e32 v1, v2, v14, vcc
	;; [unrolled: 1-line block ×3, first 2 shown]
	v_add_u32_e32 v2, 20, v15
	v_lshlrev_b64 v[2:3], v2, -1
	v_add_u32_e32 v11, 19, v15
	v_lshrrev_b64 v[26:27], v15, v[16:17]
	v_not_b32_e32 v3, v3
	v_not_b32_e32 v2, v2
	v_lshlrev_b64 v[24:25], v11, 1
	v_lshrrev_b32_e32 v11, 23, v26
	v_and_b32_e32 v3, 0, v3
	v_and_b32_e32 v2, v16, v2
	v_add3_u32 v16, v15, v1, v11
	v_bfe_u32 v1, v26, 20, 1
	v_add_u32_e32 v1, -1, v1
	v_cmp_eq_u64_e32 vcc, v[2:3], v[24:25]
	v_cndmask_b32_e32 v1, 0, v1, vcc
	v_add_u32_e32 v1, v1, v26
	v_and_b32_e32 v1, 0xfffff, v1
	v_add_co_u32_e32 v2, vcc, v1, v26
	v_add_u32_e32 v15, 6, v16
	v_addc_co_u32_e32 v3, vcc, 0, v27, vcc
	v_cmp_ne_u32_e32 vcc, 0, v15
                                        ; implicit-def: $vgpr11
	s_and_saveexec_b64 s[20:21], vcc
	s_xor_b64 s[20:21], exec, s[20:21]
; %bb.5616:                             ;   in Loop: Header=BB4_5454 Depth=2
	v_add_u32_e32 v1, 7, v16
	v_cmp_lt_u64_e32 vcc, s[44:45], v[2:3]
	v_cndmask_b32_e32 v11, v15, v1, vcc
	v_cndmask_b32_e64 v1, 0, 1, vcc
	v_lshrrev_b64 v[2:3], v1, v[2:3]
; %bb.5617:                             ;   in Loop: Header=BB4_5454 Depth=2
	s_andn2_saveexec_b64 s[20:21], s[20:21]
; %bb.5618:                             ;   in Loop: Header=BB4_5454 Depth=2
	v_bfe_u32 v11, v2, 23, 1
; %bb.5619:                             ;   in Loop: Header=BB4_5454 Depth=2
	s_or_b64 exec, exec, s[20:21]
	v_lshrrev_b64 v[2:3], 20, v[2:3]
	v_cmp_gt_i32_e32 vcc, 16, v11
	v_cndmask_b32_e32 v3, 0, v3, vcc
	v_cndmask_b32_e32 v2, 7, v2, vcc
	v_min_i32_e32 v1, 15, v11
	v_cmp_eq_u32_e32 vcc, 0, v11
	v_cmp_eq_u64_e64 s[20:21], 0, v[2:3]
	v_lshlrev_b32_e32 v1, 3, v1
	v_and_or_b32 v1, v2, 7, v1
	s_and_b64 s[20:21], vcc, s[20:21]
	v_cndmask_b32_e64 v1, v1, 0, s[20:21]
	v_or_b32_e32 v24, v1, v10
.LBB4_5620:                             ;   in Loop: Header=BB4_5454 Depth=2
	s_or_b64 exec, exec, s[56:57]
.LBB4_5621:                             ;   in Loop: Header=BB4_5454 Depth=2
	s_or_b64 exec, exec, s[54:55]
                                        ; implicit-def: $vgpr2
.LBB4_5622:                             ;   in Loop: Header=BB4_5454 Depth=2
	s_andn2_saveexec_b64 s[20:21], s[52:53]
; %bb.5623:                             ;   in Loop: Header=BB4_5454 Depth=2
	v_or_b32_sdwa v1, v2, s68 dst_sel:DWORD dst_unused:UNUSED_PAD src0_sel:BYTE_3 src1_sel:DWORD
	v_cmp_eq_u64_e32 vcc, 0, v[16:17]
	v_cndmask_b32_e32 v24, v1, v24, vcc
; %bb.5624:                             ;   in Loop: Header=BB4_5454 Depth=2
	s_or_b64 exec, exec, s[20:21]
	v_lshrrev_b16_e32 v2, 8, v12
	v_cmp_ne_u16_e32 vcc, 0, v2
	v_mov_b32_e32 v3, 0
	s_and_saveexec_b64 s[20:21], vcc
	s_cbranch_execz .LBB4_5630
; %bb.5625:                             ;   in Loop: Header=BB4_5454 Depth=2
	v_cmp_ne_u16_e32 vcc, s69, v2
	v_bfrev_b32_e32 v3, 1
	s_and_saveexec_b64 s[52:53], vcc
	s_cbranch_execz .LBB4_5629
; %bb.5626:                             ;   in Loop: Header=BB4_5454 Depth=2
	v_and_b32_e32 v1, 0x7f, v2
	v_cmp_ne_u32_e32 vcc, s68, v1
	v_mov_b32_e32 v3, 0x7f800001
	s_and_saveexec_b64 s[54:55], vcc
	s_cbranch_execz .LBB4_5628
; %bb.5627:                             ;   in Loop: Header=BB4_5454 Depth=2
	v_and_b32_e32 v10, 7, v2
	v_ffbh_u32_e32 v3, v10
	v_min_u32_e32 v15, 32, v3
	v_subrev_u32_e32 v3, 28, v15
	v_lshlrev_b64 v[2:3], v3, v[2:3]
	v_lshrrev_b32_e32 v11, 3, v1
	v_sub_u32_e32 v3, 29, v15
	v_and_b32_e32 v2, 7, v2
	v_cmp_gt_u32_e32 vcc, 8, v1
	v_cndmask_b32_e32 v1, v11, v3, vcc
	v_cndmask_b32_e32 v2, v10, v2, vcc
	v_lshlrev_b32_e32 v3, 16, v12
	v_lshlrev_b32_e32 v2, 20, v2
	v_and_b32_e32 v3, 0x80000000, v3
	v_lshl_add_u32 v1, v1, 23, v47
	v_or3_b32 v3, v3, v1, v2
.LBB4_5628:                             ;   in Loop: Header=BB4_5454 Depth=2
	s_or_b64 exec, exec, s[54:55]
.LBB4_5629:                             ;   in Loop: Header=BB4_5454 Depth=2
	s_or_b64 exec, exec, s[52:53]
.LBB4_5630:                             ;   in Loop: Header=BB4_5454 Depth=2
	s_or_b64 exec, exec, s[20:21]
	v_mul_f32_e32 v2, v5, v3
	v_and_b32_sdwa v10, v2, s69 dst_sel:DWORD dst_unused:UNUSED_PAD src0_sel:BYTE_3 src1_sel:DWORD
	v_and_b32_e32 v26, 0x7f800000, v2
	v_mov_b32_e32 v27, v17
	v_and_b32_e32 v16, 0x7fffff, v2
	v_or_b32_e32 v25, 0x7e, v10
	v_cmp_ne_u64_e32 vcc, s[38:39], v[26:27]
	s_and_saveexec_b64 s[20:21], vcc
	s_xor_b64 s[52:53], exec, s[20:21]
	s_cbranch_execz .LBB4_5640
; %bb.5631:                             ;   in Loop: Header=BB4_5454 Depth=2
	v_and_b32_e32 v26, 0x7fffffff, v2
	v_mov_b32_e32 v27, v17
	v_cmp_gt_u64_e32 vcc, s[40:41], v[26:27]
	s_and_saveexec_b64 s[54:55], vcc
	s_cbranch_execz .LBB4_5639
; %bb.5632:                             ;   in Loop: Header=BB4_5454 Depth=2
	v_cmp_ne_u32_e32 vcc, 0, v2
	v_mov_b32_e32 v25, 0
	s_and_saveexec_b64 s[56:57], vcc
	s_cbranch_execz .LBB4_5638
; %bb.5633:                             ;   in Loop: Header=BB4_5454 Depth=2
	v_bfe_u32 v1, v2, 23, 8
	v_sub_u32_e32 v3, 0x79, v1
	v_cmp_gt_u32_e32 vcc, s70, v1
	v_cndmask_b32_e32 v3, 0, v3, vcc
	v_cmp_eq_u32_e32 vcc, 0, v1
	v_add_u32_e32 v2, 0xffffff81, v1
	v_or_b32_e32 v11, 0x800000, v16
	v_cndmask_b32_e32 v15, v3, v37, vcc
	v_cndmask_b32_e32 v1, v2, v14, vcc
	;; [unrolled: 1-line block ×3, first 2 shown]
	v_add_u32_e32 v2, 20, v15
	v_lshlrev_b64 v[2:3], v2, -1
	v_add_u32_e32 v11, 19, v15
	v_lshrrev_b64 v[32:33], v15, v[16:17]
	v_not_b32_e32 v3, v3
	v_not_b32_e32 v2, v2
	v_lshlrev_b64 v[26:27], v11, 1
	v_lshrrev_b32_e32 v11, 23, v32
	v_and_b32_e32 v3, 0, v3
	v_and_b32_e32 v2, v16, v2
	v_add3_u32 v16, v15, v1, v11
	v_bfe_u32 v1, v32, 20, 1
	v_add_u32_e32 v1, -1, v1
	v_cmp_eq_u64_e32 vcc, v[2:3], v[26:27]
	v_cndmask_b32_e32 v1, 0, v1, vcc
	v_add_u32_e32 v1, v1, v32
	v_and_b32_e32 v1, 0xfffff, v1
	v_add_co_u32_e32 v2, vcc, v1, v32
	v_add_u32_e32 v15, 6, v16
	v_addc_co_u32_e32 v3, vcc, 0, v33, vcc
	v_cmp_ne_u32_e32 vcc, 0, v15
                                        ; implicit-def: $vgpr11
	s_and_saveexec_b64 s[20:21], vcc
	s_xor_b64 s[20:21], exec, s[20:21]
; %bb.5634:                             ;   in Loop: Header=BB4_5454 Depth=2
	v_add_u32_e32 v1, 7, v16
	v_cmp_lt_u64_e32 vcc, s[44:45], v[2:3]
	v_cndmask_b32_e32 v11, v15, v1, vcc
	v_cndmask_b32_e64 v1, 0, 1, vcc
	v_lshrrev_b64 v[2:3], v1, v[2:3]
; %bb.5635:                             ;   in Loop: Header=BB4_5454 Depth=2
	s_andn2_saveexec_b64 s[20:21], s[20:21]
; %bb.5636:                             ;   in Loop: Header=BB4_5454 Depth=2
	v_bfe_u32 v11, v2, 23, 1
; %bb.5637:                             ;   in Loop: Header=BB4_5454 Depth=2
	s_or_b64 exec, exec, s[20:21]
	v_lshrrev_b64 v[2:3], 20, v[2:3]
	v_cmp_gt_i32_e32 vcc, 16, v11
	v_cndmask_b32_e32 v3, 0, v3, vcc
	v_cndmask_b32_e32 v2, 7, v2, vcc
	v_min_i32_e32 v1, 15, v11
	v_cmp_eq_u32_e32 vcc, 0, v11
	v_cmp_eq_u64_e64 s[20:21], 0, v[2:3]
	v_lshlrev_b32_e32 v1, 3, v1
	v_and_or_b32 v1, v2, 7, v1
	s_and_b64 s[20:21], vcc, s[20:21]
	v_cndmask_b32_e64 v1, v1, 0, s[20:21]
	v_or_b32_e32 v25, v1, v10
.LBB4_5638:                             ;   in Loop: Header=BB4_5454 Depth=2
	s_or_b64 exec, exec, s[56:57]
.LBB4_5639:                             ;   in Loop: Header=BB4_5454 Depth=2
	s_or_b64 exec, exec, s[54:55]
                                        ; implicit-def: $vgpr2
.LBB4_5640:                             ;   in Loop: Header=BB4_5454 Depth=2
	s_andn2_saveexec_b64 s[20:21], s[52:53]
; %bb.5641:                             ;   in Loop: Header=BB4_5454 Depth=2
	v_or_b32_sdwa v1, v2, s68 dst_sel:DWORD dst_unused:UNUSED_PAD src0_sel:BYTE_3 src1_sel:DWORD
	v_cmp_eq_u64_e32 vcc, 0, v[16:17]
	v_cndmask_b32_e32 v25, v1, v25, vcc
; %bb.5642:                             ;   in Loop: Header=BB4_5454 Depth=2
	s_or_b64 exec, exec, s[20:21]
	v_lshrrev_b32_e32 v2, 16, v12
	v_cmp_ne_u16_sdwa vcc, v2, v17 src0_sel:BYTE_0 src1_sel:DWORD
	v_mov_b32_e32 v3, 0
	s_and_saveexec_b64 s[20:21], vcc
	s_cbranch_execz .LBB4_5648
; %bb.5643:                             ;   in Loop: Header=BB4_5454 Depth=2
	v_cmp_ne_u16_sdwa vcc, v2, s69 src0_sel:BYTE_0 src1_sel:DWORD
	v_bfrev_b32_e32 v3, 1
	s_and_saveexec_b64 s[52:53], vcc
	s_cbranch_execz .LBB4_5647
; %bb.5644:                             ;   in Loop: Header=BB4_5454 Depth=2
	v_bfe_u32 v1, v12, 16, 7
	v_cmp_ne_u32_e32 vcc, s68, v1
	v_mov_b32_e32 v3, 0x7f800001
	s_and_saveexec_b64 s[54:55], vcc
	s_cbranch_execz .LBB4_5646
; %bb.5645:                             ;   in Loop: Header=BB4_5454 Depth=2
	v_and_b32_e32 v3, 7, v2
	v_ffbh_u32_e32 v10, v3
	v_min_u32_e32 v16, 32, v10
	v_subrev_u32_e32 v10, 28, v16
	v_lshlrev_b64 v[10:11], v10, v[2:3]
	v_lshrrev_b32_e32 v15, 3, v1
	v_sub_u32_e32 v11, 29, v16
	v_and_b32_e32 v10, 7, v10
	v_cmp_gt_u32_e32 vcc, 8, v1
	v_cndmask_b32_e32 v1, v15, v11, vcc
	v_cndmask_b32_e32 v3, v3, v10, vcc
	v_lshlrev_b32_e32 v2, 24, v2
	v_lshlrev_b32_e32 v3, 20, v3
	v_and_b32_e32 v2, 0x80000000, v2
	v_lshl_add_u32 v1, v1, 23, v47
	v_or3_b32 v3, v2, v1, v3
.LBB4_5646:                             ;   in Loop: Header=BB4_5454 Depth=2
	s_or_b64 exec, exec, s[54:55]
.LBB4_5647:                             ;   in Loop: Header=BB4_5454 Depth=2
	s_or_b64 exec, exec, s[52:53]
.LBB4_5648:                             ;   in Loop: Header=BB4_5454 Depth=2
	s_or_b64 exec, exec, s[20:21]
	v_mul_f32_e32 v2, v5, v3
	v_and_b32_sdwa v10, v2, s69 dst_sel:DWORD dst_unused:UNUSED_PAD src0_sel:BYTE_3 src1_sel:DWORD
	v_and_b32_e32 v32, 0x7f800000, v2
	v_mov_b32_e32 v33, v17
	v_and_b32_e32 v16, 0x7fffff, v2
	v_or_b32_e32 v26, 0x7e, v10
	v_cmp_ne_u64_e32 vcc, s[38:39], v[32:33]
	s_and_saveexec_b64 s[20:21], vcc
	s_xor_b64 s[52:53], exec, s[20:21]
	s_cbranch_execz .LBB4_5658
; %bb.5649:                             ;   in Loop: Header=BB4_5454 Depth=2
	v_and_b32_e32 v32, 0x7fffffff, v2
	v_mov_b32_e32 v33, v17
	v_cmp_gt_u64_e32 vcc, s[40:41], v[32:33]
	s_and_saveexec_b64 s[54:55], vcc
	s_cbranch_execz .LBB4_5657
; %bb.5650:                             ;   in Loop: Header=BB4_5454 Depth=2
	v_cmp_ne_u32_e32 vcc, 0, v2
	v_mov_b32_e32 v26, 0
	s_and_saveexec_b64 s[56:57], vcc
	s_cbranch_execz .LBB4_5656
; %bb.5651:                             ;   in Loop: Header=BB4_5454 Depth=2
	v_bfe_u32 v1, v2, 23, 8
	v_sub_u32_e32 v3, 0x79, v1
	v_cmp_gt_u32_e32 vcc, s70, v1
	v_cndmask_b32_e32 v3, 0, v3, vcc
	v_cmp_eq_u32_e32 vcc, 0, v1
	v_add_u32_e32 v2, 0xffffff81, v1
	v_or_b32_e32 v11, 0x800000, v16
	v_cndmask_b32_e32 v15, v3, v37, vcc
	v_cndmask_b32_e32 v1, v2, v14, vcc
	;; [unrolled: 1-line block ×3, first 2 shown]
	v_add_u32_e32 v2, 20, v15
	v_lshlrev_b64 v[2:3], v2, -1
	v_add_u32_e32 v11, 19, v15
	v_lshrrev_b64 v[32:33], v15, v[16:17]
	v_not_b32_e32 v3, v3
	v_not_b32_e32 v2, v2
	v_lshlrev_b64 v[26:27], v11, 1
	v_lshrrev_b32_e32 v11, 23, v32
	v_and_b32_e32 v3, 0, v3
	v_and_b32_e32 v2, v16, v2
	v_add3_u32 v16, v15, v1, v11
	v_bfe_u32 v1, v32, 20, 1
	v_add_u32_e32 v1, -1, v1
	v_cmp_eq_u64_e32 vcc, v[2:3], v[26:27]
	v_cndmask_b32_e32 v1, 0, v1, vcc
	v_add_u32_e32 v1, v1, v32
	v_and_b32_e32 v1, 0xfffff, v1
	v_add_co_u32_e32 v2, vcc, v1, v32
	v_add_u32_e32 v15, 6, v16
	v_addc_co_u32_e32 v3, vcc, 0, v33, vcc
	v_cmp_ne_u32_e32 vcc, 0, v15
                                        ; implicit-def: $vgpr11
	s_and_saveexec_b64 s[20:21], vcc
	s_xor_b64 s[20:21], exec, s[20:21]
; %bb.5652:                             ;   in Loop: Header=BB4_5454 Depth=2
	v_add_u32_e32 v1, 7, v16
	v_cmp_lt_u64_e32 vcc, s[44:45], v[2:3]
	v_cndmask_b32_e32 v11, v15, v1, vcc
	v_cndmask_b32_e64 v1, 0, 1, vcc
	v_lshrrev_b64 v[2:3], v1, v[2:3]
; %bb.5653:                             ;   in Loop: Header=BB4_5454 Depth=2
	s_andn2_saveexec_b64 s[20:21], s[20:21]
; %bb.5654:                             ;   in Loop: Header=BB4_5454 Depth=2
	v_bfe_u32 v11, v2, 23, 1
; %bb.5655:                             ;   in Loop: Header=BB4_5454 Depth=2
	s_or_b64 exec, exec, s[20:21]
	v_lshrrev_b64 v[2:3], 20, v[2:3]
	v_cmp_gt_i32_e32 vcc, 16, v11
	v_cndmask_b32_e32 v3, 0, v3, vcc
	v_cndmask_b32_e32 v2, 7, v2, vcc
	v_min_i32_e32 v1, 15, v11
	v_cmp_eq_u32_e32 vcc, 0, v11
	v_cmp_eq_u64_e64 s[20:21], 0, v[2:3]
	v_lshlrev_b32_e32 v1, 3, v1
	v_and_or_b32 v1, v2, 7, v1
	s_and_b64 s[20:21], vcc, s[20:21]
	v_cndmask_b32_e64 v1, v1, 0, s[20:21]
	v_or_b32_e32 v26, v1, v10
.LBB4_5656:                             ;   in Loop: Header=BB4_5454 Depth=2
	s_or_b64 exec, exec, s[56:57]
.LBB4_5657:                             ;   in Loop: Header=BB4_5454 Depth=2
	s_or_b64 exec, exec, s[54:55]
                                        ; implicit-def: $vgpr2
.LBB4_5658:                             ;   in Loop: Header=BB4_5454 Depth=2
	s_andn2_saveexec_b64 s[20:21], s[52:53]
; %bb.5659:                             ;   in Loop: Header=BB4_5454 Depth=2
	v_or_b32_sdwa v1, v2, s68 dst_sel:DWORD dst_unused:UNUSED_PAD src0_sel:BYTE_3 src1_sel:DWORD
	v_cmp_eq_u64_e32 vcc, 0, v[16:17]
	v_cndmask_b32_e32 v26, v1, v26, vcc
; %bb.5660:                             ;   in Loop: Header=BB4_5454 Depth=2
	s_or_b64 exec, exec, s[20:21]
	v_cmp_lt_u32_e32 vcc, s43, v12
	v_mov_b32_e32 v3, 0
	s_and_saveexec_b64 s[20:21], vcc
	s_cbranch_execz .LBB4_5666
; %bb.5661:                             ;   in Loop: Header=BB4_5454 Depth=2
	v_lshrrev_b32_e32 v2, 24, v12
	v_cmp_ne_u32_e32 vcc, s69, v2
	v_bfrev_b32_e32 v3, 1
	s_and_saveexec_b64 s[52:53], vcc
	s_cbranch_execz .LBB4_5665
; %bb.5662:                             ;   in Loop: Header=BB4_5454 Depth=2
	v_bfe_u32 v1, v12, 24, 7
	v_cmp_ne_u32_e32 vcc, s68, v1
	v_mov_b32_e32 v3, 0x7f800001
	s_and_saveexec_b64 s[54:55], vcc
	s_cbranch_execz .LBB4_5664
; %bb.5663:                             ;   in Loop: Header=BB4_5454 Depth=2
	v_and_b32_e32 v3, 7, v2
	v_ffbh_u32_e32 v10, v3
	v_min_u32_e32 v16, 32, v10
	v_subrev_u32_e32 v10, 28, v16
	v_lshlrev_b64 v[10:11], v10, v[2:3]
	v_lshrrev_b32_e32 v15, 3, v1
	v_sub_u32_e32 v11, 29, v16
	v_and_b32_e32 v10, 7, v10
	v_cmp_gt_u32_e32 vcc, 8, v1
	v_cndmask_b32_e32 v1, v15, v11, vcc
	v_cndmask_b32_e32 v3, v3, v10, vcc
	v_lshlrev_b32_e32 v2, 24, v2
	v_lshlrev_b32_e32 v3, 20, v3
	v_and_b32_e32 v2, 0x80000000, v2
	v_lshl_add_u32 v1, v1, 23, v47
	v_or3_b32 v3, v2, v1, v3
.LBB4_5664:                             ;   in Loop: Header=BB4_5454 Depth=2
	s_or_b64 exec, exec, s[54:55]
.LBB4_5665:                             ;   in Loop: Header=BB4_5454 Depth=2
	s_or_b64 exec, exec, s[52:53]
.LBB4_5666:                             ;   in Loop: Header=BB4_5454 Depth=2
	s_or_b64 exec, exec, s[20:21]
	v_mul_f32_e32 v2, v5, v3
	v_and_b32_sdwa v10, v2, s69 dst_sel:DWORD dst_unused:UNUSED_PAD src0_sel:BYTE_3 src1_sel:DWORD
	v_and_b32_e32 v32, 0x7f800000, v2
	v_mov_b32_e32 v33, v17
	v_and_b32_e32 v16, 0x7fffff, v2
	v_or_b32_e32 v27, 0x7e, v10
	v_cmp_ne_u64_e32 vcc, s[38:39], v[32:33]
	s_and_saveexec_b64 s[20:21], vcc
	s_xor_b64 s[52:53], exec, s[20:21]
	s_cbranch_execz .LBB4_5676
; %bb.5667:                             ;   in Loop: Header=BB4_5454 Depth=2
	v_and_b32_e32 v32, 0x7fffffff, v2
	v_mov_b32_e32 v33, v17
	v_cmp_gt_u64_e32 vcc, s[40:41], v[32:33]
	s_and_saveexec_b64 s[54:55], vcc
	s_cbranch_execz .LBB4_5675
; %bb.5668:                             ;   in Loop: Header=BB4_5454 Depth=2
	v_cmp_ne_u32_e32 vcc, 0, v2
	v_mov_b32_e32 v27, 0
	s_and_saveexec_b64 s[56:57], vcc
	s_cbranch_execz .LBB4_5674
; %bb.5669:                             ;   in Loop: Header=BB4_5454 Depth=2
	v_bfe_u32 v1, v2, 23, 8
	v_sub_u32_e32 v3, 0x79, v1
	v_cmp_gt_u32_e32 vcc, s70, v1
	v_cndmask_b32_e32 v3, 0, v3, vcc
	v_cmp_eq_u32_e32 vcc, 0, v1
	v_add_u32_e32 v2, 0xffffff81, v1
	v_or_b32_e32 v11, 0x800000, v16
	v_cndmask_b32_e32 v15, v3, v37, vcc
	v_cndmask_b32_e32 v1, v2, v14, vcc
	;; [unrolled: 1-line block ×3, first 2 shown]
	v_add_u32_e32 v2, 20, v15
	v_lshlrev_b64 v[2:3], v2, -1
	v_add_u32_e32 v11, 19, v15
	v_lshrrev_b64 v[34:35], v15, v[16:17]
	v_not_b32_e32 v3, v3
	v_not_b32_e32 v2, v2
	v_lshlrev_b64 v[32:33], v11, 1
	v_lshrrev_b32_e32 v11, 23, v34
	v_and_b32_e32 v3, 0, v3
	v_and_b32_e32 v2, v16, v2
	v_add3_u32 v16, v15, v1, v11
	v_bfe_u32 v1, v34, 20, 1
	v_add_u32_e32 v1, -1, v1
	v_cmp_eq_u64_e32 vcc, v[2:3], v[32:33]
	v_cndmask_b32_e32 v1, 0, v1, vcc
	v_add_u32_e32 v1, v1, v34
	v_and_b32_e32 v1, 0xfffff, v1
	v_add_co_u32_e32 v2, vcc, v1, v34
	v_add_u32_e32 v15, 6, v16
	v_addc_co_u32_e32 v3, vcc, 0, v35, vcc
	v_cmp_ne_u32_e32 vcc, 0, v15
                                        ; implicit-def: $vgpr11
	s_and_saveexec_b64 s[20:21], vcc
	s_xor_b64 s[20:21], exec, s[20:21]
; %bb.5670:                             ;   in Loop: Header=BB4_5454 Depth=2
	v_add_u32_e32 v1, 7, v16
	v_cmp_lt_u64_e32 vcc, s[44:45], v[2:3]
	v_cndmask_b32_e32 v11, v15, v1, vcc
	v_cndmask_b32_e64 v1, 0, 1, vcc
	v_lshrrev_b64 v[2:3], v1, v[2:3]
; %bb.5671:                             ;   in Loop: Header=BB4_5454 Depth=2
	s_andn2_saveexec_b64 s[20:21], s[20:21]
; %bb.5672:                             ;   in Loop: Header=BB4_5454 Depth=2
	v_bfe_u32 v11, v2, 23, 1
; %bb.5673:                             ;   in Loop: Header=BB4_5454 Depth=2
	s_or_b64 exec, exec, s[20:21]
	v_lshrrev_b64 v[2:3], 20, v[2:3]
	v_cmp_gt_i32_e32 vcc, 16, v11
	v_cndmask_b32_e32 v3, 0, v3, vcc
	v_cndmask_b32_e32 v2, 7, v2, vcc
	v_min_i32_e32 v1, 15, v11
	v_cmp_eq_u32_e32 vcc, 0, v11
	v_cmp_eq_u64_e64 s[20:21], 0, v[2:3]
	v_lshlrev_b32_e32 v1, 3, v1
	v_and_or_b32 v1, v2, 7, v1
	s_and_b64 s[20:21], vcc, s[20:21]
	v_cndmask_b32_e64 v1, v1, 0, s[20:21]
	v_or_b32_e32 v27, v1, v10
.LBB4_5674:                             ;   in Loop: Header=BB4_5454 Depth=2
	s_or_b64 exec, exec, s[56:57]
.LBB4_5675:                             ;   in Loop: Header=BB4_5454 Depth=2
	s_or_b64 exec, exec, s[54:55]
                                        ; implicit-def: $vgpr2
.LBB4_5676:                             ;   in Loop: Header=BB4_5454 Depth=2
	s_andn2_saveexec_b64 s[20:21], s[52:53]
; %bb.5677:                             ;   in Loop: Header=BB4_5454 Depth=2
	v_or_b32_sdwa v1, v2, s68 dst_sel:DWORD dst_unused:UNUSED_PAD src0_sel:BYTE_3 src1_sel:DWORD
	v_cmp_eq_u64_e32 vcc, 0, v[16:17]
	v_cndmask_b32_e32 v27, v1, v27, vcc
; %bb.5678:                             ;   in Loop: Header=BB4_5454 Depth=2
	s_or_b64 exec, exec, s[20:21]
	v_mov_b32_e32 v16, v13
	v_cmp_ne_u16_sdwa vcc, v13, v17 src0_sel:BYTE_0 src1_sel:DWORD
	v_mov_b32_e32 v2, 0
	s_and_saveexec_b64 s[20:21], vcc
	s_cbranch_execz .LBB4_5684
; %bb.5679:                             ;   in Loop: Header=BB4_5454 Depth=2
	v_cmp_ne_u16_sdwa vcc, v13, s69 src0_sel:BYTE_0 src1_sel:DWORD
	v_bfrev_b32_e32 v2, 1
	s_and_saveexec_b64 s[52:53], vcc
	s_cbranch_execz .LBB4_5683
; %bb.5680:                             ;   in Loop: Header=BB4_5454 Depth=2
	v_and_b32_e32 v1, 0x7f, v13
	v_cmp_ne_u32_e32 vcc, s68, v1
	v_mov_b32_e32 v2, 0x7f800001
	s_and_saveexec_b64 s[54:55], vcc
	s_cbranch_execz .LBB4_5682
; %bb.5681:                             ;   in Loop: Header=BB4_5454 Depth=2
	v_and_b32_e32 v2, 7, v13
	v_ffbh_u32_e32 v2, v2
	v_min_u32_e32 v2, 32, v2
	v_lshrrev_b32_e32 v3, 3, v1
	v_subrev_u32_e32 v10, 28, v2
	v_sub_u32_e32 v2, 29, v2
	v_cmp_gt_u32_e32 vcc, 8, v1
	v_cndmask_b32_e32 v1, v3, v2, vcc
	v_cndmask_b32_e32 v2, 0, v10, vcc
	v_lshlrev_b64 v[2:3], v2, v[16:17]
	v_lshlrev_b32_e32 v2, 20, v2
	v_lshlrev_b32_e32 v3, 24, v16
	v_and_b32_e32 v2, 0x700000, v2
	v_and_b32_e32 v3, 0x80000000, v3
	v_lshl_add_u32 v1, v1, 23, v47
	v_or3_b32 v2, v3, v1, v2
.LBB4_5682:                             ;   in Loop: Header=BB4_5454 Depth=2
	s_or_b64 exec, exec, s[54:55]
.LBB4_5683:                             ;   in Loop: Header=BB4_5454 Depth=2
	s_or_b64 exec, exec, s[52:53]
.LBB4_5684:                             ;   in Loop: Header=BB4_5454 Depth=2
	s_or_b64 exec, exec, s[20:21]
	v_mul_f32_e32 v11, v5, v2
	v_and_b32_sdwa v10, v11, s69 dst_sel:DWORD dst_unused:UNUSED_PAD src0_sel:BYTE_3 src1_sel:DWORD
	v_and_b32_e32 v34, 0x7f800000, v11
	v_mov_b32_e32 v35, v17
	v_and_b32_e32 v2, 0x7fffff, v11
	v_mov_b32_e32 v3, v17
	v_or_b32_e32 v32, 0x7e, v10
	v_cmp_ne_u64_e32 vcc, s[38:39], v[34:35]
	s_and_saveexec_b64 s[20:21], vcc
	s_xor_b64 s[52:53], exec, s[20:21]
	s_cbranch_execz .LBB4_5694
; %bb.5685:                             ;   in Loop: Header=BB4_5454 Depth=2
	v_and_b32_e32 v34, 0x7fffffff, v11
	v_mov_b32_e32 v35, v17
	v_cmp_gt_u64_e32 vcc, s[40:41], v[34:35]
	s_and_saveexec_b64 s[54:55], vcc
	s_cbranch_execz .LBB4_5693
; %bb.5686:                             ;   in Loop: Header=BB4_5454 Depth=2
	v_cmp_ne_u32_e32 vcc, 0, v11
	v_mov_b32_e32 v32, 0
	s_and_saveexec_b64 s[56:57], vcc
	s_cbranch_execz .LBB4_5692
; %bb.5687:                             ;   in Loop: Header=BB4_5454 Depth=2
	v_bfe_u32 v1, v11, 23, 8
	v_sub_u32_e32 v15, 0x79, v1
	v_cmp_gt_u32_e32 vcc, s70, v1
	v_add_u32_e32 v11, 0xffffff81, v1
	v_cndmask_b32_e32 v15, 0, v15, vcc
	v_cmp_eq_u32_e32 vcc, 0, v1
	v_cndmask_b32_e32 v1, v11, v14, vcc
	v_cndmask_b32_e32 v11, v15, v37, vcc
	v_add_u32_e32 v15, 20, v11
	v_or_b32_e32 v18, 0x800000, v2
	v_lshlrev_b64 v[32:33], v15, -1
	v_cndmask_b32_e32 v2, v18, v2, vcc
	v_not_b32_e32 v15, v33
	v_not_b32_e32 v18, v32
	v_and_b32_e32 v33, 0, v15
	v_and_b32_e32 v32, v2, v18
	v_add_u32_e32 v15, 19, v11
	v_lshrrev_b64 v[2:3], v11, v[2:3]
	v_lshlrev_b64 v[34:35], v15, 1
	v_lshrrev_b32_e32 v15, 23, v2
	v_add3_u32 v18, v11, v1, v15
	v_bfe_u32 v1, v2, 20, 1
	v_add_u32_e32 v1, -1, v1
	v_cmp_eq_u64_e32 vcc, v[32:33], v[34:35]
	v_cndmask_b32_e32 v1, 0, v1, vcc
	v_add_u32_e32 v1, v1, v2
	v_and_b32_e32 v1, 0xfffff, v1
	v_add_co_u32_e32 v2, vcc, v1, v2
	v_add_u32_e32 v15, 6, v18
	v_addc_co_u32_e32 v3, vcc, 0, v3, vcc
	v_cmp_ne_u32_e32 vcc, 0, v15
                                        ; implicit-def: $vgpr11
	s_and_saveexec_b64 s[20:21], vcc
	s_xor_b64 s[20:21], exec, s[20:21]
; %bb.5688:                             ;   in Loop: Header=BB4_5454 Depth=2
	v_add_u32_e32 v1, 7, v18
	v_cmp_lt_u64_e32 vcc, s[44:45], v[2:3]
	v_cndmask_b32_e32 v11, v15, v1, vcc
	v_cndmask_b32_e64 v1, 0, 1, vcc
	v_lshrrev_b64 v[2:3], v1, v[2:3]
; %bb.5689:                             ;   in Loop: Header=BB4_5454 Depth=2
	s_andn2_saveexec_b64 s[20:21], s[20:21]
; %bb.5690:                             ;   in Loop: Header=BB4_5454 Depth=2
	v_bfe_u32 v11, v2, 23, 1
; %bb.5691:                             ;   in Loop: Header=BB4_5454 Depth=2
	s_or_b64 exec, exec, s[20:21]
	v_lshrrev_b64 v[2:3], 20, v[2:3]
	v_cmp_gt_i32_e32 vcc, 16, v11
	v_cndmask_b32_e32 v3, 0, v3, vcc
	v_cndmask_b32_e32 v2, 7, v2, vcc
	v_min_i32_e32 v1, 15, v11
	v_cmp_eq_u32_e32 vcc, 0, v11
	v_cmp_eq_u64_e64 s[20:21], 0, v[2:3]
	v_lshlrev_b32_e32 v1, 3, v1
	v_and_or_b32 v1, v2, 7, v1
	s_and_b64 s[20:21], vcc, s[20:21]
	v_cndmask_b32_e64 v1, v1, 0, s[20:21]
	v_or_b32_e32 v32, v1, v10
.LBB4_5692:                             ;   in Loop: Header=BB4_5454 Depth=2
	s_or_b64 exec, exec, s[56:57]
.LBB4_5693:                             ;   in Loop: Header=BB4_5454 Depth=2
	s_or_b64 exec, exec, s[54:55]
                                        ; implicit-def: $vgpr11
                                        ; implicit-def: $vgpr2_vgpr3
.LBB4_5694:                             ;   in Loop: Header=BB4_5454 Depth=2
	s_andn2_saveexec_b64 s[20:21], s[52:53]
; %bb.5695:                             ;   in Loop: Header=BB4_5454 Depth=2
	v_or_b32_sdwa v1, v11, s68 dst_sel:DWORD dst_unused:UNUSED_PAD src0_sel:BYTE_3 src1_sel:DWORD
	v_cmp_eq_u64_e32 vcc, 0, v[2:3]
	v_cndmask_b32_e32 v32, v1, v32, vcc
; %bb.5696:                             ;   in Loop: Header=BB4_5454 Depth=2
	s_or_b64 exec, exec, s[20:21]
	v_lshrrev_b16_e32 v2, 8, v16
	v_cmp_ne_u16_e32 vcc, 0, v2
	v_mov_b32_e32 v3, 0
	s_and_saveexec_b64 s[20:21], vcc
	s_cbranch_execz .LBB4_5702
; %bb.5697:                             ;   in Loop: Header=BB4_5454 Depth=2
	v_cmp_ne_u16_e32 vcc, s69, v2
	v_bfrev_b32_e32 v3, 1
	s_and_saveexec_b64 s[52:53], vcc
	s_cbranch_execz .LBB4_5701
; %bb.5698:                             ;   in Loop: Header=BB4_5454 Depth=2
	v_and_b32_e32 v1, 0x7f, v2
	v_cmp_ne_u32_e32 vcc, s68, v1
	v_mov_b32_e32 v3, 0x7f800001
	s_and_saveexec_b64 s[54:55], vcc
	s_cbranch_execz .LBB4_5700
; %bb.5699:                             ;   in Loop: Header=BB4_5454 Depth=2
	v_and_b32_e32 v10, 7, v2
	v_ffbh_u32_e32 v3, v10
	v_min_u32_e32 v15, 32, v3
	v_subrev_u32_e32 v3, 28, v15
	v_lshlrev_b64 v[2:3], v3, v[2:3]
	v_lshrrev_b32_e32 v11, 3, v1
	v_sub_u32_e32 v3, 29, v15
	v_and_b32_e32 v2, 7, v2
	v_cmp_gt_u32_e32 vcc, 8, v1
	v_cndmask_b32_e32 v1, v11, v3, vcc
	v_cndmask_b32_e32 v2, v10, v2, vcc
	v_lshlrev_b32_e32 v3, 16, v16
	v_lshlrev_b32_e32 v2, 20, v2
	v_and_b32_e32 v3, 0x80000000, v3
	v_lshl_add_u32 v1, v1, 23, v47
	v_or3_b32 v3, v3, v1, v2
.LBB4_5700:                             ;   in Loop: Header=BB4_5454 Depth=2
	s_or_b64 exec, exec, s[54:55]
.LBB4_5701:                             ;   in Loop: Header=BB4_5454 Depth=2
	s_or_b64 exec, exec, s[52:53]
.LBB4_5702:                             ;   in Loop: Header=BB4_5454 Depth=2
	s_or_b64 exec, exec, s[20:21]
	v_mul_f32_e32 v2, v5, v3
	v_and_b32_sdwa v10, v2, s69 dst_sel:DWORD dst_unused:UNUSED_PAD src0_sel:BYTE_3 src1_sel:DWORD
	v_and_b32_e32 v34, 0x7f800000, v2
	v_mov_b32_e32 v35, v17
	v_and_b32_e32 v16, 0x7fffff, v2
	v_or_b32_e32 v33, 0x7e, v10
	v_cmp_ne_u64_e32 vcc, s[38:39], v[34:35]
	s_and_saveexec_b64 s[20:21], vcc
	s_xor_b64 s[52:53], exec, s[20:21]
	s_cbranch_execz .LBB4_5712
; %bb.5703:                             ;   in Loop: Header=BB4_5454 Depth=2
	v_and_b32_e32 v34, 0x7fffffff, v2
	v_mov_b32_e32 v35, v17
	v_cmp_gt_u64_e32 vcc, s[40:41], v[34:35]
	s_and_saveexec_b64 s[54:55], vcc
	s_cbranch_execz .LBB4_5711
; %bb.5704:                             ;   in Loop: Header=BB4_5454 Depth=2
	v_cmp_ne_u32_e32 vcc, 0, v2
	v_mov_b32_e32 v33, 0
	s_and_saveexec_b64 s[56:57], vcc
	s_cbranch_execz .LBB4_5710
; %bb.5705:                             ;   in Loop: Header=BB4_5454 Depth=2
	v_bfe_u32 v1, v2, 23, 8
	v_sub_u32_e32 v3, 0x79, v1
	v_cmp_gt_u32_e32 vcc, s70, v1
	v_cndmask_b32_e32 v3, 0, v3, vcc
	v_cmp_eq_u32_e32 vcc, 0, v1
	v_add_u32_e32 v2, 0xffffff81, v1
	v_or_b32_e32 v11, 0x800000, v16
	v_cndmask_b32_e32 v15, v3, v37, vcc
	v_cndmask_b32_e32 v1, v2, v14, vcc
	;; [unrolled: 1-line block ×3, first 2 shown]
	v_add_u32_e32 v2, 20, v15
	v_lshlrev_b64 v[2:3], v2, -1
	v_add_u32_e32 v11, 19, v15
	v_lshrrev_b64 v[38:39], v15, v[16:17]
	v_not_b32_e32 v3, v3
	v_not_b32_e32 v2, v2
	v_lshlrev_b64 v[34:35], v11, 1
	v_lshrrev_b32_e32 v11, 23, v38
	v_and_b32_e32 v3, 0, v3
	v_and_b32_e32 v2, v16, v2
	v_add3_u32 v16, v15, v1, v11
	v_bfe_u32 v1, v38, 20, 1
	v_add_u32_e32 v1, -1, v1
	v_cmp_eq_u64_e32 vcc, v[2:3], v[34:35]
	v_cndmask_b32_e32 v1, 0, v1, vcc
	v_add_u32_e32 v1, v1, v38
	v_and_b32_e32 v1, 0xfffff, v1
	v_add_co_u32_e32 v2, vcc, v1, v38
	v_add_u32_e32 v15, 6, v16
	v_addc_co_u32_e32 v3, vcc, 0, v39, vcc
	v_cmp_ne_u32_e32 vcc, 0, v15
                                        ; implicit-def: $vgpr11
	s_and_saveexec_b64 s[20:21], vcc
	s_xor_b64 s[20:21], exec, s[20:21]
; %bb.5706:                             ;   in Loop: Header=BB4_5454 Depth=2
	v_add_u32_e32 v1, 7, v16
	v_cmp_lt_u64_e32 vcc, s[44:45], v[2:3]
	v_cndmask_b32_e32 v11, v15, v1, vcc
	v_cndmask_b32_e64 v1, 0, 1, vcc
	v_lshrrev_b64 v[2:3], v1, v[2:3]
; %bb.5707:                             ;   in Loop: Header=BB4_5454 Depth=2
	s_andn2_saveexec_b64 s[20:21], s[20:21]
; %bb.5708:                             ;   in Loop: Header=BB4_5454 Depth=2
	v_bfe_u32 v11, v2, 23, 1
; %bb.5709:                             ;   in Loop: Header=BB4_5454 Depth=2
	s_or_b64 exec, exec, s[20:21]
	v_lshrrev_b64 v[2:3], 20, v[2:3]
	v_cmp_gt_i32_e32 vcc, 16, v11
	v_min_i32_e32 v1, 15, v11
	v_cndmask_b32_e32 v3, 0, v3, vcc
	v_cndmask_b32_e32 v2, 7, v2, vcc
	v_lshlrev_b32_e32 v1, 3, v1
	v_cmp_eq_u32_e32 vcc, 0, v11
	v_cmp_eq_u64_e64 s[20:21], 0, v[2:3]
	v_and_b32_e32 v1, 0xf8, v1
	v_and_or_b32 v1, v2, 7, v1
	s_and_b64 s[20:21], vcc, s[20:21]
	v_cndmask_b32_e64 v1, v1, 0, s[20:21]
	v_or_b32_e32 v33, v1, v10
.LBB4_5710:                             ;   in Loop: Header=BB4_5454 Depth=2
	s_or_b64 exec, exec, s[56:57]
.LBB4_5711:                             ;   in Loop: Header=BB4_5454 Depth=2
	s_or_b64 exec, exec, s[54:55]
                                        ; implicit-def: $vgpr2
.LBB4_5712:                             ;   in Loop: Header=BB4_5454 Depth=2
	s_andn2_saveexec_b64 s[20:21], s[52:53]
; %bb.5713:                             ;   in Loop: Header=BB4_5454 Depth=2
	v_or_b32_sdwa v1, v2, s68 dst_sel:DWORD dst_unused:UNUSED_PAD src0_sel:BYTE_3 src1_sel:DWORD
	v_cmp_eq_u64_e32 vcc, 0, v[16:17]
	v_cndmask_b32_e32 v33, v1, v33, vcc
; %bb.5714:                             ;   in Loop: Header=BB4_5454 Depth=2
	s_or_b64 exec, exec, s[20:21]
	v_lshrrev_b32_e32 v2, 16, v13
	v_cmp_ne_u16_sdwa vcc, v2, v17 src0_sel:BYTE_0 src1_sel:DWORD
	v_mov_b32_e32 v3, 0
	s_and_saveexec_b64 s[20:21], vcc
	s_cbranch_execz .LBB4_5720
; %bb.5715:                             ;   in Loop: Header=BB4_5454 Depth=2
	v_cmp_ne_u16_sdwa vcc, v2, s69 src0_sel:BYTE_0 src1_sel:DWORD
	v_bfrev_b32_e32 v3, 1
	s_and_saveexec_b64 s[52:53], vcc
	s_cbranch_execz .LBB4_5719
; %bb.5716:                             ;   in Loop: Header=BB4_5454 Depth=2
	v_bfe_u32 v1, v13, 16, 7
	v_cmp_ne_u32_e32 vcc, s68, v1
	v_mov_b32_e32 v3, 0x7f800001
	s_and_saveexec_b64 s[54:55], vcc
	s_cbranch_execz .LBB4_5718
; %bb.5717:                             ;   in Loop: Header=BB4_5454 Depth=2
	v_and_b32_e32 v3, 7, v2
	v_ffbh_u32_e32 v10, v3
	v_min_u32_e32 v16, 32, v10
	v_subrev_u32_e32 v10, 28, v16
	v_lshlrev_b64 v[10:11], v10, v[2:3]
	v_lshrrev_b32_e32 v15, 3, v1
	v_sub_u32_e32 v11, 29, v16
	v_and_b32_e32 v10, 7, v10
	v_cmp_gt_u32_e32 vcc, 8, v1
	v_cndmask_b32_e32 v1, v15, v11, vcc
	v_cndmask_b32_e32 v3, v3, v10, vcc
	v_lshlrev_b32_e32 v2, 24, v2
	v_lshlrev_b32_e32 v3, 20, v3
	v_and_b32_e32 v2, 0x80000000, v2
	v_lshl_add_u32 v1, v1, 23, v47
	v_or3_b32 v3, v2, v1, v3
.LBB4_5718:                             ;   in Loop: Header=BB4_5454 Depth=2
	s_or_b64 exec, exec, s[54:55]
.LBB4_5719:                             ;   in Loop: Header=BB4_5454 Depth=2
	s_or_b64 exec, exec, s[52:53]
.LBB4_5720:                             ;   in Loop: Header=BB4_5454 Depth=2
	s_or_b64 exec, exec, s[20:21]
	v_mul_f32_e32 v2, v5, v3
	v_and_b32_sdwa v10, v2, s69 dst_sel:DWORD dst_unused:UNUSED_PAD src0_sel:BYTE_3 src1_sel:DWORD
	v_and_b32_e32 v38, 0x7f800000, v2
	v_mov_b32_e32 v39, v17
	v_and_b32_e32 v16, 0x7fffff, v2
	v_or_b32_e32 v34, 0x7e, v10
	v_cmp_ne_u64_e32 vcc, s[38:39], v[38:39]
	s_and_saveexec_b64 s[20:21], vcc
	s_xor_b64 s[52:53], exec, s[20:21]
	s_cbranch_execz .LBB4_5730
; %bb.5721:                             ;   in Loop: Header=BB4_5454 Depth=2
	v_and_b32_e32 v38, 0x7fffffff, v2
	v_mov_b32_e32 v39, v17
	v_cmp_gt_u64_e32 vcc, s[40:41], v[38:39]
	s_and_saveexec_b64 s[54:55], vcc
	s_cbranch_execz .LBB4_5729
; %bb.5722:                             ;   in Loop: Header=BB4_5454 Depth=2
	v_cmp_ne_u32_e32 vcc, 0, v2
	v_mov_b32_e32 v34, 0
	s_and_saveexec_b64 s[56:57], vcc
	s_cbranch_execz .LBB4_5728
; %bb.5723:                             ;   in Loop: Header=BB4_5454 Depth=2
	v_bfe_u32 v1, v2, 23, 8
	v_sub_u32_e32 v3, 0x79, v1
	v_cmp_gt_u32_e32 vcc, s70, v1
	v_cndmask_b32_e32 v3, 0, v3, vcc
	v_cmp_eq_u32_e32 vcc, 0, v1
	v_add_u32_e32 v2, 0xffffff81, v1
	v_or_b32_e32 v11, 0x800000, v16
	v_cndmask_b32_e32 v15, v3, v37, vcc
	v_cndmask_b32_e32 v1, v2, v14, vcc
	;; [unrolled: 1-line block ×3, first 2 shown]
	v_add_u32_e32 v2, 20, v15
	v_lshlrev_b64 v[2:3], v2, -1
	v_add_u32_e32 v11, 19, v15
	v_lshrrev_b64 v[38:39], v15, v[16:17]
	v_not_b32_e32 v3, v3
	v_not_b32_e32 v2, v2
	v_lshlrev_b64 v[34:35], v11, 1
	v_lshrrev_b32_e32 v11, 23, v38
	v_and_b32_e32 v3, 0, v3
	v_and_b32_e32 v2, v16, v2
	v_add3_u32 v16, v15, v1, v11
	v_bfe_u32 v1, v38, 20, 1
	v_add_u32_e32 v1, -1, v1
	v_cmp_eq_u64_e32 vcc, v[2:3], v[34:35]
	v_cndmask_b32_e32 v1, 0, v1, vcc
	v_add_u32_e32 v1, v1, v38
	v_and_b32_e32 v1, 0xfffff, v1
	v_add_co_u32_e32 v2, vcc, v1, v38
	v_add_u32_e32 v15, 6, v16
	v_addc_co_u32_e32 v3, vcc, 0, v39, vcc
	v_cmp_ne_u32_e32 vcc, 0, v15
                                        ; implicit-def: $vgpr11
	s_and_saveexec_b64 s[20:21], vcc
	s_xor_b64 s[20:21], exec, s[20:21]
; %bb.5724:                             ;   in Loop: Header=BB4_5454 Depth=2
	v_add_u32_e32 v1, 7, v16
	v_cmp_lt_u64_e32 vcc, s[44:45], v[2:3]
	v_cndmask_b32_e32 v11, v15, v1, vcc
	v_cndmask_b32_e64 v1, 0, 1, vcc
	v_lshrrev_b64 v[2:3], v1, v[2:3]
; %bb.5725:                             ;   in Loop: Header=BB4_5454 Depth=2
	s_andn2_saveexec_b64 s[20:21], s[20:21]
; %bb.5726:                             ;   in Loop: Header=BB4_5454 Depth=2
	v_bfe_u32 v11, v2, 23, 1
; %bb.5727:                             ;   in Loop: Header=BB4_5454 Depth=2
	s_or_b64 exec, exec, s[20:21]
	v_lshrrev_b64 v[2:3], 20, v[2:3]
	v_cmp_gt_i32_e32 vcc, 16, v11
	v_min_i32_e32 v1, 15, v11
	v_cndmask_b32_e32 v3, 0, v3, vcc
	v_cndmask_b32_e32 v2, 7, v2, vcc
	v_lshlrev_b32_e32 v1, 3, v1
	v_cmp_eq_u32_e32 vcc, 0, v11
	v_cmp_eq_u64_e64 s[20:21], 0, v[2:3]
	v_and_b32_e32 v1, 0xf8, v1
	v_and_or_b32 v1, v2, 7, v1
	s_and_b64 s[20:21], vcc, s[20:21]
	v_cndmask_b32_e64 v1, v1, 0, s[20:21]
	v_or_b32_e32 v34, v1, v10
.LBB4_5728:                             ;   in Loop: Header=BB4_5454 Depth=2
	s_or_b64 exec, exec, s[56:57]
.LBB4_5729:                             ;   in Loop: Header=BB4_5454 Depth=2
	s_or_b64 exec, exec, s[54:55]
                                        ; implicit-def: $vgpr2
.LBB4_5730:                             ;   in Loop: Header=BB4_5454 Depth=2
	s_andn2_saveexec_b64 s[20:21], s[52:53]
; %bb.5731:                             ;   in Loop: Header=BB4_5454 Depth=2
	v_or_b32_sdwa v1, v2, s68 dst_sel:DWORD dst_unused:UNUSED_PAD src0_sel:BYTE_3 src1_sel:DWORD
	v_cmp_eq_u64_e32 vcc, 0, v[16:17]
	v_cndmask_b32_e32 v34, v1, v34, vcc
; %bb.5732:                             ;   in Loop: Header=BB4_5454 Depth=2
	s_or_b64 exec, exec, s[20:21]
	v_cmp_lt_u64_e32 vcc, s[42:43], v[12:13]
	v_mov_b32_e32 v3, 0
	s_and_saveexec_b64 s[20:21], vcc
	s_cbranch_execz .LBB4_5738
; %bb.5733:                             ;   in Loop: Header=BB4_5454 Depth=2
	v_lshrrev_b32_e32 v2, 24, v13
	v_cmp_ne_u32_e32 vcc, s69, v2
	v_bfrev_b32_e32 v3, 1
	s_and_saveexec_b64 s[52:53], vcc
	s_cbranch_execz .LBB4_5737
; %bb.5734:                             ;   in Loop: Header=BB4_5454 Depth=2
	v_bfe_u32 v1, v13, 24, 7
	v_cmp_ne_u32_e32 vcc, s68, v1
	v_mov_b32_e32 v3, 0x7f800001
	s_and_saveexec_b64 s[54:55], vcc
	s_cbranch_execz .LBB4_5736
; %bb.5735:                             ;   in Loop: Header=BB4_5454 Depth=2
	v_and_b32_e32 v3, 7, v2
	v_ffbh_u32_e32 v10, v3
	v_min_u32_e32 v13, 32, v10
	v_subrev_u32_e32 v10, 28, v13
	v_lshlrev_b64 v[10:11], v10, v[2:3]
	v_lshrrev_b32_e32 v12, 3, v1
	v_sub_u32_e32 v11, 29, v13
	v_and_b32_e32 v10, 7, v10
	v_cmp_gt_u32_e32 vcc, 8, v1
	v_cndmask_b32_e32 v1, v12, v11, vcc
	v_cndmask_b32_e32 v3, v3, v10, vcc
	v_lshlrev_b32_e32 v2, 24, v2
	v_lshlrev_b32_e32 v3, 20, v3
	v_and_b32_e32 v2, 0x80000000, v2
	v_lshl_add_u32 v1, v1, 23, v47
	v_or3_b32 v3, v2, v1, v3
.LBB4_5736:                             ;   in Loop: Header=BB4_5454 Depth=2
	s_or_b64 exec, exec, s[54:55]
.LBB4_5737:                             ;   in Loop: Header=BB4_5454 Depth=2
	s_or_b64 exec, exec, s[52:53]
.LBB4_5738:                             ;   in Loop: Header=BB4_5454 Depth=2
	s_or_b64 exec, exec, s[20:21]
	v_mul_f32_e32 v2, v5, v3
	v_and_b32_sdwa v10, v2, s69 dst_sel:DWORD dst_unused:UNUSED_PAD src0_sel:BYTE_3 src1_sel:DWORD
	v_and_b32_e32 v12, 0x7f800000, v2
	v_mov_b32_e32 v13, v17
	v_and_b32_e32 v16, 0x7fffff, v2
	v_or_b32_e32 v35, 0x7e, v10
	v_cmp_ne_u64_e32 vcc, s[38:39], v[12:13]
	s_and_saveexec_b64 s[20:21], vcc
	s_xor_b64 s[52:53], exec, s[20:21]
	s_cbranch_execz .LBB4_5748
; %bb.5739:                             ;   in Loop: Header=BB4_5454 Depth=2
	v_and_b32_e32 v12, 0x7fffffff, v2
	v_mov_b32_e32 v13, v17
	v_cmp_gt_u64_e32 vcc, s[40:41], v[12:13]
	s_and_saveexec_b64 s[54:55], vcc
	s_cbranch_execz .LBB4_5747
; %bb.5740:                             ;   in Loop: Header=BB4_5454 Depth=2
	v_cmp_ne_u32_e32 vcc, 0, v2
	v_mov_b32_e32 v35, 0
	s_and_saveexec_b64 s[56:57], vcc
	s_cbranch_execz .LBB4_5746
; %bb.5741:                             ;   in Loop: Header=BB4_5454 Depth=2
	v_bfe_u32 v1, v2, 23, 8
	v_sub_u32_e32 v3, 0x79, v1
	v_cmp_gt_u32_e32 vcc, s70, v1
	v_cndmask_b32_e32 v3, 0, v3, vcc
	v_cmp_eq_u32_e32 vcc, 0, v1
	v_add_u32_e32 v2, 0xffffff81, v1
	v_or_b32_e32 v11, 0x800000, v16
	v_cndmask_b32_e32 v12, v3, v37, vcc
	v_cndmask_b32_e32 v1, v2, v14, vcc
	;; [unrolled: 1-line block ×3, first 2 shown]
	v_add_u32_e32 v2, 20, v12
	v_lshlrev_b64 v[2:3], v2, -1
	v_add_u32_e32 v11, 19, v12
	v_lshrrev_b64 v[50:51], v12, v[16:17]
	v_not_b32_e32 v3, v3
	v_not_b32_e32 v2, v2
	v_lshlrev_b64 v[38:39], v11, 1
	v_lshrrev_b32_e32 v11, 23, v50
	v_and_b32_e32 v3, 0, v3
	v_and_b32_e32 v2, v16, v2
	v_add3_u32 v13, v12, v1, v11
	v_bfe_u32 v1, v50, 20, 1
	v_add_u32_e32 v1, -1, v1
	v_cmp_eq_u64_e32 vcc, v[2:3], v[38:39]
	v_cndmask_b32_e32 v1, 0, v1, vcc
	v_add_u32_e32 v1, v1, v50
	v_and_b32_e32 v1, 0xfffff, v1
	v_add_co_u32_e32 v2, vcc, v1, v50
	v_add_u32_e32 v12, 6, v13
	v_addc_co_u32_e32 v3, vcc, 0, v51, vcc
	v_cmp_ne_u32_e32 vcc, 0, v12
                                        ; implicit-def: $vgpr11
	s_and_saveexec_b64 s[20:21], vcc
	s_xor_b64 s[20:21], exec, s[20:21]
; %bb.5742:                             ;   in Loop: Header=BB4_5454 Depth=2
	v_add_u32_e32 v1, 7, v13
	v_cmp_lt_u64_e32 vcc, s[44:45], v[2:3]
	v_cndmask_b32_e32 v11, v12, v1, vcc
	v_cndmask_b32_e64 v1, 0, 1, vcc
	v_lshrrev_b64 v[2:3], v1, v[2:3]
; %bb.5743:                             ;   in Loop: Header=BB4_5454 Depth=2
	s_andn2_saveexec_b64 s[20:21], s[20:21]
; %bb.5744:                             ;   in Loop: Header=BB4_5454 Depth=2
	v_bfe_u32 v11, v2, 23, 1
; %bb.5745:                             ;   in Loop: Header=BB4_5454 Depth=2
	s_or_b64 exec, exec, s[20:21]
	v_lshrrev_b64 v[2:3], 20, v[2:3]
	v_cmp_gt_i32_e32 vcc, 16, v11
	v_min_i32_e32 v1, 15, v11
	v_cndmask_b32_e32 v3, 0, v3, vcc
	v_cndmask_b32_e32 v2, 7, v2, vcc
	v_lshlrev_b32_e32 v1, 3, v1
	v_cmp_eq_u32_e32 vcc, 0, v11
	v_cmp_eq_u64_e64 s[20:21], 0, v[2:3]
	v_and_b32_e32 v1, 0xf8, v1
	v_and_or_b32 v1, v2, 7, v1
	s_and_b64 s[20:21], vcc, s[20:21]
	v_cndmask_b32_e64 v1, v1, 0, s[20:21]
	v_or_b32_e32 v35, v1, v10
.LBB4_5746:                             ;   in Loop: Header=BB4_5454 Depth=2
	s_or_b64 exec, exec, s[56:57]
.LBB4_5747:                             ;   in Loop: Header=BB4_5454 Depth=2
	s_or_b64 exec, exec, s[54:55]
                                        ; implicit-def: $vgpr2
.LBB4_5748:                             ;   in Loop: Header=BB4_5454 Depth=2
	s_andn2_saveexec_b64 s[20:21], s[52:53]
; %bb.5749:                             ;   in Loop: Header=BB4_5454 Depth=2
	v_or_b32_sdwa v1, v2, s68 dst_sel:DWORD dst_unused:UNUSED_PAD src0_sel:BYTE_3 src1_sel:DWORD
	v_cmp_eq_u64_e32 vcc, 0, v[16:17]
	v_cndmask_b32_e32 v35, v1, v35, vcc
; %bb.5750:                             ;   in Loop: Header=BB4_5454 Depth=2
	s_or_b64 exec, exec, s[20:21]
	global_load_dwordx4 v[10:13], v[42:43], off offset:1024 glc slc
	v_mov_b32_e32 v2, 0
	s_waitcnt vmcnt(0)
	v_cmp_ne_u16_sdwa vcc, v10, v17 src0_sel:BYTE_0 src1_sel:DWORD
	s_and_saveexec_b64 s[20:21], vcc
	s_cbranch_execz .LBB4_5756
; %bb.5751:                             ;   in Loop: Header=BB4_5454 Depth=2
	v_cmp_ne_u16_sdwa vcc, v10, s69 src0_sel:BYTE_0 src1_sel:DWORD
	v_bfrev_b32_e32 v2, 1
	s_and_saveexec_b64 s[52:53], vcc
	s_cbranch_execz .LBB4_5755
; %bb.5752:                             ;   in Loop: Header=BB4_5454 Depth=2
	v_and_b32_e32 v1, 0x7f, v10
	v_cmp_ne_u32_e32 vcc, s68, v1
	v_mov_b32_e32 v2, 0x7f800001
	s_and_saveexec_b64 s[54:55], vcc
	s_cbranch_execz .LBB4_5754
; %bb.5753:                             ;   in Loop: Header=BB4_5454 Depth=2
	v_and_b32_e32 v2, 7, v10
	v_ffbh_u32_e32 v2, v2
	v_min_u32_e32 v2, 32, v2
	v_lshrrev_b32_e32 v3, 3, v1
	v_subrev_u32_e32 v15, 28, v2
	v_sub_u32_e32 v2, 29, v2
	v_cmp_gt_u32_e32 vcc, 8, v1
	v_cndmask_b32_e32 v1, v3, v2, vcc
	v_cndmask_b32_e32 v2, 0, v15, vcc
	v_lshlrev_b64 v[2:3], v2, v[10:11]
	v_lshlrev_b32_e32 v2, 20, v2
	v_lshlrev_b32_e32 v3, 24, v10
	v_and_b32_e32 v2, 0x700000, v2
	v_and_b32_e32 v3, 0x80000000, v3
	v_lshl_add_u32 v1, v1, 23, v47
	v_or3_b32 v2, v3, v1, v2
.LBB4_5754:                             ;   in Loop: Header=BB4_5454 Depth=2
	s_or_b64 exec, exec, s[54:55]
.LBB4_5755:                             ;   in Loop: Header=BB4_5454 Depth=2
	s_or_b64 exec, exec, s[52:53]
.LBB4_5756:                             ;   in Loop: Header=BB4_5454 Depth=2
	s_or_b64 exec, exec, s[20:21]
	v_mul_f32_e32 v2, v5, v2
	v_and_b32_sdwa v15, v2, s69 dst_sel:DWORD dst_unused:UNUSED_PAD src0_sel:BYTE_3 src1_sel:DWORD
	v_and_b32_e32 v38, 0x7f800000, v2
	v_mov_b32_e32 v39, v17
	v_and_b32_e32 v16, 0x7fffff, v2
	v_or_b32_e32 v53, 0x7e, v15
	v_cmp_ne_u64_e32 vcc, s[38:39], v[38:39]
	s_and_saveexec_b64 s[20:21], vcc
	s_xor_b64 s[52:53], exec, s[20:21]
	s_cbranch_execz .LBB4_5766
; %bb.5757:                             ;   in Loop: Header=BB4_5454 Depth=2
	v_and_b32_e32 v38, 0x7fffffff, v2
	v_mov_b32_e32 v39, v17
	v_cmp_gt_u64_e32 vcc, s[40:41], v[38:39]
	s_and_saveexec_b64 s[54:55], vcc
	s_cbranch_execz .LBB4_5765
; %bb.5758:                             ;   in Loop: Header=BB4_5454 Depth=2
	v_cmp_ne_u32_e32 vcc, 0, v2
	v_mov_b32_e32 v53, 0
	s_and_saveexec_b64 s[56:57], vcc
	s_cbranch_execz .LBB4_5764
; %bb.5759:                             ;   in Loop: Header=BB4_5454 Depth=2
	v_bfe_u32 v1, v2, 23, 8
	v_sub_u32_e32 v3, 0x79, v1
	v_cmp_gt_u32_e32 vcc, s70, v1
	v_cndmask_b32_e32 v3, 0, v3, vcc
	v_cmp_eq_u32_e32 vcc, 0, v1
	v_add_u32_e32 v2, 0xffffff81, v1
	v_cndmask_b32_e32 v20, v3, v37, vcc
	v_or_b32_e32 v18, 0x800000, v16
	v_cndmask_b32_e32 v1, v2, v14, vcc
	v_add_u32_e32 v2, 20, v20
	v_cndmask_b32_e32 v16, v18, v16, vcc
	v_lshlrev_b64 v[2:3], v2, -1
	v_not_b32_e32 v2, v2
	v_lshrrev_b64 v[50:51], v20, v[16:17]
	v_not_b32_e32 v3, v3
	v_and_b32_e32 v2, v16, v2
	v_add_u32_e32 v18, 19, v20
	v_lshrrev_b32_e32 v16, 23, v50
	v_and_b32_e32 v3, 0, v3
	v_lshlrev_b64 v[38:39], v18, 1
	v_add3_u32 v20, v20, v1, v16
	v_bfe_u32 v1, v50, 20, 1
	v_add_u32_e32 v1, -1, v1
	v_cmp_eq_u64_e32 vcc, v[2:3], v[38:39]
	v_cndmask_b32_e32 v1, 0, v1, vcc
	v_add_u32_e32 v1, v1, v50
	v_and_b32_e32 v1, 0xfffff, v1
	v_add_co_u32_e32 v2, vcc, v1, v50
	v_add_u32_e32 v18, 6, v20
	v_addc_co_u32_e32 v3, vcc, 0, v51, vcc
	v_cmp_ne_u32_e32 vcc, 0, v18
                                        ; implicit-def: $vgpr16
	s_and_saveexec_b64 s[20:21], vcc
	s_xor_b64 s[20:21], exec, s[20:21]
; %bb.5760:                             ;   in Loop: Header=BB4_5454 Depth=2
	v_add_u32_e32 v1, 7, v20
	v_cmp_lt_u64_e32 vcc, s[44:45], v[2:3]
	v_cndmask_b32_e32 v16, v18, v1, vcc
	v_cndmask_b32_e64 v1, 0, 1, vcc
	v_lshrrev_b64 v[2:3], v1, v[2:3]
; %bb.5761:                             ;   in Loop: Header=BB4_5454 Depth=2
	s_andn2_saveexec_b64 s[20:21], s[20:21]
; %bb.5762:                             ;   in Loop: Header=BB4_5454 Depth=2
	v_bfe_u32 v16, v2, 23, 1
; %bb.5763:                             ;   in Loop: Header=BB4_5454 Depth=2
	s_or_b64 exec, exec, s[20:21]
	v_lshrrev_b64 v[2:3], 20, v[2:3]
	v_cmp_gt_i32_e32 vcc, 16, v16
	v_cndmask_b32_e32 v3, 0, v3, vcc
	v_cndmask_b32_e32 v2, 7, v2, vcc
	v_min_i32_e32 v1, 15, v16
	v_cmp_eq_u32_e32 vcc, 0, v16
	v_cmp_eq_u64_e64 s[20:21], 0, v[2:3]
	v_lshlrev_b32_e32 v1, 3, v1
	v_and_or_b32 v1, v2, 7, v1
	s_and_b64 s[20:21], vcc, s[20:21]
	v_cndmask_b32_e64 v1, v1, 0, s[20:21]
	v_or_b32_e32 v53, v1, v15
.LBB4_5764:                             ;   in Loop: Header=BB4_5454 Depth=2
	s_or_b64 exec, exec, s[56:57]
.LBB4_5765:                             ;   in Loop: Header=BB4_5454 Depth=2
	s_or_b64 exec, exec, s[54:55]
                                        ; implicit-def: $vgpr2
.LBB4_5766:                             ;   in Loop: Header=BB4_5454 Depth=2
	s_andn2_saveexec_b64 s[20:21], s[52:53]
; %bb.5767:                             ;   in Loop: Header=BB4_5454 Depth=2
	v_or_b32_sdwa v1, v2, s68 dst_sel:DWORD dst_unused:UNUSED_PAD src0_sel:BYTE_3 src1_sel:DWORD
	v_cmp_eq_u64_e32 vcc, 0, v[16:17]
	v_cndmask_b32_e32 v53, v1, v53, vcc
; %bb.5768:                             ;   in Loop: Header=BB4_5454 Depth=2
	s_or_b64 exec, exec, s[20:21]
	v_lshrrev_b16_e32 v2, 8, v10
	v_cmp_ne_u16_e32 vcc, 0, v2
	v_mov_b32_e32 v3, 0
	s_and_saveexec_b64 s[20:21], vcc
	s_cbranch_execz .LBB4_5774
; %bb.5769:                             ;   in Loop: Header=BB4_5454 Depth=2
	v_cmp_ne_u16_e32 vcc, s69, v2
	v_bfrev_b32_e32 v3, 1
	s_and_saveexec_b64 s[52:53], vcc
	s_cbranch_execz .LBB4_5773
; %bb.5770:                             ;   in Loop: Header=BB4_5454 Depth=2
	v_and_b32_e32 v1, 0x7f, v2
	v_cmp_ne_u32_e32 vcc, s68, v1
	v_mov_b32_e32 v3, 0x7f800001
	s_and_saveexec_b64 s[54:55], vcc
	s_cbranch_execz .LBB4_5772
; %bb.5771:                             ;   in Loop: Header=BB4_5454 Depth=2
	v_and_b32_e32 v15, 7, v2
	v_ffbh_u32_e32 v3, v15
	v_min_u32_e32 v18, 32, v3
	v_subrev_u32_e32 v3, 28, v18
	v_lshlrev_b64 v[2:3], v3, v[2:3]
	v_lshrrev_b32_e32 v16, 3, v1
	v_sub_u32_e32 v3, 29, v18
	v_and_b32_e32 v2, 7, v2
	v_cmp_gt_u32_e32 vcc, 8, v1
	v_cndmask_b32_e32 v1, v16, v3, vcc
	v_cndmask_b32_e32 v2, v15, v2, vcc
	v_lshlrev_b32_e32 v3, 16, v10
	v_lshlrev_b32_e32 v2, 20, v2
	v_and_b32_e32 v3, 0x80000000, v3
	v_lshl_add_u32 v1, v1, 23, v47
	v_or3_b32 v3, v3, v1, v2
.LBB4_5772:                             ;   in Loop: Header=BB4_5454 Depth=2
	s_or_b64 exec, exec, s[54:55]
.LBB4_5773:                             ;   in Loop: Header=BB4_5454 Depth=2
	s_or_b64 exec, exec, s[52:53]
.LBB4_5774:                             ;   in Loop: Header=BB4_5454 Depth=2
	s_or_b64 exec, exec, s[20:21]
	v_mul_f32_e32 v2, v5, v3
	v_and_b32_sdwa v15, v2, s69 dst_sel:DWORD dst_unused:UNUSED_PAD src0_sel:BYTE_3 src1_sel:DWORD
	v_and_b32_e32 v38, 0x7f800000, v2
	v_mov_b32_e32 v39, v17
	v_and_b32_e32 v16, 0x7fffff, v2
	v_or_b32_e32 v58, 0x7e, v15
	v_cmp_ne_u64_e32 vcc, s[38:39], v[38:39]
	s_and_saveexec_b64 s[20:21], vcc
	s_xor_b64 s[52:53], exec, s[20:21]
	s_cbranch_execz .LBB4_5784
; %bb.5775:                             ;   in Loop: Header=BB4_5454 Depth=2
	v_and_b32_e32 v38, 0x7fffffff, v2
	v_mov_b32_e32 v39, v17
	v_cmp_gt_u64_e32 vcc, s[40:41], v[38:39]
	s_and_saveexec_b64 s[54:55], vcc
	s_cbranch_execz .LBB4_5783
; %bb.5776:                             ;   in Loop: Header=BB4_5454 Depth=2
	v_cmp_ne_u32_e32 vcc, 0, v2
	v_mov_b32_e32 v58, 0
	s_and_saveexec_b64 s[56:57], vcc
	s_cbranch_execz .LBB4_5782
; %bb.5777:                             ;   in Loop: Header=BB4_5454 Depth=2
	v_bfe_u32 v1, v2, 23, 8
	v_sub_u32_e32 v3, 0x79, v1
	v_cmp_gt_u32_e32 vcc, s70, v1
	v_cndmask_b32_e32 v3, 0, v3, vcc
	v_cmp_eq_u32_e32 vcc, 0, v1
	v_add_u32_e32 v2, 0xffffff81, v1
	v_cndmask_b32_e32 v20, v3, v37, vcc
	v_or_b32_e32 v18, 0x800000, v16
	v_cndmask_b32_e32 v1, v2, v14, vcc
	v_add_u32_e32 v2, 20, v20
	v_cndmask_b32_e32 v16, v18, v16, vcc
	v_lshlrev_b64 v[2:3], v2, -1
	v_not_b32_e32 v2, v2
	v_lshrrev_b64 v[50:51], v20, v[16:17]
	v_not_b32_e32 v3, v3
	v_and_b32_e32 v2, v16, v2
	v_add_u32_e32 v18, 19, v20
	v_lshrrev_b32_e32 v16, 23, v50
	v_and_b32_e32 v3, 0, v3
	v_lshlrev_b64 v[38:39], v18, 1
	v_add3_u32 v20, v20, v1, v16
	v_bfe_u32 v1, v50, 20, 1
	v_add_u32_e32 v1, -1, v1
	v_cmp_eq_u64_e32 vcc, v[2:3], v[38:39]
	v_cndmask_b32_e32 v1, 0, v1, vcc
	v_add_u32_e32 v1, v1, v50
	v_and_b32_e32 v1, 0xfffff, v1
	v_add_co_u32_e32 v2, vcc, v1, v50
	v_add_u32_e32 v18, 6, v20
	v_addc_co_u32_e32 v3, vcc, 0, v51, vcc
	v_cmp_ne_u32_e32 vcc, 0, v18
                                        ; implicit-def: $vgpr16
	s_and_saveexec_b64 s[20:21], vcc
	s_xor_b64 s[20:21], exec, s[20:21]
; %bb.5778:                             ;   in Loop: Header=BB4_5454 Depth=2
	v_add_u32_e32 v1, 7, v20
	v_cmp_lt_u64_e32 vcc, s[44:45], v[2:3]
	v_cndmask_b32_e32 v16, v18, v1, vcc
	v_cndmask_b32_e64 v1, 0, 1, vcc
	v_lshrrev_b64 v[2:3], v1, v[2:3]
; %bb.5779:                             ;   in Loop: Header=BB4_5454 Depth=2
	s_andn2_saveexec_b64 s[20:21], s[20:21]
; %bb.5780:                             ;   in Loop: Header=BB4_5454 Depth=2
	v_bfe_u32 v16, v2, 23, 1
; %bb.5781:                             ;   in Loop: Header=BB4_5454 Depth=2
	s_or_b64 exec, exec, s[20:21]
	v_lshrrev_b64 v[2:3], 20, v[2:3]
	v_cmp_gt_i32_e32 vcc, 16, v16
	v_cndmask_b32_e32 v3, 0, v3, vcc
	v_cndmask_b32_e32 v2, 7, v2, vcc
	v_min_i32_e32 v1, 15, v16
	v_cmp_eq_u32_e32 vcc, 0, v16
	v_cmp_eq_u64_e64 s[20:21], 0, v[2:3]
	v_lshlrev_b32_e32 v1, 3, v1
	v_and_or_b32 v1, v2, 7, v1
	s_and_b64 s[20:21], vcc, s[20:21]
	v_cndmask_b32_e64 v1, v1, 0, s[20:21]
	v_or_b32_e32 v58, v1, v15
.LBB4_5782:                             ;   in Loop: Header=BB4_5454 Depth=2
	s_or_b64 exec, exec, s[56:57]
.LBB4_5783:                             ;   in Loop: Header=BB4_5454 Depth=2
	s_or_b64 exec, exec, s[54:55]
                                        ; implicit-def: $vgpr2
.LBB4_5784:                             ;   in Loop: Header=BB4_5454 Depth=2
	s_andn2_saveexec_b64 s[20:21], s[52:53]
; %bb.5785:                             ;   in Loop: Header=BB4_5454 Depth=2
	v_or_b32_sdwa v1, v2, s68 dst_sel:DWORD dst_unused:UNUSED_PAD src0_sel:BYTE_3 src1_sel:DWORD
	v_cmp_eq_u64_e32 vcc, 0, v[16:17]
	v_cndmask_b32_e32 v58, v1, v58, vcc
; %bb.5786:                             ;   in Loop: Header=BB4_5454 Depth=2
	s_or_b64 exec, exec, s[20:21]
	v_lshrrev_b32_e32 v2, 16, v10
	v_cmp_ne_u16_sdwa vcc, v2, v17 src0_sel:BYTE_0 src1_sel:DWORD
	v_mov_b32_e32 v3, 0
	s_and_saveexec_b64 s[20:21], vcc
	s_cbranch_execz .LBB4_5792
; %bb.5787:                             ;   in Loop: Header=BB4_5454 Depth=2
	v_cmp_ne_u16_sdwa vcc, v2, s69 src0_sel:BYTE_0 src1_sel:DWORD
	v_bfrev_b32_e32 v3, 1
	s_and_saveexec_b64 s[52:53], vcc
	s_cbranch_execz .LBB4_5791
; %bb.5788:                             ;   in Loop: Header=BB4_5454 Depth=2
	v_bfe_u32 v1, v10, 16, 7
	v_cmp_ne_u32_e32 vcc, s68, v1
	v_mov_b32_e32 v3, 0x7f800001
	s_and_saveexec_b64 s[54:55], vcc
	s_cbranch_execz .LBB4_5790
; %bb.5789:                             ;   in Loop: Header=BB4_5454 Depth=2
	v_and_b32_e32 v3, 7, v2
	v_ffbh_u32_e32 v16, v3
	v_min_u32_e32 v16, 32, v16
	v_subrev_u32_e32 v18, 28, v16
	v_lshlrev_b64 v[38:39], v18, v[2:3]
	v_lshrrev_b32_e32 v15, 3, v1
	v_sub_u32_e32 v16, 29, v16
	v_and_b32_e32 v18, 7, v38
	v_cmp_gt_u32_e32 vcc, 8, v1
	v_cndmask_b32_e32 v1, v15, v16, vcc
	v_cndmask_b32_e32 v3, v3, v18, vcc
	v_lshlrev_b32_e32 v2, 24, v2
	v_lshlrev_b32_e32 v3, 20, v3
	v_and_b32_e32 v2, 0x80000000, v2
	v_lshl_add_u32 v1, v1, 23, v47
	v_or3_b32 v3, v2, v1, v3
.LBB4_5790:                             ;   in Loop: Header=BB4_5454 Depth=2
	s_or_b64 exec, exec, s[54:55]
.LBB4_5791:                             ;   in Loop: Header=BB4_5454 Depth=2
	s_or_b64 exec, exec, s[52:53]
.LBB4_5792:                             ;   in Loop: Header=BB4_5454 Depth=2
	s_or_b64 exec, exec, s[20:21]
	v_mul_f32_e32 v2, v5, v3
	v_and_b32_sdwa v15, v2, s69 dst_sel:DWORD dst_unused:UNUSED_PAD src0_sel:BYTE_3 src1_sel:DWORD
	v_and_b32_e32 v38, 0x7f800000, v2
	v_mov_b32_e32 v39, v17
	v_and_b32_e32 v16, 0x7fffff, v2
	v_or_b32_e32 v60, 0x7e, v15
	v_cmp_ne_u64_e32 vcc, s[38:39], v[38:39]
	s_and_saveexec_b64 s[20:21], vcc
	s_xor_b64 s[52:53], exec, s[20:21]
	s_cbranch_execz .LBB4_5802
; %bb.5793:                             ;   in Loop: Header=BB4_5454 Depth=2
	v_and_b32_e32 v38, 0x7fffffff, v2
	v_mov_b32_e32 v39, v17
	v_cmp_gt_u64_e32 vcc, s[40:41], v[38:39]
	s_and_saveexec_b64 s[54:55], vcc
	s_cbranch_execz .LBB4_5801
; %bb.5794:                             ;   in Loop: Header=BB4_5454 Depth=2
	v_cmp_ne_u32_e32 vcc, 0, v2
	v_mov_b32_e32 v60, 0
	s_and_saveexec_b64 s[56:57], vcc
	s_cbranch_execz .LBB4_5800
; %bb.5795:                             ;   in Loop: Header=BB4_5454 Depth=2
	v_bfe_u32 v1, v2, 23, 8
	v_sub_u32_e32 v3, 0x79, v1
	v_cmp_gt_u32_e32 vcc, s70, v1
	v_cndmask_b32_e32 v3, 0, v3, vcc
	v_cmp_eq_u32_e32 vcc, 0, v1
	v_add_u32_e32 v2, 0xffffff81, v1
	v_cndmask_b32_e32 v20, v3, v37, vcc
	v_or_b32_e32 v18, 0x800000, v16
	v_cndmask_b32_e32 v1, v2, v14, vcc
	v_add_u32_e32 v2, 20, v20
	v_cndmask_b32_e32 v16, v18, v16, vcc
	v_lshlrev_b64 v[2:3], v2, -1
	v_not_b32_e32 v2, v2
	v_lshrrev_b64 v[50:51], v20, v[16:17]
	v_not_b32_e32 v3, v3
	v_and_b32_e32 v2, v16, v2
	v_add_u32_e32 v18, 19, v20
	v_lshrrev_b32_e32 v16, 23, v50
	v_and_b32_e32 v3, 0, v3
	v_lshlrev_b64 v[38:39], v18, 1
	v_add3_u32 v20, v20, v1, v16
	v_bfe_u32 v1, v50, 20, 1
	v_add_u32_e32 v1, -1, v1
	v_cmp_eq_u64_e32 vcc, v[2:3], v[38:39]
	v_cndmask_b32_e32 v1, 0, v1, vcc
	v_add_u32_e32 v1, v1, v50
	v_and_b32_e32 v1, 0xfffff, v1
	v_add_co_u32_e32 v2, vcc, v1, v50
	v_add_u32_e32 v18, 6, v20
	v_addc_co_u32_e32 v3, vcc, 0, v51, vcc
	v_cmp_ne_u32_e32 vcc, 0, v18
                                        ; implicit-def: $vgpr16
	s_and_saveexec_b64 s[20:21], vcc
	s_xor_b64 s[20:21], exec, s[20:21]
; %bb.5796:                             ;   in Loop: Header=BB4_5454 Depth=2
	v_add_u32_e32 v1, 7, v20
	v_cmp_lt_u64_e32 vcc, s[44:45], v[2:3]
	v_cndmask_b32_e32 v16, v18, v1, vcc
	v_cndmask_b32_e64 v1, 0, 1, vcc
	v_lshrrev_b64 v[2:3], v1, v[2:3]
; %bb.5797:                             ;   in Loop: Header=BB4_5454 Depth=2
	s_andn2_saveexec_b64 s[20:21], s[20:21]
; %bb.5798:                             ;   in Loop: Header=BB4_5454 Depth=2
	v_bfe_u32 v16, v2, 23, 1
; %bb.5799:                             ;   in Loop: Header=BB4_5454 Depth=2
	s_or_b64 exec, exec, s[20:21]
	v_lshrrev_b64 v[2:3], 20, v[2:3]
	v_cmp_gt_i32_e32 vcc, 16, v16
	v_cndmask_b32_e32 v3, 0, v3, vcc
	v_cndmask_b32_e32 v2, 7, v2, vcc
	v_min_i32_e32 v1, 15, v16
	v_cmp_eq_u32_e32 vcc, 0, v16
	v_cmp_eq_u64_e64 s[20:21], 0, v[2:3]
	v_lshlrev_b32_e32 v1, 3, v1
	v_and_or_b32 v1, v2, 7, v1
	s_and_b64 s[20:21], vcc, s[20:21]
	v_cndmask_b32_e64 v1, v1, 0, s[20:21]
	v_or_b32_e32 v60, v1, v15
.LBB4_5800:                             ;   in Loop: Header=BB4_5454 Depth=2
	s_or_b64 exec, exec, s[56:57]
.LBB4_5801:                             ;   in Loop: Header=BB4_5454 Depth=2
	s_or_b64 exec, exec, s[54:55]
                                        ; implicit-def: $vgpr2
.LBB4_5802:                             ;   in Loop: Header=BB4_5454 Depth=2
	s_andn2_saveexec_b64 s[20:21], s[52:53]
; %bb.5803:                             ;   in Loop: Header=BB4_5454 Depth=2
	v_or_b32_sdwa v1, v2, s68 dst_sel:DWORD dst_unused:UNUSED_PAD src0_sel:BYTE_3 src1_sel:DWORD
	v_cmp_eq_u64_e32 vcc, 0, v[16:17]
	v_cndmask_b32_e32 v60, v1, v60, vcc
; %bb.5804:                             ;   in Loop: Header=BB4_5454 Depth=2
	s_or_b64 exec, exec, s[20:21]
	v_cmp_lt_u32_e32 vcc, s43, v10
	v_mov_b32_e32 v3, 0
	s_and_saveexec_b64 s[20:21], vcc
	s_cbranch_execz .LBB4_5810
; %bb.5805:                             ;   in Loop: Header=BB4_5454 Depth=2
	v_lshrrev_b32_e32 v2, 24, v10
	v_cmp_ne_u32_e32 vcc, s69, v2
	v_bfrev_b32_e32 v3, 1
	s_and_saveexec_b64 s[52:53], vcc
	s_cbranch_execz .LBB4_5809
; %bb.5806:                             ;   in Loop: Header=BB4_5454 Depth=2
	v_bfe_u32 v1, v10, 24, 7
	v_cmp_ne_u32_e32 vcc, s68, v1
	v_mov_b32_e32 v3, 0x7f800001
	s_and_saveexec_b64 s[54:55], vcc
	s_cbranch_execz .LBB4_5808
; %bb.5807:                             ;   in Loop: Header=BB4_5454 Depth=2
	v_and_b32_e32 v3, 7, v2
	v_ffbh_u32_e32 v16, v3
	v_min_u32_e32 v16, 32, v16
	v_subrev_u32_e32 v18, 28, v16
	v_lshlrev_b64 v[38:39], v18, v[2:3]
	v_lshrrev_b32_e32 v15, 3, v1
	v_sub_u32_e32 v16, 29, v16
	v_and_b32_e32 v18, 7, v38
	v_cmp_gt_u32_e32 vcc, 8, v1
	v_cndmask_b32_e32 v1, v15, v16, vcc
	v_cndmask_b32_e32 v3, v3, v18, vcc
	v_lshlrev_b32_e32 v2, 24, v2
	v_lshlrev_b32_e32 v3, 20, v3
	v_and_b32_e32 v2, 0x80000000, v2
	v_lshl_add_u32 v1, v1, 23, v47
	v_or3_b32 v3, v2, v1, v3
.LBB4_5808:                             ;   in Loop: Header=BB4_5454 Depth=2
	s_or_b64 exec, exec, s[54:55]
.LBB4_5809:                             ;   in Loop: Header=BB4_5454 Depth=2
	s_or_b64 exec, exec, s[52:53]
.LBB4_5810:                             ;   in Loop: Header=BB4_5454 Depth=2
	s_or_b64 exec, exec, s[20:21]
	v_mul_f32_e32 v2, v5, v3
	v_and_b32_sdwa v15, v2, s69 dst_sel:DWORD dst_unused:UNUSED_PAD src0_sel:BYTE_3 src1_sel:DWORD
	v_and_b32_e32 v38, 0x7f800000, v2
	v_mov_b32_e32 v39, v17
	v_and_b32_e32 v16, 0x7fffff, v2
	v_or_b32_e32 v61, 0x7e, v15
	v_cmp_ne_u64_e32 vcc, s[38:39], v[38:39]
	s_and_saveexec_b64 s[20:21], vcc
	s_xor_b64 s[52:53], exec, s[20:21]
	s_cbranch_execz .LBB4_5820
; %bb.5811:                             ;   in Loop: Header=BB4_5454 Depth=2
	v_and_b32_e32 v38, 0x7fffffff, v2
	v_mov_b32_e32 v39, v17
	v_cmp_gt_u64_e32 vcc, s[40:41], v[38:39]
	s_and_saveexec_b64 s[54:55], vcc
	s_cbranch_execz .LBB4_5819
; %bb.5812:                             ;   in Loop: Header=BB4_5454 Depth=2
	v_cmp_ne_u32_e32 vcc, 0, v2
	v_mov_b32_e32 v61, 0
	s_and_saveexec_b64 s[56:57], vcc
	s_cbranch_execz .LBB4_5818
; %bb.5813:                             ;   in Loop: Header=BB4_5454 Depth=2
	v_bfe_u32 v1, v2, 23, 8
	v_sub_u32_e32 v3, 0x79, v1
	v_cmp_gt_u32_e32 vcc, s70, v1
	v_cndmask_b32_e32 v3, 0, v3, vcc
	v_cmp_eq_u32_e32 vcc, 0, v1
	v_add_u32_e32 v2, 0xffffff81, v1
	v_cndmask_b32_e32 v20, v3, v37, vcc
	v_or_b32_e32 v18, 0x800000, v16
	v_cndmask_b32_e32 v1, v2, v14, vcc
	v_add_u32_e32 v2, 20, v20
	v_cndmask_b32_e32 v16, v18, v16, vcc
	v_lshlrev_b64 v[2:3], v2, -1
	v_not_b32_e32 v2, v2
	v_lshrrev_b64 v[50:51], v20, v[16:17]
	v_not_b32_e32 v3, v3
	v_and_b32_e32 v2, v16, v2
	v_add_u32_e32 v18, 19, v20
	v_lshrrev_b32_e32 v16, 23, v50
	v_and_b32_e32 v3, 0, v3
	v_lshlrev_b64 v[38:39], v18, 1
	v_add3_u32 v20, v20, v1, v16
	v_bfe_u32 v1, v50, 20, 1
	v_add_u32_e32 v1, -1, v1
	v_cmp_eq_u64_e32 vcc, v[2:3], v[38:39]
	v_cndmask_b32_e32 v1, 0, v1, vcc
	v_add_u32_e32 v1, v1, v50
	v_and_b32_e32 v1, 0xfffff, v1
	v_add_co_u32_e32 v2, vcc, v1, v50
	v_add_u32_e32 v18, 6, v20
	v_addc_co_u32_e32 v3, vcc, 0, v51, vcc
	v_cmp_ne_u32_e32 vcc, 0, v18
                                        ; implicit-def: $vgpr16
	s_and_saveexec_b64 s[20:21], vcc
	s_xor_b64 s[20:21], exec, s[20:21]
; %bb.5814:                             ;   in Loop: Header=BB4_5454 Depth=2
	v_add_u32_e32 v1, 7, v20
	v_cmp_lt_u64_e32 vcc, s[44:45], v[2:3]
	v_cndmask_b32_e32 v16, v18, v1, vcc
	v_cndmask_b32_e64 v1, 0, 1, vcc
	v_lshrrev_b64 v[2:3], v1, v[2:3]
; %bb.5815:                             ;   in Loop: Header=BB4_5454 Depth=2
	s_andn2_saveexec_b64 s[20:21], s[20:21]
; %bb.5816:                             ;   in Loop: Header=BB4_5454 Depth=2
	v_bfe_u32 v16, v2, 23, 1
; %bb.5817:                             ;   in Loop: Header=BB4_5454 Depth=2
	s_or_b64 exec, exec, s[20:21]
	v_lshrrev_b64 v[2:3], 20, v[2:3]
	v_cmp_gt_i32_e32 vcc, 16, v16
	v_cndmask_b32_e32 v3, 0, v3, vcc
	v_cndmask_b32_e32 v2, 7, v2, vcc
	v_min_i32_e32 v1, 15, v16
	v_cmp_eq_u32_e32 vcc, 0, v16
	v_cmp_eq_u64_e64 s[20:21], 0, v[2:3]
	v_lshlrev_b32_e32 v1, 3, v1
	v_and_or_b32 v1, v2, 7, v1
	s_and_b64 s[20:21], vcc, s[20:21]
	v_cndmask_b32_e64 v1, v1, 0, s[20:21]
	v_or_b32_e32 v61, v1, v15
.LBB4_5818:                             ;   in Loop: Header=BB4_5454 Depth=2
	s_or_b64 exec, exec, s[56:57]
.LBB4_5819:                             ;   in Loop: Header=BB4_5454 Depth=2
	s_or_b64 exec, exec, s[54:55]
                                        ; implicit-def: $vgpr2
.LBB4_5820:                             ;   in Loop: Header=BB4_5454 Depth=2
	s_andn2_saveexec_b64 s[20:21], s[52:53]
; %bb.5821:                             ;   in Loop: Header=BB4_5454 Depth=2
	v_or_b32_sdwa v1, v2, s68 dst_sel:DWORD dst_unused:UNUSED_PAD src0_sel:BYTE_3 src1_sel:DWORD
	v_cmp_eq_u64_e32 vcc, 0, v[16:17]
	v_cndmask_b32_e32 v61, v1, v61, vcc
; %bb.5822:                             ;   in Loop: Header=BB4_5454 Depth=2
	s_or_b64 exec, exec, s[20:21]
	v_mov_b32_e32 v16, v11
	v_cmp_ne_u16_sdwa vcc, v11, v17 src0_sel:BYTE_0 src1_sel:DWORD
	v_mov_b32_e32 v2, 0
	s_and_saveexec_b64 s[20:21], vcc
	s_cbranch_execz .LBB4_5828
; %bb.5823:                             ;   in Loop: Header=BB4_5454 Depth=2
	v_cmp_ne_u16_sdwa vcc, v11, s69 src0_sel:BYTE_0 src1_sel:DWORD
	v_bfrev_b32_e32 v2, 1
	s_and_saveexec_b64 s[52:53], vcc
	s_cbranch_execz .LBB4_5827
; %bb.5824:                             ;   in Loop: Header=BB4_5454 Depth=2
	v_and_b32_e32 v1, 0x7f, v11
	v_cmp_ne_u32_e32 vcc, s68, v1
	v_mov_b32_e32 v2, 0x7f800001
	s_and_saveexec_b64 s[54:55], vcc
	s_cbranch_execz .LBB4_5826
; %bb.5825:                             ;   in Loop: Header=BB4_5454 Depth=2
	v_and_b32_e32 v2, 7, v11
	v_ffbh_u32_e32 v2, v2
	v_min_u32_e32 v2, 32, v2
	v_lshrrev_b32_e32 v3, 3, v1
	v_subrev_u32_e32 v15, 28, v2
	v_sub_u32_e32 v2, 29, v2
	v_cmp_gt_u32_e32 vcc, 8, v1
	v_cndmask_b32_e32 v1, v3, v2, vcc
	v_cndmask_b32_e32 v2, 0, v15, vcc
	v_lshlrev_b64 v[2:3], v2, v[16:17]
	v_lshlrev_b32_e32 v2, 20, v2
	v_lshlrev_b32_e32 v3, 24, v16
	v_and_b32_e32 v2, 0x700000, v2
	v_and_b32_e32 v3, 0x80000000, v3
	v_lshl_add_u32 v1, v1, 23, v47
	v_or3_b32 v2, v3, v1, v2
.LBB4_5826:                             ;   in Loop: Header=BB4_5454 Depth=2
	s_or_b64 exec, exec, s[54:55]
.LBB4_5827:                             ;   in Loop: Header=BB4_5454 Depth=2
	s_or_b64 exec, exec, s[52:53]
.LBB4_5828:                             ;   in Loop: Header=BB4_5454 Depth=2
	s_or_b64 exec, exec, s[20:21]
	v_mul_f32_e32 v18, v5, v2
	v_and_b32_sdwa v15, v18, s69 dst_sel:DWORD dst_unused:UNUSED_PAD src0_sel:BYTE_3 src1_sel:DWORD
	v_and_b32_e32 v38, 0x7f800000, v18
	v_mov_b32_e32 v39, v17
	v_and_b32_e32 v2, 0x7fffff, v18
	v_mov_b32_e32 v3, v17
	v_or_b32_e32 v62, 0x7e, v15
	v_cmp_ne_u64_e32 vcc, s[38:39], v[38:39]
	s_and_saveexec_b64 s[20:21], vcc
	s_xor_b64 s[52:53], exec, s[20:21]
	s_cbranch_execz .LBB4_5838
; %bb.5829:                             ;   in Loop: Header=BB4_5454 Depth=2
	v_and_b32_e32 v38, 0x7fffffff, v18
	v_mov_b32_e32 v39, v17
	v_cmp_gt_u64_e32 vcc, s[40:41], v[38:39]
	s_and_saveexec_b64 s[54:55], vcc
	s_cbranch_execz .LBB4_5837
; %bb.5830:                             ;   in Loop: Header=BB4_5454 Depth=2
	v_cmp_ne_u32_e32 vcc, 0, v18
	v_mov_b32_e32 v62, 0
	s_and_saveexec_b64 s[56:57], vcc
	s_cbranch_execz .LBB4_5836
; %bb.5831:                             ;   in Loop: Header=BB4_5454 Depth=2
	v_bfe_u32 v1, v18, 23, 8
	v_sub_u32_e32 v20, 0x79, v1
	v_cmp_gt_u32_e32 vcc, s70, v1
	v_add_u32_e32 v18, 0xffffff81, v1
	v_cndmask_b32_e32 v20, 0, v20, vcc
	v_cmp_eq_u32_e32 vcc, 0, v1
	v_cndmask_b32_e32 v1, v18, v14, vcc
	v_cndmask_b32_e32 v18, v20, v37, vcc
	v_add_u32_e32 v20, 20, v18
	v_or_b32_e32 v21, 0x800000, v2
	v_lshlrev_b64 v[38:39], v20, -1
	v_cndmask_b32_e32 v2, v21, v2, vcc
	v_not_b32_e32 v20, v39
	v_not_b32_e32 v21, v38
	v_and_b32_e32 v39, 0, v20
	v_and_b32_e32 v38, v2, v21
	v_add_u32_e32 v20, 19, v18
	v_lshrrev_b64 v[2:3], v18, v[2:3]
	v_lshlrev_b64 v[50:51], v20, 1
	v_lshrrev_b32_e32 v20, 23, v2
	v_add3_u32 v36, v18, v1, v20
	v_bfe_u32 v1, v2, 20, 1
	v_add_u32_e32 v1, -1, v1
	v_cmp_eq_u64_e32 vcc, v[38:39], v[50:51]
	v_cndmask_b32_e32 v1, 0, v1, vcc
	v_add_u32_e32 v1, v1, v2
	v_and_b32_e32 v1, 0xfffff, v1
	v_add_co_u32_e32 v2, vcc, v1, v2
	v_add_u32_e32 v20, 6, v36
	v_addc_co_u32_e32 v3, vcc, 0, v3, vcc
	v_cmp_ne_u32_e32 vcc, 0, v20
                                        ; implicit-def: $vgpr18
	s_and_saveexec_b64 s[20:21], vcc
	s_xor_b64 s[20:21], exec, s[20:21]
; %bb.5832:                             ;   in Loop: Header=BB4_5454 Depth=2
	v_add_u32_e32 v1, 7, v36
	v_cmp_lt_u64_e32 vcc, s[44:45], v[2:3]
	v_cndmask_b32_e32 v18, v20, v1, vcc
	v_cndmask_b32_e64 v1, 0, 1, vcc
	v_lshrrev_b64 v[2:3], v1, v[2:3]
; %bb.5833:                             ;   in Loop: Header=BB4_5454 Depth=2
	s_andn2_saveexec_b64 s[20:21], s[20:21]
; %bb.5834:                             ;   in Loop: Header=BB4_5454 Depth=2
	v_bfe_u32 v18, v2, 23, 1
; %bb.5835:                             ;   in Loop: Header=BB4_5454 Depth=2
	s_or_b64 exec, exec, s[20:21]
	v_lshrrev_b64 v[2:3], 20, v[2:3]
	v_cmp_gt_i32_e32 vcc, 16, v18
	v_cndmask_b32_e32 v3, 0, v3, vcc
	v_cndmask_b32_e32 v2, 7, v2, vcc
	v_min_i32_e32 v1, 15, v18
	v_cmp_eq_u32_e32 vcc, 0, v18
	v_cmp_eq_u64_e64 s[20:21], 0, v[2:3]
	v_lshlrev_b32_e32 v1, 3, v1
	v_and_or_b32 v1, v2, 7, v1
	s_and_b64 s[20:21], vcc, s[20:21]
	v_cndmask_b32_e64 v1, v1, 0, s[20:21]
	v_or_b32_e32 v62, v1, v15
.LBB4_5836:                             ;   in Loop: Header=BB4_5454 Depth=2
	s_or_b64 exec, exec, s[56:57]
.LBB4_5837:                             ;   in Loop: Header=BB4_5454 Depth=2
	s_or_b64 exec, exec, s[54:55]
                                        ; implicit-def: $vgpr18
                                        ; implicit-def: $vgpr2_vgpr3
.LBB4_5838:                             ;   in Loop: Header=BB4_5454 Depth=2
	s_andn2_saveexec_b64 s[20:21], s[52:53]
; %bb.5839:                             ;   in Loop: Header=BB4_5454 Depth=2
	v_or_b32_sdwa v1, v18, s68 dst_sel:DWORD dst_unused:UNUSED_PAD src0_sel:BYTE_3 src1_sel:DWORD
	v_cmp_eq_u64_e32 vcc, 0, v[2:3]
	v_cndmask_b32_e32 v62, v1, v62, vcc
; %bb.5840:                             ;   in Loop: Header=BB4_5454 Depth=2
	s_or_b64 exec, exec, s[20:21]
	v_lshrrev_b16_e32 v2, 8, v16
	v_cmp_ne_u16_e32 vcc, 0, v2
	v_mov_b32_e32 v3, 0
	s_and_saveexec_b64 s[20:21], vcc
	s_cbranch_execz .LBB4_5846
; %bb.5841:                             ;   in Loop: Header=BB4_5454 Depth=2
	v_cmp_ne_u16_e32 vcc, s69, v2
	v_bfrev_b32_e32 v3, 1
	s_and_saveexec_b64 s[52:53], vcc
	s_cbranch_execz .LBB4_5845
; %bb.5842:                             ;   in Loop: Header=BB4_5454 Depth=2
	v_and_b32_e32 v1, 0x7f, v2
	v_cmp_ne_u32_e32 vcc, s68, v1
	v_mov_b32_e32 v3, 0x7f800001
	s_and_saveexec_b64 s[54:55], vcc
	s_cbranch_execz .LBB4_5844
; %bb.5843:                             ;   in Loop: Header=BB4_5454 Depth=2
	v_and_b32_e32 v15, 7, v2
	v_ffbh_u32_e32 v3, v15
	v_min_u32_e32 v20, 32, v3
	v_subrev_u32_e32 v3, 28, v20
	v_lshlrev_b64 v[2:3], v3, v[2:3]
	v_lshrrev_b32_e32 v18, 3, v1
	v_sub_u32_e32 v3, 29, v20
	v_and_b32_e32 v2, 7, v2
	v_cmp_gt_u32_e32 vcc, 8, v1
	v_cndmask_b32_e32 v1, v18, v3, vcc
	v_cndmask_b32_e32 v2, v15, v2, vcc
	v_lshlrev_b32_e32 v3, 16, v16
	v_lshlrev_b32_e32 v2, 20, v2
	v_and_b32_e32 v3, 0x80000000, v3
	v_lshl_add_u32 v1, v1, 23, v47
	v_or3_b32 v3, v3, v1, v2
.LBB4_5844:                             ;   in Loop: Header=BB4_5454 Depth=2
	s_or_b64 exec, exec, s[54:55]
.LBB4_5845:                             ;   in Loop: Header=BB4_5454 Depth=2
	s_or_b64 exec, exec, s[52:53]
.LBB4_5846:                             ;   in Loop: Header=BB4_5454 Depth=2
	s_or_b64 exec, exec, s[20:21]
	v_mul_f32_e32 v2, v5, v3
	v_and_b32_sdwa v15, v2, s69 dst_sel:DWORD dst_unused:UNUSED_PAD src0_sel:BYTE_3 src1_sel:DWORD
	v_and_b32_e32 v38, 0x7f800000, v2
	v_mov_b32_e32 v39, v17
	v_and_b32_e32 v16, 0x7fffff, v2
	v_or_b32_e32 v46, 0x7e, v15
	v_cmp_ne_u64_e32 vcc, s[38:39], v[38:39]
	s_and_saveexec_b64 s[20:21], vcc
	s_xor_b64 s[52:53], exec, s[20:21]
	s_cbranch_execz .LBB4_5856
; %bb.5847:                             ;   in Loop: Header=BB4_5454 Depth=2
	v_and_b32_e32 v38, 0x7fffffff, v2
	v_mov_b32_e32 v39, v17
	v_cmp_gt_u64_e32 vcc, s[40:41], v[38:39]
	s_and_saveexec_b64 s[54:55], vcc
	s_cbranch_execz .LBB4_5855
; %bb.5848:                             ;   in Loop: Header=BB4_5454 Depth=2
	v_cmp_ne_u32_e32 vcc, 0, v2
	v_mov_b32_e32 v46, 0
	s_and_saveexec_b64 s[56:57], vcc
	s_cbranch_execz .LBB4_5854
; %bb.5849:                             ;   in Loop: Header=BB4_5454 Depth=2
	v_bfe_u32 v1, v2, 23, 8
	v_sub_u32_e32 v3, 0x79, v1
	v_cmp_gt_u32_e32 vcc, s70, v1
	v_cndmask_b32_e32 v3, 0, v3, vcc
	v_cmp_eq_u32_e32 vcc, 0, v1
	v_add_u32_e32 v2, 0xffffff81, v1
	v_cndmask_b32_e32 v20, v3, v37, vcc
	v_or_b32_e32 v18, 0x800000, v16
	v_cndmask_b32_e32 v1, v2, v14, vcc
	v_add_u32_e32 v2, 20, v20
	v_cndmask_b32_e32 v16, v18, v16, vcc
	v_lshlrev_b64 v[2:3], v2, -1
	v_not_b32_e32 v2, v2
	v_lshrrev_b64 v[50:51], v20, v[16:17]
	v_not_b32_e32 v3, v3
	v_and_b32_e32 v2, v16, v2
	v_add_u32_e32 v18, 19, v20
	v_lshrrev_b32_e32 v16, 23, v50
	v_and_b32_e32 v3, 0, v3
	v_lshlrev_b64 v[38:39], v18, 1
	v_add3_u32 v20, v20, v1, v16
	v_bfe_u32 v1, v50, 20, 1
	v_add_u32_e32 v1, -1, v1
	v_cmp_eq_u64_e32 vcc, v[2:3], v[38:39]
	v_cndmask_b32_e32 v1, 0, v1, vcc
	v_add_u32_e32 v1, v1, v50
	v_and_b32_e32 v1, 0xfffff, v1
	v_add_co_u32_e32 v2, vcc, v1, v50
	v_add_u32_e32 v18, 6, v20
	v_addc_co_u32_e32 v3, vcc, 0, v51, vcc
	v_cmp_ne_u32_e32 vcc, 0, v18
                                        ; implicit-def: $vgpr16
	s_and_saveexec_b64 s[20:21], vcc
	s_xor_b64 s[20:21], exec, s[20:21]
; %bb.5850:                             ;   in Loop: Header=BB4_5454 Depth=2
	v_add_u32_e32 v1, 7, v20
	v_cmp_lt_u64_e32 vcc, s[44:45], v[2:3]
	v_cndmask_b32_e32 v16, v18, v1, vcc
	v_cndmask_b32_e64 v1, 0, 1, vcc
	v_lshrrev_b64 v[2:3], v1, v[2:3]
; %bb.5851:                             ;   in Loop: Header=BB4_5454 Depth=2
	s_andn2_saveexec_b64 s[20:21], s[20:21]
; %bb.5852:                             ;   in Loop: Header=BB4_5454 Depth=2
	v_bfe_u32 v16, v2, 23, 1
; %bb.5853:                             ;   in Loop: Header=BB4_5454 Depth=2
	s_or_b64 exec, exec, s[20:21]
	v_lshrrev_b64 v[2:3], 20, v[2:3]
	v_cmp_gt_i32_e32 vcc, 16, v16
	v_min_i32_e32 v1, 15, v16
	v_cndmask_b32_e32 v3, 0, v3, vcc
	v_cndmask_b32_e32 v2, 7, v2, vcc
	v_lshlrev_b32_e32 v1, 3, v1
	v_cmp_eq_u32_e32 vcc, 0, v16
	v_cmp_eq_u64_e64 s[20:21], 0, v[2:3]
	v_and_b32_e32 v1, 0xf8, v1
	v_and_or_b32 v1, v2, 7, v1
	s_and_b64 s[20:21], vcc, s[20:21]
	v_cndmask_b32_e64 v1, v1, 0, s[20:21]
	v_or_b32_e32 v46, v1, v15
.LBB4_5854:                             ;   in Loop: Header=BB4_5454 Depth=2
	s_or_b64 exec, exec, s[56:57]
.LBB4_5855:                             ;   in Loop: Header=BB4_5454 Depth=2
	s_or_b64 exec, exec, s[54:55]
                                        ; implicit-def: $vgpr2
.LBB4_5856:                             ;   in Loop: Header=BB4_5454 Depth=2
	s_andn2_saveexec_b64 s[20:21], s[52:53]
; %bb.5857:                             ;   in Loop: Header=BB4_5454 Depth=2
	v_or_b32_sdwa v1, v2, s68 dst_sel:DWORD dst_unused:UNUSED_PAD src0_sel:BYTE_3 src1_sel:DWORD
	v_cmp_eq_u64_e32 vcc, 0, v[16:17]
	v_cndmask_b32_e32 v46, v1, v46, vcc
; %bb.5858:                             ;   in Loop: Header=BB4_5454 Depth=2
	s_or_b64 exec, exec, s[20:21]
	v_lshrrev_b32_e32 v2, 16, v11
	v_cmp_ne_u16_sdwa vcc, v2, v17 src0_sel:BYTE_0 src1_sel:DWORD
	v_mov_b32_e32 v3, 0
	s_and_saveexec_b64 s[20:21], vcc
	s_cbranch_execz .LBB4_5864
; %bb.5859:                             ;   in Loop: Header=BB4_5454 Depth=2
	v_cmp_ne_u16_sdwa vcc, v2, s69 src0_sel:BYTE_0 src1_sel:DWORD
	v_bfrev_b32_e32 v3, 1
	s_and_saveexec_b64 s[52:53], vcc
	s_cbranch_execz .LBB4_5863
; %bb.5860:                             ;   in Loop: Header=BB4_5454 Depth=2
	v_bfe_u32 v1, v11, 16, 7
	v_cmp_ne_u32_e32 vcc, s68, v1
	v_mov_b32_e32 v3, 0x7f800001
	s_and_saveexec_b64 s[54:55], vcc
	s_cbranch_execz .LBB4_5862
; %bb.5861:                             ;   in Loop: Header=BB4_5454 Depth=2
	v_and_b32_e32 v3, 7, v2
	v_ffbh_u32_e32 v16, v3
	v_min_u32_e32 v16, 32, v16
	v_subrev_u32_e32 v18, 28, v16
	v_lshlrev_b64 v[38:39], v18, v[2:3]
	v_lshrrev_b32_e32 v15, 3, v1
	v_sub_u32_e32 v16, 29, v16
	v_and_b32_e32 v18, 7, v38
	v_cmp_gt_u32_e32 vcc, 8, v1
	v_cndmask_b32_e32 v1, v15, v16, vcc
	v_cndmask_b32_e32 v3, v3, v18, vcc
	v_lshlrev_b32_e32 v2, 24, v2
	v_lshlrev_b32_e32 v3, 20, v3
	v_and_b32_e32 v2, 0x80000000, v2
	v_lshl_add_u32 v1, v1, 23, v47
	v_or3_b32 v3, v2, v1, v3
.LBB4_5862:                             ;   in Loop: Header=BB4_5454 Depth=2
	s_or_b64 exec, exec, s[54:55]
.LBB4_5863:                             ;   in Loop: Header=BB4_5454 Depth=2
	s_or_b64 exec, exec, s[52:53]
.LBB4_5864:                             ;   in Loop: Header=BB4_5454 Depth=2
	s_or_b64 exec, exec, s[20:21]
	v_mul_f32_e32 v2, v5, v3
	v_and_b32_sdwa v15, v2, s69 dst_sel:DWORD dst_unused:UNUSED_PAD src0_sel:BYTE_3 src1_sel:DWORD
	v_and_b32_e32 v50, 0x7f800000, v2
	v_mov_b32_e32 v51, v17
	v_and_b32_e32 v16, 0x7fffff, v2
	v_or_b32_e32 v38, 0x7e, v15
	v_cmp_ne_u64_e32 vcc, s[38:39], v[50:51]
	s_and_saveexec_b64 s[20:21], vcc
	s_xor_b64 s[52:53], exec, s[20:21]
	s_cbranch_execz .LBB4_5874
; %bb.5865:                             ;   in Loop: Header=BB4_5454 Depth=2
	v_and_b32_e32 v50, 0x7fffffff, v2
	v_mov_b32_e32 v51, v17
	v_cmp_gt_u64_e32 vcc, s[40:41], v[50:51]
	s_and_saveexec_b64 s[54:55], vcc
	s_cbranch_execz .LBB4_5873
; %bb.5866:                             ;   in Loop: Header=BB4_5454 Depth=2
	v_cmp_ne_u32_e32 vcc, 0, v2
	v_mov_b32_e32 v38, 0
	s_and_saveexec_b64 s[56:57], vcc
	s_cbranch_execz .LBB4_5872
; %bb.5867:                             ;   in Loop: Header=BB4_5454 Depth=2
	v_bfe_u32 v1, v2, 23, 8
	v_sub_u32_e32 v3, 0x79, v1
	v_cmp_gt_u32_e32 vcc, s70, v1
	v_cndmask_b32_e32 v3, 0, v3, vcc
	v_cmp_eq_u32_e32 vcc, 0, v1
	v_add_u32_e32 v2, 0xffffff81, v1
	v_cndmask_b32_e32 v20, v3, v37, vcc
	v_or_b32_e32 v18, 0x800000, v16
	v_cndmask_b32_e32 v1, v2, v14, vcc
	v_add_u32_e32 v2, 20, v20
	v_cndmask_b32_e32 v16, v18, v16, vcc
	v_lshlrev_b64 v[2:3], v2, -1
	v_not_b32_e32 v2, v2
	v_lshrrev_b64 v[50:51], v20, v[16:17]
	v_not_b32_e32 v3, v3
	v_and_b32_e32 v2, v16, v2
	v_add_u32_e32 v18, 19, v20
	v_lshrrev_b32_e32 v16, 23, v50
	v_and_b32_e32 v3, 0, v3
	v_lshlrev_b64 v[38:39], v18, 1
	v_add3_u32 v20, v20, v1, v16
	v_bfe_u32 v1, v50, 20, 1
	v_add_u32_e32 v1, -1, v1
	v_cmp_eq_u64_e32 vcc, v[2:3], v[38:39]
	v_cndmask_b32_e32 v1, 0, v1, vcc
	v_add_u32_e32 v1, v1, v50
	v_and_b32_e32 v1, 0xfffff, v1
	v_add_co_u32_e32 v2, vcc, v1, v50
	v_add_u32_e32 v18, 6, v20
	v_addc_co_u32_e32 v3, vcc, 0, v51, vcc
	v_cmp_ne_u32_e32 vcc, 0, v18
                                        ; implicit-def: $vgpr16
	s_and_saveexec_b64 s[20:21], vcc
	s_xor_b64 s[20:21], exec, s[20:21]
; %bb.5868:                             ;   in Loop: Header=BB4_5454 Depth=2
	v_add_u32_e32 v1, 7, v20
	v_cmp_lt_u64_e32 vcc, s[44:45], v[2:3]
	v_cndmask_b32_e32 v16, v18, v1, vcc
	v_cndmask_b32_e64 v1, 0, 1, vcc
	v_lshrrev_b64 v[2:3], v1, v[2:3]
; %bb.5869:                             ;   in Loop: Header=BB4_5454 Depth=2
	s_andn2_saveexec_b64 s[20:21], s[20:21]
; %bb.5870:                             ;   in Loop: Header=BB4_5454 Depth=2
	v_bfe_u32 v16, v2, 23, 1
; %bb.5871:                             ;   in Loop: Header=BB4_5454 Depth=2
	s_or_b64 exec, exec, s[20:21]
	v_lshrrev_b64 v[2:3], 20, v[2:3]
	v_cmp_gt_i32_e32 vcc, 16, v16
	v_min_i32_e32 v1, 15, v16
	v_cndmask_b32_e32 v3, 0, v3, vcc
	v_cndmask_b32_e32 v2, 7, v2, vcc
	v_lshlrev_b32_e32 v1, 3, v1
	v_cmp_eq_u32_e32 vcc, 0, v16
	v_cmp_eq_u64_e64 s[20:21], 0, v[2:3]
	v_and_b32_e32 v1, 0xf8, v1
	v_and_or_b32 v1, v2, 7, v1
	s_and_b64 s[20:21], vcc, s[20:21]
	v_cndmask_b32_e64 v1, v1, 0, s[20:21]
	v_or_b32_e32 v38, v1, v15
.LBB4_5872:                             ;   in Loop: Header=BB4_5454 Depth=2
	s_or_b64 exec, exec, s[56:57]
.LBB4_5873:                             ;   in Loop: Header=BB4_5454 Depth=2
	s_or_b64 exec, exec, s[54:55]
                                        ; implicit-def: $vgpr2
.LBB4_5874:                             ;   in Loop: Header=BB4_5454 Depth=2
	s_andn2_saveexec_b64 s[20:21], s[52:53]
; %bb.5875:                             ;   in Loop: Header=BB4_5454 Depth=2
	v_or_b32_sdwa v1, v2, s68 dst_sel:DWORD dst_unused:UNUSED_PAD src0_sel:BYTE_3 src1_sel:DWORD
	v_cmp_eq_u64_e32 vcc, 0, v[16:17]
	v_cndmask_b32_e32 v38, v1, v38, vcc
; %bb.5876:                             ;   in Loop: Header=BB4_5454 Depth=2
	s_or_b64 exec, exec, s[20:21]
	v_cmp_lt_u64_e32 vcc, s[42:43], v[10:11]
	v_mov_b32_e32 v3, 0
	s_and_saveexec_b64 s[20:21], vcc
	s_cbranch_execz .LBB4_5882
; %bb.5877:                             ;   in Loop: Header=BB4_5454 Depth=2
	v_lshrrev_b32_e32 v2, 24, v11
	v_cmp_ne_u32_e32 vcc, s69, v2
	v_bfrev_b32_e32 v3, 1
	s_and_saveexec_b64 s[52:53], vcc
	s_cbranch_execz .LBB4_5881
; %bb.5878:                             ;   in Loop: Header=BB4_5454 Depth=2
	v_bfe_u32 v1, v11, 24, 7
	v_cmp_ne_u32_e32 vcc, s68, v1
	v_mov_b32_e32 v3, 0x7f800001
	s_and_saveexec_b64 s[54:55], vcc
	s_cbranch_execz .LBB4_5880
; %bb.5879:                             ;   in Loop: Header=BB4_5454 Depth=2
	v_and_b32_e32 v3, 7, v2
	v_ffbh_u32_e32 v10, v3
	v_min_u32_e32 v16, 32, v10
	v_subrev_u32_e32 v10, 28, v16
	v_lshlrev_b64 v[10:11], v10, v[2:3]
	v_lshrrev_b32_e32 v15, 3, v1
	v_sub_u32_e32 v11, 29, v16
	v_and_b32_e32 v10, 7, v10
	v_cmp_gt_u32_e32 vcc, 8, v1
	v_cndmask_b32_e32 v1, v15, v11, vcc
	v_cndmask_b32_e32 v3, v3, v10, vcc
	v_lshlrev_b32_e32 v2, 24, v2
	v_lshlrev_b32_e32 v3, 20, v3
	v_and_b32_e32 v2, 0x80000000, v2
	v_lshl_add_u32 v1, v1, 23, v47
	v_or3_b32 v3, v2, v1, v3
.LBB4_5880:                             ;   in Loop: Header=BB4_5454 Depth=2
	s_or_b64 exec, exec, s[54:55]
.LBB4_5881:                             ;   in Loop: Header=BB4_5454 Depth=2
	s_or_b64 exec, exec, s[52:53]
.LBB4_5882:                             ;   in Loop: Header=BB4_5454 Depth=2
	s_or_b64 exec, exec, s[20:21]
	v_mul_f32_e32 v2, v5, v3
	v_and_b32_sdwa v11, v2, s69 dst_sel:DWORD dst_unused:UNUSED_PAD src0_sel:BYTE_3 src1_sel:DWORD
	v_and_b32_e32 v50, 0x7f800000, v2
	v_mov_b32_e32 v51, v17
	v_and_b32_e32 v16, 0x7fffff, v2
	v_or_b32_e32 v10, 0x7e, v11
	v_cmp_ne_u64_e32 vcc, s[38:39], v[50:51]
	s_and_saveexec_b64 s[20:21], vcc
	s_xor_b64 s[52:53], exec, s[20:21]
	s_cbranch_execz .LBB4_5892
; %bb.5883:                             ;   in Loop: Header=BB4_5454 Depth=2
	v_and_b32_e32 v50, 0x7fffffff, v2
	v_mov_b32_e32 v51, v17
	v_cmp_gt_u64_e32 vcc, s[40:41], v[50:51]
	s_and_saveexec_b64 s[54:55], vcc
	s_cbranch_execz .LBB4_5891
; %bb.5884:                             ;   in Loop: Header=BB4_5454 Depth=2
	v_cmp_ne_u32_e32 vcc, 0, v2
	v_mov_b32_e32 v10, 0
	s_and_saveexec_b64 s[56:57], vcc
	s_cbranch_execz .LBB4_5890
; %bb.5885:                             ;   in Loop: Header=BB4_5454 Depth=2
	v_bfe_u32 v1, v2, 23, 8
	v_sub_u32_e32 v3, 0x79, v1
	v_cmp_gt_u32_e32 vcc, s70, v1
	v_cndmask_b32_e32 v3, 0, v3, vcc
	v_cmp_eq_u32_e32 vcc, 0, v1
	v_add_u32_e32 v2, 0xffffff81, v1
	v_or_b32_e32 v10, 0x800000, v16
	v_cndmask_b32_e32 v15, v3, v37, vcc
	v_cndmask_b32_e32 v1, v2, v14, vcc
	;; [unrolled: 1-line block ×3, first 2 shown]
	v_add_u32_e32 v2, 20, v15
	v_lshlrev_b64 v[2:3], v2, -1
	v_add_u32_e32 v10, 19, v15
	v_lshrrev_b64 v[20:21], v15, v[16:17]
	v_not_b32_e32 v3, v3
	v_not_b32_e32 v2, v2
	v_lshlrev_b64 v[50:51], v10, 1
	v_lshrrev_b32_e32 v10, 23, v20
	v_and_b32_e32 v3, 0, v3
	v_and_b32_e32 v2, v16, v2
	v_add3_u32 v16, v15, v1, v10
	v_bfe_u32 v1, v20, 20, 1
	v_add_u32_e32 v1, -1, v1
	v_cmp_eq_u64_e32 vcc, v[2:3], v[50:51]
	v_cndmask_b32_e32 v1, 0, v1, vcc
	v_add_u32_e32 v1, v1, v20
	v_and_b32_e32 v1, 0xfffff, v1
	v_add_co_u32_e32 v2, vcc, v1, v20
	v_add_u32_e32 v15, 6, v16
	v_addc_co_u32_e32 v3, vcc, 0, v21, vcc
	v_cmp_ne_u32_e32 vcc, 0, v15
                                        ; implicit-def: $vgpr10
	s_and_saveexec_b64 s[20:21], vcc
	s_xor_b64 s[20:21], exec, s[20:21]
; %bb.5886:                             ;   in Loop: Header=BB4_5454 Depth=2
	v_add_u32_e32 v1, 7, v16
	v_cmp_lt_u64_e32 vcc, s[44:45], v[2:3]
	v_cndmask_b32_e32 v10, v15, v1, vcc
	v_cndmask_b32_e64 v1, 0, 1, vcc
	v_lshrrev_b64 v[2:3], v1, v[2:3]
; %bb.5887:                             ;   in Loop: Header=BB4_5454 Depth=2
	s_andn2_saveexec_b64 s[20:21], s[20:21]
; %bb.5888:                             ;   in Loop: Header=BB4_5454 Depth=2
	v_bfe_u32 v10, v2, 23, 1
; %bb.5889:                             ;   in Loop: Header=BB4_5454 Depth=2
	s_or_b64 exec, exec, s[20:21]
	v_lshrrev_b64 v[2:3], 20, v[2:3]
	v_cmp_gt_i32_e32 vcc, 16, v10
	v_min_i32_e32 v1, 15, v10
	v_cndmask_b32_e32 v3, 0, v3, vcc
	v_cndmask_b32_e32 v2, 7, v2, vcc
	v_lshlrev_b32_e32 v1, 3, v1
	v_cmp_eq_u32_e32 vcc, 0, v10
	v_cmp_eq_u64_e64 s[20:21], 0, v[2:3]
	v_and_b32_e32 v1, 0xf8, v1
	v_and_or_b32 v1, v2, 7, v1
	s_and_b64 s[20:21], vcc, s[20:21]
	v_cndmask_b32_e64 v1, v1, 0, s[20:21]
	v_or_b32_e32 v10, v1, v11
.LBB4_5890:                             ;   in Loop: Header=BB4_5454 Depth=2
	s_or_b64 exec, exec, s[56:57]
.LBB4_5891:                             ;   in Loop: Header=BB4_5454 Depth=2
	s_or_b64 exec, exec, s[54:55]
                                        ; implicit-def: $vgpr2
.LBB4_5892:                             ;   in Loop: Header=BB4_5454 Depth=2
	s_andn2_saveexec_b64 s[20:21], s[52:53]
; %bb.5893:                             ;   in Loop: Header=BB4_5454 Depth=2
	v_or_b32_sdwa v1, v2, s68 dst_sel:DWORD dst_unused:UNUSED_PAD src0_sel:BYTE_3 src1_sel:DWORD
	v_cmp_eq_u64_e32 vcc, 0, v[16:17]
	v_cndmask_b32_e32 v10, v1, v10, vcc
; %bb.5894:                             ;   in Loop: Header=BB4_5454 Depth=2
	s_or_b64 exec, exec, s[20:21]
	v_cmp_ne_u16_sdwa vcc, v12, v17 src0_sel:BYTE_0 src1_sel:DWORD
	v_mov_b32_e32 v2, 0
	s_and_saveexec_b64 s[20:21], vcc
	s_cbranch_execz .LBB4_5900
; %bb.5895:                             ;   in Loop: Header=BB4_5454 Depth=2
	v_cmp_ne_u16_sdwa vcc, v12, s69 src0_sel:BYTE_0 src1_sel:DWORD
	v_bfrev_b32_e32 v2, 1
	s_and_saveexec_b64 s[52:53], vcc
	s_cbranch_execz .LBB4_5899
; %bb.5896:                             ;   in Loop: Header=BB4_5454 Depth=2
	v_and_b32_e32 v1, 0x7f, v12
	v_cmp_ne_u32_e32 vcc, s68, v1
	v_mov_b32_e32 v2, 0x7f800001
	s_and_saveexec_b64 s[54:55], vcc
	s_cbranch_execz .LBB4_5898
; %bb.5897:                             ;   in Loop: Header=BB4_5454 Depth=2
	v_and_b32_e32 v2, 7, v12
	v_ffbh_u32_e32 v2, v2
	v_min_u32_e32 v2, 32, v2
	v_lshrrev_b32_e32 v3, 3, v1
	v_subrev_u32_e32 v11, 28, v2
	v_sub_u32_e32 v2, 29, v2
	v_cmp_gt_u32_e32 vcc, 8, v1
	v_cndmask_b32_e32 v1, v3, v2, vcc
	v_cndmask_b32_e32 v2, 0, v11, vcc
	v_lshlrev_b64 v[2:3], v2, v[12:13]
	v_lshlrev_b32_e32 v2, 20, v2
	v_lshlrev_b32_e32 v3, 24, v12
	v_and_b32_e32 v2, 0x700000, v2
	v_and_b32_e32 v3, 0x80000000, v3
	v_lshl_add_u32 v1, v1, 23, v47
	v_or3_b32 v2, v3, v1, v2
.LBB4_5898:                             ;   in Loop: Header=BB4_5454 Depth=2
	s_or_b64 exec, exec, s[54:55]
.LBB4_5899:                             ;   in Loop: Header=BB4_5454 Depth=2
	s_or_b64 exec, exec, s[52:53]
.LBB4_5900:                             ;   in Loop: Header=BB4_5454 Depth=2
	s_or_b64 exec, exec, s[20:21]
	v_mul_f32_e32 v2, v5, v2
	v_and_b32_sdwa v15, v2, s69 dst_sel:DWORD dst_unused:UNUSED_PAD src0_sel:BYTE_3 src1_sel:DWORD
	v_and_b32_e32 v20, 0x7f800000, v2
	v_mov_b32_e32 v21, v17
	v_and_b32_e32 v16, 0x7fffff, v2
	v_or_b32_e32 v11, 0x7e, v15
	v_cmp_ne_u64_e32 vcc, s[38:39], v[20:21]
	s_and_saveexec_b64 s[20:21], vcc
	s_xor_b64 s[52:53], exec, s[20:21]
	s_cbranch_execz .LBB4_5910
; %bb.5901:                             ;   in Loop: Header=BB4_5454 Depth=2
	v_and_b32_e32 v20, 0x7fffffff, v2
	v_mov_b32_e32 v21, v17
	v_cmp_gt_u64_e32 vcc, s[40:41], v[20:21]
	s_and_saveexec_b64 s[54:55], vcc
	s_cbranch_execz .LBB4_5909
; %bb.5902:                             ;   in Loop: Header=BB4_5454 Depth=2
	v_cmp_ne_u32_e32 vcc, 0, v2
	v_mov_b32_e32 v11, 0
	s_and_saveexec_b64 s[56:57], vcc
	s_cbranch_execz .LBB4_5908
; %bb.5903:                             ;   in Loop: Header=BB4_5454 Depth=2
	v_bfe_u32 v1, v2, 23, 8
	v_sub_u32_e32 v3, 0x79, v1
	v_cmp_gt_u32_e32 vcc, s70, v1
	v_cndmask_b32_e32 v3, 0, v3, vcc
	v_cmp_eq_u32_e32 vcc, 0, v1
	v_add_u32_e32 v2, 0xffffff81, v1
	v_or_b32_e32 v11, 0x800000, v16
	v_cndmask_b32_e32 v18, v3, v37, vcc
	v_cndmask_b32_e32 v1, v2, v14, vcc
	;; [unrolled: 1-line block ×3, first 2 shown]
	v_add_u32_e32 v2, 20, v18
	v_lshlrev_b64 v[2:3], v2, -1
	v_add_u32_e32 v11, 19, v18
	v_lshrrev_b64 v[50:51], v18, v[16:17]
	v_not_b32_e32 v3, v3
	v_not_b32_e32 v2, v2
	v_lshlrev_b64 v[20:21], v11, 1
	v_lshrrev_b32_e32 v11, 23, v50
	v_and_b32_e32 v3, 0, v3
	v_and_b32_e32 v2, v16, v2
	v_add3_u32 v18, v18, v1, v11
	v_bfe_u32 v1, v50, 20, 1
	v_add_u32_e32 v1, -1, v1
	v_cmp_eq_u64_e32 vcc, v[2:3], v[20:21]
	v_cndmask_b32_e32 v1, 0, v1, vcc
	v_add_u32_e32 v1, v1, v50
	v_and_b32_e32 v1, 0xfffff, v1
	v_add_co_u32_e32 v2, vcc, v1, v50
	v_add_u32_e32 v16, 6, v18
	v_addc_co_u32_e32 v3, vcc, 0, v51, vcc
	v_cmp_ne_u32_e32 vcc, 0, v16
                                        ; implicit-def: $vgpr11
	s_and_saveexec_b64 s[20:21], vcc
	s_xor_b64 s[20:21], exec, s[20:21]
; %bb.5904:                             ;   in Loop: Header=BB4_5454 Depth=2
	v_add_u32_e32 v1, 7, v18
	v_cmp_lt_u64_e32 vcc, s[44:45], v[2:3]
	v_cndmask_b32_e32 v11, v16, v1, vcc
	v_cndmask_b32_e64 v1, 0, 1, vcc
	v_lshrrev_b64 v[2:3], v1, v[2:3]
; %bb.5905:                             ;   in Loop: Header=BB4_5454 Depth=2
	s_andn2_saveexec_b64 s[20:21], s[20:21]
; %bb.5906:                             ;   in Loop: Header=BB4_5454 Depth=2
	v_bfe_u32 v11, v2, 23, 1
; %bb.5907:                             ;   in Loop: Header=BB4_5454 Depth=2
	s_or_b64 exec, exec, s[20:21]
	v_lshrrev_b64 v[2:3], 20, v[2:3]
	v_cmp_gt_i32_e32 vcc, 16, v11
	v_cndmask_b32_e32 v3, 0, v3, vcc
	v_cndmask_b32_e32 v2, 7, v2, vcc
	v_min_i32_e32 v1, 15, v11
	v_cmp_eq_u32_e32 vcc, 0, v11
	v_cmp_eq_u64_e64 s[20:21], 0, v[2:3]
	v_lshlrev_b32_e32 v1, 3, v1
	v_and_or_b32 v1, v2, 7, v1
	s_and_b64 s[20:21], vcc, s[20:21]
	v_cndmask_b32_e64 v1, v1, 0, s[20:21]
	v_or_b32_e32 v11, v1, v15
.LBB4_5908:                             ;   in Loop: Header=BB4_5454 Depth=2
	s_or_b64 exec, exec, s[56:57]
.LBB4_5909:                             ;   in Loop: Header=BB4_5454 Depth=2
	s_or_b64 exec, exec, s[54:55]
                                        ; implicit-def: $vgpr2
.LBB4_5910:                             ;   in Loop: Header=BB4_5454 Depth=2
	s_andn2_saveexec_b64 s[20:21], s[52:53]
; %bb.5911:                             ;   in Loop: Header=BB4_5454 Depth=2
	v_or_b32_sdwa v1, v2, s68 dst_sel:DWORD dst_unused:UNUSED_PAD src0_sel:BYTE_3 src1_sel:DWORD
	v_cmp_eq_u64_e32 vcc, 0, v[16:17]
	v_cndmask_b32_e32 v11, v1, v11, vcc
; %bb.5912:                             ;   in Loop: Header=BB4_5454 Depth=2
	s_or_b64 exec, exec, s[20:21]
	v_lshrrev_b16_e32 v2, 8, v12
	v_cmp_ne_u16_e32 vcc, 0, v2
	v_mov_b32_e32 v3, 0
	s_and_saveexec_b64 s[20:21], vcc
	s_cbranch_execz .LBB4_5918
; %bb.5913:                             ;   in Loop: Header=BB4_5454 Depth=2
	v_cmp_ne_u16_e32 vcc, s69, v2
	v_bfrev_b32_e32 v3, 1
	s_and_saveexec_b64 s[52:53], vcc
	s_cbranch_execz .LBB4_5917
; %bb.5914:                             ;   in Loop: Header=BB4_5454 Depth=2
	v_and_b32_e32 v1, 0x7f, v2
	v_cmp_ne_u32_e32 vcc, s68, v1
	v_mov_b32_e32 v3, 0x7f800001
	s_and_saveexec_b64 s[54:55], vcc
	s_cbranch_execz .LBB4_5916
; %bb.5915:                             ;   in Loop: Header=BB4_5454 Depth=2
	v_and_b32_e32 v15, 7, v2
	v_ffbh_u32_e32 v3, v15
	v_min_u32_e32 v18, 32, v3
	v_subrev_u32_e32 v3, 28, v18
	v_lshlrev_b64 v[2:3], v3, v[2:3]
	v_lshrrev_b32_e32 v16, 3, v1
	v_sub_u32_e32 v3, 29, v18
	v_and_b32_e32 v2, 7, v2
	v_cmp_gt_u32_e32 vcc, 8, v1
	v_cndmask_b32_e32 v1, v16, v3, vcc
	v_cndmask_b32_e32 v2, v15, v2, vcc
	v_lshlrev_b32_e32 v3, 16, v12
	v_lshlrev_b32_e32 v2, 20, v2
	v_and_b32_e32 v3, 0x80000000, v3
	v_lshl_add_u32 v1, v1, 23, v47
	v_or3_b32 v3, v3, v1, v2
.LBB4_5916:                             ;   in Loop: Header=BB4_5454 Depth=2
	s_or_b64 exec, exec, s[54:55]
.LBB4_5917:                             ;   in Loop: Header=BB4_5454 Depth=2
	s_or_b64 exec, exec, s[52:53]
.LBB4_5918:                             ;   in Loop: Header=BB4_5454 Depth=2
	s_or_b64 exec, exec, s[20:21]
	v_mul_f32_e32 v2, v5, v3
	v_and_b32_sdwa v15, v2, s69 dst_sel:DWORD dst_unused:UNUSED_PAD src0_sel:BYTE_3 src1_sel:DWORD
	v_and_b32_e32 v20, 0x7f800000, v2
	v_mov_b32_e32 v21, v17
	v_and_b32_e32 v16, 0x7fffff, v2
	v_or_b32_e32 v39, 0x7e, v15
	v_cmp_ne_u64_e32 vcc, s[38:39], v[20:21]
	s_and_saveexec_b64 s[20:21], vcc
	s_xor_b64 s[52:53], exec, s[20:21]
	s_cbranch_execz .LBB4_5928
; %bb.5919:                             ;   in Loop: Header=BB4_5454 Depth=2
	v_and_b32_e32 v20, 0x7fffffff, v2
	v_mov_b32_e32 v21, v17
	v_cmp_gt_u64_e32 vcc, s[40:41], v[20:21]
	s_and_saveexec_b64 s[54:55], vcc
	s_cbranch_execz .LBB4_5927
; %bb.5920:                             ;   in Loop: Header=BB4_5454 Depth=2
	v_cmp_ne_u32_e32 vcc, 0, v2
	v_mov_b32_e32 v39, 0
	s_and_saveexec_b64 s[56:57], vcc
	s_cbranch_execz .LBB4_5926
; %bb.5921:                             ;   in Loop: Header=BB4_5454 Depth=2
	v_bfe_u32 v1, v2, 23, 8
	v_sub_u32_e32 v3, 0x79, v1
	v_cmp_gt_u32_e32 vcc, s70, v1
	v_cndmask_b32_e32 v3, 0, v3, vcc
	v_cmp_eq_u32_e32 vcc, 0, v1
	v_add_u32_e32 v2, 0xffffff81, v1
	v_cndmask_b32_e32 v20, v3, v37, vcc
	v_or_b32_e32 v18, 0x800000, v16
	v_cndmask_b32_e32 v1, v2, v14, vcc
	v_add_u32_e32 v2, 20, v20
	v_cndmask_b32_e32 v16, v18, v16, vcc
	v_lshlrev_b64 v[2:3], v2, -1
	v_not_b32_e32 v2, v2
	v_lshrrev_b64 v[30:31], v20, v[16:17]
	v_not_b32_e32 v3, v3
	v_and_b32_e32 v2, v16, v2
	v_add_u32_e32 v18, 19, v20
	v_lshrrev_b32_e32 v16, 23, v30
	v_and_b32_e32 v3, 0, v3
	v_lshlrev_b64 v[50:51], v18, 1
	v_add3_u32 v20, v20, v1, v16
	v_bfe_u32 v1, v30, 20, 1
	v_add_u32_e32 v1, -1, v1
	v_cmp_eq_u64_e32 vcc, v[2:3], v[50:51]
	v_cndmask_b32_e32 v1, 0, v1, vcc
	v_add_u32_e32 v1, v1, v30
	v_and_b32_e32 v1, 0xfffff, v1
	v_add_co_u32_e32 v2, vcc, v1, v30
	v_add_u32_e32 v18, 6, v20
	v_addc_co_u32_e32 v3, vcc, 0, v31, vcc
	v_cmp_ne_u32_e32 vcc, 0, v18
                                        ; implicit-def: $vgpr16
	s_and_saveexec_b64 s[20:21], vcc
	s_xor_b64 s[20:21], exec, s[20:21]
; %bb.5922:                             ;   in Loop: Header=BB4_5454 Depth=2
	v_add_u32_e32 v1, 7, v20
	v_cmp_lt_u64_e32 vcc, s[44:45], v[2:3]
	v_cndmask_b32_e32 v16, v18, v1, vcc
	v_cndmask_b32_e64 v1, 0, 1, vcc
	v_lshrrev_b64 v[2:3], v1, v[2:3]
; %bb.5923:                             ;   in Loop: Header=BB4_5454 Depth=2
	s_andn2_saveexec_b64 s[20:21], s[20:21]
; %bb.5924:                             ;   in Loop: Header=BB4_5454 Depth=2
	v_bfe_u32 v16, v2, 23, 1
; %bb.5925:                             ;   in Loop: Header=BB4_5454 Depth=2
	s_or_b64 exec, exec, s[20:21]
	v_lshrrev_b64 v[2:3], 20, v[2:3]
	v_cmp_gt_i32_e32 vcc, 16, v16
	v_cndmask_b32_e32 v3, 0, v3, vcc
	v_cndmask_b32_e32 v2, 7, v2, vcc
	v_min_i32_e32 v1, 15, v16
	v_cmp_eq_u32_e32 vcc, 0, v16
	v_cmp_eq_u64_e64 s[20:21], 0, v[2:3]
	v_lshlrev_b32_e32 v1, 3, v1
	v_and_or_b32 v1, v2, 7, v1
	s_and_b64 s[20:21], vcc, s[20:21]
	v_cndmask_b32_e64 v1, v1, 0, s[20:21]
	v_or_b32_e32 v39, v1, v15
.LBB4_5926:                             ;   in Loop: Header=BB4_5454 Depth=2
	s_or_b64 exec, exec, s[56:57]
.LBB4_5927:                             ;   in Loop: Header=BB4_5454 Depth=2
	s_or_b64 exec, exec, s[54:55]
                                        ; implicit-def: $vgpr2
.LBB4_5928:                             ;   in Loop: Header=BB4_5454 Depth=2
	s_andn2_saveexec_b64 s[20:21], s[52:53]
; %bb.5929:                             ;   in Loop: Header=BB4_5454 Depth=2
	v_or_b32_sdwa v1, v2, s68 dst_sel:DWORD dst_unused:UNUSED_PAD src0_sel:BYTE_3 src1_sel:DWORD
	v_cmp_eq_u64_e32 vcc, 0, v[16:17]
	v_cndmask_b32_e32 v39, v1, v39, vcc
; %bb.5930:                             ;   in Loop: Header=BB4_5454 Depth=2
	s_or_b64 exec, exec, s[20:21]
	v_lshrrev_b32_e32 v2, 16, v12
	v_cmp_ne_u16_sdwa vcc, v2, v17 src0_sel:BYTE_0 src1_sel:DWORD
	v_mov_b32_e32 v3, 0
	s_and_saveexec_b64 s[20:21], vcc
	s_cbranch_execz .LBB4_5936
; %bb.5931:                             ;   in Loop: Header=BB4_5454 Depth=2
	v_cmp_ne_u16_sdwa vcc, v2, s69 src0_sel:BYTE_0 src1_sel:DWORD
	v_bfrev_b32_e32 v3, 1
	s_and_saveexec_b64 s[52:53], vcc
	s_cbranch_execz .LBB4_5935
; %bb.5932:                             ;   in Loop: Header=BB4_5454 Depth=2
	v_bfe_u32 v1, v12, 16, 7
	v_cmp_ne_u32_e32 vcc, s68, v1
	v_mov_b32_e32 v3, 0x7f800001
	s_and_saveexec_b64 s[54:55], vcc
	s_cbranch_execz .LBB4_5934
; %bb.5933:                             ;   in Loop: Header=BB4_5454 Depth=2
	v_and_b32_e32 v3, 7, v2
	v_ffbh_u32_e32 v16, v3
	v_min_u32_e32 v16, 32, v16
	v_subrev_u32_e32 v18, 28, v16
	v_lshlrev_b64 v[20:21], v18, v[2:3]
	v_lshrrev_b32_e32 v15, 3, v1
	v_sub_u32_e32 v16, 29, v16
	v_and_b32_e32 v18, 7, v20
	v_cmp_gt_u32_e32 vcc, 8, v1
	v_cndmask_b32_e32 v1, v15, v16, vcc
	v_cndmask_b32_e32 v3, v3, v18, vcc
	v_lshlrev_b32_e32 v2, 24, v2
	v_lshlrev_b32_e32 v3, 20, v3
	v_and_b32_e32 v2, 0x80000000, v2
	v_lshl_add_u32 v1, v1, 23, v47
	v_or3_b32 v3, v2, v1, v3
.LBB4_5934:                             ;   in Loop: Header=BB4_5454 Depth=2
	s_or_b64 exec, exec, s[54:55]
.LBB4_5935:                             ;   in Loop: Header=BB4_5454 Depth=2
	s_or_b64 exec, exec, s[52:53]
.LBB4_5936:                             ;   in Loop: Header=BB4_5454 Depth=2
	s_or_b64 exec, exec, s[20:21]
	v_mul_f32_e32 v2, v5, v3
	v_and_b32_sdwa v15, v2, s69 dst_sel:DWORD dst_unused:UNUSED_PAD src0_sel:BYTE_3 src1_sel:DWORD
	v_and_b32_e32 v20, 0x7f800000, v2
	v_mov_b32_e32 v21, v17
	v_and_b32_e32 v16, 0x7fffff, v2
	v_or_b32_e32 v18, 0x7e, v15
	v_cmp_ne_u64_e32 vcc, s[38:39], v[20:21]
	s_and_saveexec_b64 s[20:21], vcc
	s_xor_b64 s[52:53], exec, s[20:21]
	s_cbranch_execz .LBB4_5946
; %bb.5937:                             ;   in Loop: Header=BB4_5454 Depth=2
	v_and_b32_e32 v20, 0x7fffffff, v2
	v_mov_b32_e32 v21, v17
	v_cmp_gt_u64_e32 vcc, s[40:41], v[20:21]
	s_and_saveexec_b64 s[54:55], vcc
	s_cbranch_execz .LBB4_5945
; %bb.5938:                             ;   in Loop: Header=BB4_5454 Depth=2
	v_cmp_ne_u32_e32 vcc, 0, v2
	v_mov_b32_e32 v18, 0
	s_and_saveexec_b64 s[56:57], vcc
	s_cbranch_execz .LBB4_5944
; %bb.5939:                             ;   in Loop: Header=BB4_5454 Depth=2
	v_bfe_u32 v1, v2, 23, 8
	v_sub_u32_e32 v3, 0x79, v1
	v_cmp_gt_u32_e32 vcc, s70, v1
	v_cndmask_b32_e32 v3, 0, v3, vcc
	v_cmp_eq_u32_e32 vcc, 0, v1
	v_add_u32_e32 v2, 0xffffff81, v1
	v_cndmask_b32_e32 v20, v3, v37, vcc
	v_or_b32_e32 v18, 0x800000, v16
	v_cndmask_b32_e32 v1, v2, v14, vcc
	v_add_u32_e32 v2, 20, v20
	v_cndmask_b32_e32 v16, v18, v16, vcc
	v_lshlrev_b64 v[2:3], v2, -1
	v_not_b32_e32 v2, v2
	v_lshrrev_b64 v[50:51], v20, v[16:17]
	v_not_b32_e32 v3, v3
	v_and_b32_e32 v2, v16, v2
	v_add_u32_e32 v18, 19, v20
	v_lshrrev_b32_e32 v16, 23, v50
	v_and_b32_e32 v3, 0, v3
	v_lshlrev_b64 v[30:31], v18, 1
	v_add3_u32 v20, v20, v1, v16
	v_bfe_u32 v1, v50, 20, 1
	v_add_u32_e32 v1, -1, v1
	v_cmp_eq_u64_e32 vcc, v[2:3], v[30:31]
	v_cndmask_b32_e32 v1, 0, v1, vcc
	v_add_u32_e32 v1, v1, v50
	v_and_b32_e32 v1, 0xfffff, v1
	v_add_co_u32_e32 v2, vcc, v1, v50
	v_add_u32_e32 v18, 6, v20
	v_addc_co_u32_e32 v3, vcc, 0, v51, vcc
	v_cmp_ne_u32_e32 vcc, 0, v18
                                        ; implicit-def: $vgpr16
	s_and_saveexec_b64 s[20:21], vcc
	s_xor_b64 s[20:21], exec, s[20:21]
; %bb.5940:                             ;   in Loop: Header=BB4_5454 Depth=2
	v_add_u32_e32 v1, 7, v20
	v_cmp_lt_u64_e32 vcc, s[44:45], v[2:3]
	v_cndmask_b32_e32 v16, v18, v1, vcc
	v_cndmask_b32_e64 v1, 0, 1, vcc
	v_lshrrev_b64 v[2:3], v1, v[2:3]
; %bb.5941:                             ;   in Loop: Header=BB4_5454 Depth=2
	s_andn2_saveexec_b64 s[20:21], s[20:21]
; %bb.5942:                             ;   in Loop: Header=BB4_5454 Depth=2
	v_bfe_u32 v16, v2, 23, 1
; %bb.5943:                             ;   in Loop: Header=BB4_5454 Depth=2
	s_or_b64 exec, exec, s[20:21]
	v_lshrrev_b64 v[2:3], 20, v[2:3]
	v_cmp_gt_i32_e32 vcc, 16, v16
	v_cndmask_b32_e32 v3, 0, v3, vcc
	v_cndmask_b32_e32 v2, 7, v2, vcc
	v_min_i32_e32 v1, 15, v16
	v_cmp_eq_u32_e32 vcc, 0, v16
	v_cmp_eq_u64_e64 s[20:21], 0, v[2:3]
	v_lshlrev_b32_e32 v1, 3, v1
	v_and_or_b32 v1, v2, 7, v1
	s_and_b64 s[20:21], vcc, s[20:21]
	v_cndmask_b32_e64 v1, v1, 0, s[20:21]
	v_or_b32_e32 v18, v1, v15
.LBB4_5944:                             ;   in Loop: Header=BB4_5454 Depth=2
	s_or_b64 exec, exec, s[56:57]
.LBB4_5945:                             ;   in Loop: Header=BB4_5454 Depth=2
	s_or_b64 exec, exec, s[54:55]
                                        ; implicit-def: $vgpr2
.LBB4_5946:                             ;   in Loop: Header=BB4_5454 Depth=2
	s_andn2_saveexec_b64 s[20:21], s[52:53]
; %bb.5947:                             ;   in Loop: Header=BB4_5454 Depth=2
	v_or_b32_sdwa v1, v2, s68 dst_sel:DWORD dst_unused:UNUSED_PAD src0_sel:BYTE_3 src1_sel:DWORD
	v_cmp_eq_u64_e32 vcc, 0, v[16:17]
	v_cndmask_b32_e32 v18, v1, v18, vcc
; %bb.5948:                             ;   in Loop: Header=BB4_5454 Depth=2
	s_or_b64 exec, exec, s[20:21]
	v_cmp_lt_u32_e32 vcc, s43, v12
	v_mov_b32_e32 v3, 0
	s_and_saveexec_b64 s[20:21], vcc
	s_cbranch_execz .LBB4_5954
; %bb.5949:                             ;   in Loop: Header=BB4_5454 Depth=2
	v_lshrrev_b32_e32 v2, 24, v12
	v_cmp_ne_u32_e32 vcc, s69, v2
	v_bfrev_b32_e32 v3, 1
	s_and_saveexec_b64 s[52:53], vcc
	s_cbranch_execz .LBB4_5953
; %bb.5950:                             ;   in Loop: Header=BB4_5454 Depth=2
	v_bfe_u32 v1, v12, 24, 7
	v_cmp_ne_u32_e32 vcc, s68, v1
	v_mov_b32_e32 v3, 0x7f800001
	s_and_saveexec_b64 s[54:55], vcc
	s_cbranch_execz .LBB4_5952
; %bb.5951:                             ;   in Loop: Header=BB4_5454 Depth=2
	v_and_b32_e32 v3, 7, v2
	v_ffbh_u32_e32 v16, v3
	v_min_u32_e32 v16, 32, v16
	v_subrev_u32_e32 v20, 28, v16
	v_lshlrev_b64 v[20:21], v20, v[2:3]
	v_lshrrev_b32_e32 v15, 3, v1
	v_sub_u32_e32 v16, 29, v16
	v_and_b32_e32 v20, 7, v20
	v_cmp_gt_u32_e32 vcc, 8, v1
	v_cndmask_b32_e32 v1, v15, v16, vcc
	v_cndmask_b32_e32 v3, v3, v20, vcc
	v_lshlrev_b32_e32 v2, 24, v2
	v_lshlrev_b32_e32 v3, 20, v3
	v_and_b32_e32 v2, 0x80000000, v2
	v_lshl_add_u32 v1, v1, 23, v47
	v_or3_b32 v3, v2, v1, v3
.LBB4_5952:                             ;   in Loop: Header=BB4_5454 Depth=2
	s_or_b64 exec, exec, s[54:55]
.LBB4_5953:                             ;   in Loop: Header=BB4_5454 Depth=2
	s_or_b64 exec, exec, s[52:53]
.LBB4_5954:                             ;   in Loop: Header=BB4_5454 Depth=2
	s_or_b64 exec, exec, s[20:21]
	v_mul_f32_e32 v2, v5, v3
	v_and_b32_sdwa v15, v2, s69 dst_sel:DWORD dst_unused:UNUSED_PAD src0_sel:BYTE_3 src1_sel:DWORD
	v_and_b32_e32 v20, 0x7f800000, v2
	v_mov_b32_e32 v21, v17
	v_and_b32_e32 v16, 0x7fffff, v2
	v_or_b32_e32 v45, 0x7e, v15
	v_cmp_ne_u64_e32 vcc, s[38:39], v[20:21]
	s_and_saveexec_b64 s[20:21], vcc
	s_xor_b64 s[52:53], exec, s[20:21]
	s_cbranch_execz .LBB4_5964
; %bb.5955:                             ;   in Loop: Header=BB4_5454 Depth=2
	v_and_b32_e32 v20, 0x7fffffff, v2
	v_mov_b32_e32 v21, v17
	v_cmp_gt_u64_e32 vcc, s[40:41], v[20:21]
	s_and_saveexec_b64 s[54:55], vcc
	s_cbranch_execz .LBB4_5963
; %bb.5956:                             ;   in Loop: Header=BB4_5454 Depth=2
	v_cmp_ne_u32_e32 vcc, 0, v2
	v_mov_b32_e32 v45, 0
	s_and_saveexec_b64 s[56:57], vcc
	s_cbranch_execz .LBB4_5962
; %bb.5957:                             ;   in Loop: Header=BB4_5454 Depth=2
	v_bfe_u32 v1, v2, 23, 8
	v_sub_u32_e32 v3, 0x79, v1
	v_cmp_gt_u32_e32 vcc, s70, v1
	v_cndmask_b32_e32 v3, 0, v3, vcc
	v_cmp_eq_u32_e32 vcc, 0, v1
	v_add_u32_e32 v2, 0xffffff81, v1
	v_cndmask_b32_e32 v21, v3, v37, vcc
	v_or_b32_e32 v20, 0x800000, v16
	v_cndmask_b32_e32 v1, v2, v14, vcc
	v_add_u32_e32 v2, 20, v21
	v_cndmask_b32_e32 v16, v20, v16, vcc
	v_lshlrev_b64 v[2:3], v2, -1
	v_not_b32_e32 v2, v2
	v_lshrrev_b64 v[50:51], v21, v[16:17]
	v_not_b32_e32 v3, v3
	v_and_b32_e32 v2, v16, v2
	v_add_u32_e32 v20, 19, v21
	v_lshrrev_b32_e32 v16, 23, v50
	v_and_b32_e32 v3, 0, v3
	v_lshlrev_b64 v[30:31], v20, 1
	v_add3_u32 v36, v21, v1, v16
	v_bfe_u32 v1, v50, 20, 1
	v_add_u32_e32 v1, -1, v1
	v_cmp_eq_u64_e32 vcc, v[2:3], v[30:31]
	v_cndmask_b32_e32 v1, 0, v1, vcc
	v_add_u32_e32 v1, v1, v50
	v_and_b32_e32 v1, 0xfffff, v1
	v_add_co_u32_e32 v2, vcc, v1, v50
	v_add_u32_e32 v20, 6, v36
	v_addc_co_u32_e32 v3, vcc, 0, v51, vcc
	v_cmp_ne_u32_e32 vcc, 0, v20
                                        ; implicit-def: $vgpr16
	s_and_saveexec_b64 s[20:21], vcc
	s_xor_b64 s[20:21], exec, s[20:21]
; %bb.5958:                             ;   in Loop: Header=BB4_5454 Depth=2
	v_add_u32_e32 v1, 7, v36
	v_cmp_lt_u64_e32 vcc, s[44:45], v[2:3]
	v_cndmask_b32_e32 v16, v20, v1, vcc
	v_cndmask_b32_e64 v1, 0, 1, vcc
	v_lshrrev_b64 v[2:3], v1, v[2:3]
; %bb.5959:                             ;   in Loop: Header=BB4_5454 Depth=2
	s_andn2_saveexec_b64 s[20:21], s[20:21]
; %bb.5960:                             ;   in Loop: Header=BB4_5454 Depth=2
	v_bfe_u32 v16, v2, 23, 1
; %bb.5961:                             ;   in Loop: Header=BB4_5454 Depth=2
	s_or_b64 exec, exec, s[20:21]
	v_lshrrev_b64 v[2:3], 20, v[2:3]
	v_cmp_gt_i32_e32 vcc, 16, v16
	v_cndmask_b32_e32 v3, 0, v3, vcc
	v_cndmask_b32_e32 v2, 7, v2, vcc
	v_min_i32_e32 v1, 15, v16
	v_cmp_eq_u32_e32 vcc, 0, v16
	v_cmp_eq_u64_e64 s[20:21], 0, v[2:3]
	v_lshlrev_b32_e32 v1, 3, v1
	v_and_or_b32 v1, v2, 7, v1
	s_and_b64 s[20:21], vcc, s[20:21]
	v_cndmask_b32_e64 v1, v1, 0, s[20:21]
	v_or_b32_e32 v45, v1, v15
.LBB4_5962:                             ;   in Loop: Header=BB4_5454 Depth=2
	s_or_b64 exec, exec, s[56:57]
.LBB4_5963:                             ;   in Loop: Header=BB4_5454 Depth=2
	s_or_b64 exec, exec, s[54:55]
                                        ; implicit-def: $vgpr2
.LBB4_5964:                             ;   in Loop: Header=BB4_5454 Depth=2
	s_andn2_saveexec_b64 s[20:21], s[52:53]
; %bb.5965:                             ;   in Loop: Header=BB4_5454 Depth=2
	v_or_b32_sdwa v1, v2, s68 dst_sel:DWORD dst_unused:UNUSED_PAD src0_sel:BYTE_3 src1_sel:DWORD
	v_cmp_eq_u64_e32 vcc, 0, v[16:17]
	v_cndmask_b32_e32 v45, v1, v45, vcc
; %bb.5966:                             ;   in Loop: Header=BB4_5454 Depth=2
	s_or_b64 exec, exec, s[20:21]
	v_mov_b32_e32 v16, v13
	v_cmp_ne_u16_sdwa vcc, v13, v17 src0_sel:BYTE_0 src1_sel:DWORD
	v_mov_b32_e32 v2, 0
	s_and_saveexec_b64 s[20:21], vcc
	s_cbranch_execz .LBB4_5972
; %bb.5967:                             ;   in Loop: Header=BB4_5454 Depth=2
	v_cmp_ne_u16_sdwa vcc, v13, s69 src0_sel:BYTE_0 src1_sel:DWORD
	v_bfrev_b32_e32 v2, 1
	s_and_saveexec_b64 s[52:53], vcc
	s_cbranch_execz .LBB4_5971
; %bb.5968:                             ;   in Loop: Header=BB4_5454 Depth=2
	v_and_b32_e32 v1, 0x7f, v13
	v_cmp_ne_u32_e32 vcc, s68, v1
	v_mov_b32_e32 v2, 0x7f800001
	s_and_saveexec_b64 s[54:55], vcc
	s_cbranch_execz .LBB4_5970
; %bb.5969:                             ;   in Loop: Header=BB4_5454 Depth=2
	v_and_b32_e32 v2, 7, v13
	v_ffbh_u32_e32 v2, v2
	v_min_u32_e32 v2, 32, v2
	v_lshrrev_b32_e32 v3, 3, v1
	v_subrev_u32_e32 v15, 28, v2
	v_sub_u32_e32 v2, 29, v2
	v_cmp_gt_u32_e32 vcc, 8, v1
	v_cndmask_b32_e32 v1, v3, v2, vcc
	v_cndmask_b32_e32 v2, 0, v15, vcc
	v_lshlrev_b64 v[2:3], v2, v[16:17]
	v_lshlrev_b32_e32 v2, 20, v2
	v_lshlrev_b32_e32 v3, 24, v16
	v_and_b32_e32 v2, 0x700000, v2
	v_and_b32_e32 v3, 0x80000000, v3
	v_lshl_add_u32 v1, v1, 23, v47
	v_or3_b32 v2, v3, v1, v2
.LBB4_5970:                             ;   in Loop: Header=BB4_5454 Depth=2
	s_or_b64 exec, exec, s[54:55]
.LBB4_5971:                             ;   in Loop: Header=BB4_5454 Depth=2
	s_or_b64 exec, exec, s[52:53]
.LBB4_5972:                             ;   in Loop: Header=BB4_5454 Depth=2
	s_or_b64 exec, exec, s[20:21]
	v_mul_f32_e32 v36, v5, v2
	v_and_b32_sdwa v15, v36, s69 dst_sel:DWORD dst_unused:UNUSED_PAD src0_sel:BYTE_3 src1_sel:DWORD
	v_and_b32_e32 v30, 0x7f800000, v36
	v_mov_b32_e32 v31, v17
	v_and_b32_e32 v2, 0x7fffff, v36
	v_mov_b32_e32 v3, v17
	v_or_b32_e32 v20, 0x7e, v15
	v_cmp_ne_u64_e32 vcc, s[38:39], v[30:31]
	s_and_saveexec_b64 s[20:21], vcc
	s_xor_b64 s[52:53], exec, s[20:21]
	s_cbranch_execz .LBB4_5982
; %bb.5973:                             ;   in Loop: Header=BB4_5454 Depth=2
	v_and_b32_e32 v30, 0x7fffffff, v36
	v_mov_b32_e32 v31, v17
	v_cmp_gt_u64_e32 vcc, s[40:41], v[30:31]
	s_and_saveexec_b64 s[54:55], vcc
	s_cbranch_execz .LBB4_5981
; %bb.5974:                             ;   in Loop: Header=BB4_5454 Depth=2
	v_cmp_ne_u32_e32 vcc, 0, v36
	v_mov_b32_e32 v20, 0
	s_and_saveexec_b64 s[56:57], vcc
	s_cbranch_execz .LBB4_5980
; %bb.5975:                             ;   in Loop: Header=BB4_5454 Depth=2
	v_bfe_u32 v1, v36, 23, 8
	v_sub_u32_e32 v21, 0x79, v1
	v_cmp_gt_u32_e32 vcc, s70, v1
	v_cndmask_b32_e32 v21, 0, v21, vcc
	v_cmp_eq_u32_e32 vcc, 0, v1
	v_add_u32_e32 v20, 0xffffff81, v1
	v_cndmask_b32_e32 v36, v21, v37, vcc
	v_cndmask_b32_e32 v1, v20, v14, vcc
	v_add_u32_e32 v20, 20, v36
	v_or_b32_e32 v30, 0x800000, v2
	v_lshlrev_b64 v[20:21], v20, -1
	v_cndmask_b32_e32 v2, v30, v2, vcc
	v_not_b32_e32 v20, v20
	v_and_b32_e32 v20, v2, v20
	v_lshrrev_b64 v[2:3], v36, v[2:3]
	v_not_b32_e32 v21, v21
	v_add_u32_e32 v30, 19, v36
	v_lshrrev_b32_e32 v50, 23, v2
	v_and_b32_e32 v21, 0, v21
	v_lshlrev_b64 v[30:31], v30, 1
	v_add3_u32 v51, v36, v1, v50
	v_bfe_u32 v1, v2, 20, 1
	v_add_u32_e32 v1, -1, v1
	v_cmp_eq_u64_e32 vcc, v[20:21], v[30:31]
	v_cndmask_b32_e32 v1, 0, v1, vcc
	v_add_u32_e32 v1, v1, v2
	v_and_b32_e32 v1, 0xfffff, v1
	v_add_co_u32_e32 v2, vcc, v1, v2
	v_add_u32_e32 v36, 6, v51
	v_addc_co_u32_e32 v3, vcc, 0, v3, vcc
	v_cmp_ne_u32_e32 vcc, 0, v36
                                        ; implicit-def: $vgpr20
	s_and_saveexec_b64 s[20:21], vcc
	s_xor_b64 s[20:21], exec, s[20:21]
; %bb.5976:                             ;   in Loop: Header=BB4_5454 Depth=2
	v_add_u32_e32 v1, 7, v51
	v_cmp_lt_u64_e32 vcc, s[44:45], v[2:3]
	v_cndmask_b32_e32 v20, v36, v1, vcc
	v_cndmask_b32_e64 v1, 0, 1, vcc
	v_lshrrev_b64 v[2:3], v1, v[2:3]
; %bb.5977:                             ;   in Loop: Header=BB4_5454 Depth=2
	s_andn2_saveexec_b64 s[20:21], s[20:21]
; %bb.5978:                             ;   in Loop: Header=BB4_5454 Depth=2
	v_bfe_u32 v20, v2, 23, 1
; %bb.5979:                             ;   in Loop: Header=BB4_5454 Depth=2
	s_or_b64 exec, exec, s[20:21]
	v_lshrrev_b64 v[2:3], 20, v[2:3]
	v_cmp_gt_i32_e32 vcc, 16, v20
	v_cndmask_b32_e32 v3, 0, v3, vcc
	v_cndmask_b32_e32 v2, 7, v2, vcc
	v_min_i32_e32 v1, 15, v20
	v_cmp_eq_u32_e32 vcc, 0, v20
	v_cmp_eq_u64_e64 s[20:21], 0, v[2:3]
	v_lshlrev_b32_e32 v1, 3, v1
	v_and_or_b32 v1, v2, 7, v1
	s_and_b64 s[20:21], vcc, s[20:21]
	v_cndmask_b32_e64 v1, v1, 0, s[20:21]
	v_or_b32_e32 v20, v1, v15
.LBB4_5980:                             ;   in Loop: Header=BB4_5454 Depth=2
	s_or_b64 exec, exec, s[56:57]
.LBB4_5981:                             ;   in Loop: Header=BB4_5454 Depth=2
	s_or_b64 exec, exec, s[54:55]
                                        ; implicit-def: $vgpr36
                                        ; implicit-def: $vgpr2_vgpr3
.LBB4_5982:                             ;   in Loop: Header=BB4_5454 Depth=2
	s_andn2_saveexec_b64 s[20:21], s[52:53]
; %bb.5983:                             ;   in Loop: Header=BB4_5454 Depth=2
	v_or_b32_sdwa v1, v36, s68 dst_sel:DWORD dst_unused:UNUSED_PAD src0_sel:BYTE_3 src1_sel:DWORD
	v_cmp_eq_u64_e32 vcc, 0, v[2:3]
	v_cndmask_b32_e32 v20, v1, v20, vcc
; %bb.5984:                             ;   in Loop: Header=BB4_5454 Depth=2
	s_or_b64 exec, exec, s[20:21]
	v_lshrrev_b16_e32 v2, 8, v16
	v_cmp_ne_u16_e32 vcc, 0, v2
	v_mov_b32_e32 v3, 0
	s_and_saveexec_b64 s[20:21], vcc
	s_cbranch_execz .LBB4_5990
; %bb.5985:                             ;   in Loop: Header=BB4_5454 Depth=2
	v_cmp_ne_u16_e32 vcc, s69, v2
	v_bfrev_b32_e32 v3, 1
	s_and_saveexec_b64 s[52:53], vcc
	s_cbranch_execz .LBB4_5989
; %bb.5986:                             ;   in Loop: Header=BB4_5454 Depth=2
	v_and_b32_e32 v1, 0x7f, v2
	v_cmp_ne_u32_e32 vcc, s68, v1
	v_mov_b32_e32 v3, 0x7f800001
	s_and_saveexec_b64 s[54:55], vcc
	s_cbranch_execz .LBB4_5988
; %bb.5987:                             ;   in Loop: Header=BB4_5454 Depth=2
	v_and_b32_e32 v15, 7, v2
	v_ffbh_u32_e32 v3, v15
	v_min_u32_e32 v30, 32, v3
	v_subrev_u32_e32 v3, 28, v30
	v_lshlrev_b64 v[2:3], v3, v[2:3]
	v_lshrrev_b32_e32 v21, 3, v1
	v_sub_u32_e32 v3, 29, v30
	v_and_b32_e32 v2, 7, v2
	v_cmp_gt_u32_e32 vcc, 8, v1
	v_cndmask_b32_e32 v1, v21, v3, vcc
	v_cndmask_b32_e32 v2, v15, v2, vcc
	v_lshlrev_b32_e32 v3, 16, v16
	v_lshlrev_b32_e32 v2, 20, v2
	v_and_b32_e32 v3, 0x80000000, v3
	v_lshl_add_u32 v1, v1, 23, v47
	v_or3_b32 v3, v3, v1, v2
.LBB4_5988:                             ;   in Loop: Header=BB4_5454 Depth=2
	s_or_b64 exec, exec, s[54:55]
.LBB4_5989:                             ;   in Loop: Header=BB4_5454 Depth=2
	s_or_b64 exec, exec, s[52:53]
.LBB4_5990:                             ;   in Loop: Header=BB4_5454 Depth=2
	s_or_b64 exec, exec, s[20:21]
	v_mul_f32_e32 v2, v5, v3
	v_and_b32_sdwa v15, v2, s69 dst_sel:DWORD dst_unused:UNUSED_PAD src0_sel:BYTE_3 src1_sel:DWORD
	v_and_b32_e32 v30, 0x7f800000, v2
	v_mov_b32_e32 v31, v17
	v_and_b32_e32 v16, 0x7fffff, v2
	v_or_b32_e32 v36, 0x7e, v15
	v_cmp_ne_u64_e32 vcc, s[38:39], v[30:31]
	s_and_saveexec_b64 s[20:21], vcc
	s_xor_b64 s[52:53], exec, s[20:21]
	s_cbranch_execz .LBB4_6000
; %bb.5991:                             ;   in Loop: Header=BB4_5454 Depth=2
	v_and_b32_e32 v30, 0x7fffffff, v2
	v_mov_b32_e32 v31, v17
	v_cmp_gt_u64_e32 vcc, s[40:41], v[30:31]
	s_and_saveexec_b64 s[54:55], vcc
	s_cbranch_execz .LBB4_5999
; %bb.5992:                             ;   in Loop: Header=BB4_5454 Depth=2
	v_cmp_ne_u32_e32 vcc, 0, v2
	v_mov_b32_e32 v36, 0
	s_and_saveexec_b64 s[56:57], vcc
	s_cbranch_execz .LBB4_5998
; %bb.5993:                             ;   in Loop: Header=BB4_5454 Depth=2
	v_bfe_u32 v1, v2, 23, 8
	v_sub_u32_e32 v3, 0x79, v1
	v_cmp_gt_u32_e32 vcc, s70, v1
	v_cndmask_b32_e32 v3, 0, v3, vcc
	v_cmp_eq_u32_e32 vcc, 0, v1
	v_add_u32_e32 v2, 0xffffff81, v1
	v_cndmask_b32_e32 v36, v3, v37, vcc
	v_or_b32_e32 v21, 0x800000, v16
	v_cndmask_b32_e32 v1, v2, v14, vcc
	v_add_u32_e32 v2, 20, v36
	v_cndmask_b32_e32 v16, v21, v16, vcc
	v_lshlrev_b64 v[2:3], v2, -1
	v_not_b32_e32 v2, v2
	v_lshrrev_b64 v[56:57], v36, v[16:17]
	v_not_b32_e32 v3, v3
	v_and_b32_e32 v2, v16, v2
	v_add_u32_e32 v21, 19, v36
	v_lshrrev_b32_e32 v16, 23, v56
	v_and_b32_e32 v3, 0, v3
	v_lshlrev_b64 v[30:31], v21, 1
	v_add3_u32 v51, v36, v1, v16
	v_bfe_u32 v1, v56, 20, 1
	v_add_u32_e32 v1, -1, v1
	v_cmp_eq_u64_e32 vcc, v[2:3], v[30:31]
	v_cndmask_b32_e32 v1, 0, v1, vcc
	v_add_u32_e32 v1, v1, v56
	v_and_b32_e32 v1, 0xfffff, v1
	v_add_co_u32_e32 v2, vcc, v1, v56
	v_add_u32_e32 v36, 6, v51
	v_addc_co_u32_e32 v3, vcc, 0, v57, vcc
	v_cmp_ne_u32_e32 vcc, 0, v36
                                        ; implicit-def: $vgpr16
	s_and_saveexec_b64 s[20:21], vcc
	s_xor_b64 s[20:21], exec, s[20:21]
; %bb.5994:                             ;   in Loop: Header=BB4_5454 Depth=2
	v_add_u32_e32 v1, 7, v51
	v_cmp_lt_u64_e32 vcc, s[44:45], v[2:3]
	v_cndmask_b32_e32 v16, v36, v1, vcc
	v_cndmask_b32_e64 v1, 0, 1, vcc
	v_lshrrev_b64 v[2:3], v1, v[2:3]
; %bb.5995:                             ;   in Loop: Header=BB4_5454 Depth=2
	s_andn2_saveexec_b64 s[20:21], s[20:21]
; %bb.5996:                             ;   in Loop: Header=BB4_5454 Depth=2
	v_bfe_u32 v16, v2, 23, 1
; %bb.5997:                             ;   in Loop: Header=BB4_5454 Depth=2
	s_or_b64 exec, exec, s[20:21]
	v_lshrrev_b64 v[2:3], 20, v[2:3]
	v_cmp_gt_i32_e32 vcc, 16, v16
	v_min_i32_e32 v1, 15, v16
	v_cndmask_b32_e32 v3, 0, v3, vcc
	v_cndmask_b32_e32 v2, 7, v2, vcc
	v_lshlrev_b32_e32 v1, 3, v1
	v_cmp_eq_u32_e32 vcc, 0, v16
	v_cmp_eq_u64_e64 s[20:21], 0, v[2:3]
	v_and_b32_e32 v1, 0xf8, v1
	v_and_or_b32 v1, v2, 7, v1
	s_and_b64 s[20:21], vcc, s[20:21]
	v_cndmask_b32_e64 v1, v1, 0, s[20:21]
	v_or_b32_e32 v36, v1, v15
	v_accvgpr_read_b32 v56, a28
	v_accvgpr_read_b32 v57, a32
.LBB4_5998:                             ;   in Loop: Header=BB4_5454 Depth=2
	s_or_b64 exec, exec, s[56:57]
.LBB4_5999:                             ;   in Loop: Header=BB4_5454 Depth=2
	s_or_b64 exec, exec, s[54:55]
                                        ; implicit-def: $vgpr2
.LBB4_6000:                             ;   in Loop: Header=BB4_5454 Depth=2
	s_andn2_saveexec_b64 s[20:21], s[52:53]
; %bb.6001:                             ;   in Loop: Header=BB4_5454 Depth=2
	v_or_b32_sdwa v1, v2, s68 dst_sel:DWORD dst_unused:UNUSED_PAD src0_sel:BYTE_3 src1_sel:DWORD
	v_cmp_eq_u64_e32 vcc, 0, v[16:17]
	v_cndmask_b32_e32 v36, v1, v36, vcc
; %bb.6002:                             ;   in Loop: Header=BB4_5454 Depth=2
	s_or_b64 exec, exec, s[20:21]
	v_lshrrev_b32_e32 v2, 16, v13
	v_cmp_ne_u16_sdwa vcc, v2, v17 src0_sel:BYTE_0 src1_sel:DWORD
	v_mov_b32_e32 v3, 0
	s_and_saveexec_b64 s[20:21], vcc
	s_cbranch_execz .LBB4_6008
; %bb.6003:                             ;   in Loop: Header=BB4_5454 Depth=2
	v_cmp_ne_u16_sdwa vcc, v2, s69 src0_sel:BYTE_0 src1_sel:DWORD
	v_bfrev_b32_e32 v3, 1
	s_and_saveexec_b64 s[52:53], vcc
	s_cbranch_execz .LBB4_6007
; %bb.6004:                             ;   in Loop: Header=BB4_5454 Depth=2
	v_bfe_u32 v1, v13, 16, 7
	v_cmp_ne_u32_e32 vcc, s68, v1
	v_mov_b32_e32 v3, 0x7f800001
	s_and_saveexec_b64 s[54:55], vcc
	s_cbranch_execz .LBB4_6006
; %bb.6005:                             ;   in Loop: Header=BB4_5454 Depth=2
	v_and_b32_e32 v3, 7, v2
	v_ffbh_u32_e32 v16, v3
	v_min_u32_e32 v16, 32, v16
	v_subrev_u32_e32 v21, 28, v16
	v_lshlrev_b64 v[30:31], v21, v[2:3]
	v_lshrrev_b32_e32 v15, 3, v1
	v_sub_u32_e32 v16, 29, v16
	v_and_b32_e32 v21, 7, v30
	v_cmp_gt_u32_e32 vcc, 8, v1
	v_cndmask_b32_e32 v1, v15, v16, vcc
	v_cndmask_b32_e32 v3, v3, v21, vcc
	v_lshlrev_b32_e32 v2, 24, v2
	v_lshlrev_b32_e32 v3, 20, v3
	v_and_b32_e32 v2, 0x80000000, v2
	v_lshl_add_u32 v1, v1, 23, v47
	v_or3_b32 v3, v2, v1, v3
.LBB4_6006:                             ;   in Loop: Header=BB4_5454 Depth=2
	s_or_b64 exec, exec, s[54:55]
.LBB4_6007:                             ;   in Loop: Header=BB4_5454 Depth=2
	s_or_b64 exec, exec, s[52:53]
.LBB4_6008:                             ;   in Loop: Header=BB4_5454 Depth=2
	s_or_b64 exec, exec, s[20:21]
	v_mul_f32_e32 v2, v5, v3
	v_and_b32_sdwa v51, v2, s69 dst_sel:DWORD dst_unused:UNUSED_PAD src0_sel:BYTE_3 src1_sel:DWORD
	v_and_b32_e32 v30, 0x7f800000, v2
	v_mov_b32_e32 v31, v17
	v_and_b32_e32 v16, 0x7fffff, v2
	v_or_b32_e32 v15, 0x7e, v51
	v_cmp_ne_u64_e32 vcc, s[38:39], v[30:31]
	s_and_saveexec_b64 s[20:21], vcc
	s_xor_b64 s[52:53], exec, s[20:21]
	s_cbranch_execz .LBB4_6018
; %bb.6009:                             ;   in Loop: Header=BB4_5454 Depth=2
	v_and_b32_e32 v30, 0x7fffffff, v2
	v_mov_b32_e32 v31, v17
	v_cmp_gt_u64_e32 vcc, s[40:41], v[30:31]
	s_and_saveexec_b64 s[54:55], vcc
	s_cbranch_execz .LBB4_6017
; %bb.6010:                             ;   in Loop: Header=BB4_5454 Depth=2
	v_cmp_ne_u32_e32 vcc, 0, v2
	v_mov_b32_e32 v15, 0
	s_and_saveexec_b64 s[56:57], vcc
	s_cbranch_execz .LBB4_6016
; %bb.6011:                             ;   in Loop: Header=BB4_5454 Depth=2
	v_bfe_u32 v1, v2, 23, 8
	v_sub_u32_e32 v3, 0x79, v1
	v_cmp_gt_u32_e32 vcc, s70, v1
	v_cndmask_b32_e32 v3, 0, v3, vcc
	v_cmp_eq_u32_e32 vcc, 0, v1
	v_add_u32_e32 v2, 0xffffff81, v1
	v_or_b32_e32 v15, 0x800000, v16
	v_cndmask_b32_e32 v21, v3, v37, vcc
	v_cndmask_b32_e32 v1, v2, v14, vcc
	;; [unrolled: 1-line block ×3, first 2 shown]
	v_add_u32_e32 v2, 20, v21
	v_lshlrev_b64 v[2:3], v2, -1
	v_add_u32_e32 v15, 19, v21
	v_lshrrev_b64 v[56:57], v21, v[16:17]
	v_not_b32_e32 v3, v3
	v_not_b32_e32 v2, v2
	v_lshlrev_b64 v[30:31], v15, 1
	v_lshrrev_b32_e32 v15, 23, v56
	v_and_b32_e32 v3, 0, v3
	v_and_b32_e32 v2, v16, v2
	v_add3_u32 v1, v21, v1, v15
	v_bfe_u32 v15, v56, 20, 1
	v_add_u32_e32 v15, -1, v15
	v_cmp_eq_u64_e32 vcc, v[2:3], v[30:31]
	v_cndmask_b32_e32 v2, 0, v15, vcc
	v_add_u32_e32 v2, v2, v56
	v_and_b32_e32 v2, 0xfffff, v2
	v_add_co_u32_e32 v2, vcc, v2, v56
	v_add_u32_e32 v16, 6, v1
	v_addc_co_u32_e32 v3, vcc, 0, v57, vcc
	v_cmp_ne_u32_e32 vcc, 0, v16
                                        ; implicit-def: $vgpr15
	s_and_saveexec_b64 s[20:21], vcc
	s_xor_b64 s[20:21], exec, s[20:21]
; %bb.6012:                             ;   in Loop: Header=BB4_5454 Depth=2
	v_add_u32_e32 v1, 7, v1
	v_cmp_lt_u64_e32 vcc, s[44:45], v[2:3]
	v_cndmask_b32_e32 v15, v16, v1, vcc
	v_cndmask_b32_e64 v1, 0, 1, vcc
	v_lshrrev_b64 v[2:3], v1, v[2:3]
; %bb.6013:                             ;   in Loop: Header=BB4_5454 Depth=2
	s_andn2_saveexec_b64 s[20:21], s[20:21]
; %bb.6014:                             ;   in Loop: Header=BB4_5454 Depth=2
	v_bfe_u32 v15, v2, 23, 1
; %bb.6015:                             ;   in Loop: Header=BB4_5454 Depth=2
	s_or_b64 exec, exec, s[20:21]
	v_lshrrev_b64 v[2:3], 20, v[2:3]
	v_cmp_gt_i32_e32 vcc, 16, v15
	v_min_i32_e32 v1, 15, v15
	v_cndmask_b32_e32 v3, 0, v3, vcc
	v_cndmask_b32_e32 v2, 7, v2, vcc
	v_lshlrev_b32_e32 v1, 3, v1
	v_cmp_eq_u32_e32 vcc, 0, v15
	v_cmp_eq_u64_e64 s[20:21], 0, v[2:3]
	v_and_b32_e32 v1, 0xf8, v1
	v_and_or_b32 v1, v2, 7, v1
	s_and_b64 s[20:21], vcc, s[20:21]
	v_cndmask_b32_e64 v1, v1, 0, s[20:21]
	v_or_b32_e32 v15, v1, v51
	v_accvgpr_read_b32 v56, a28
	v_accvgpr_read_b32 v57, a32
.LBB4_6016:                             ;   in Loop: Header=BB4_5454 Depth=2
	s_or_b64 exec, exec, s[56:57]
.LBB4_6017:                             ;   in Loop: Header=BB4_5454 Depth=2
	s_or_b64 exec, exec, s[54:55]
                                        ; implicit-def: $vgpr2
.LBB4_6018:                             ;   in Loop: Header=BB4_5454 Depth=2
	s_andn2_saveexec_b64 s[20:21], s[52:53]
; %bb.6019:                             ;   in Loop: Header=BB4_5454 Depth=2
	v_or_b32_sdwa v1, v2, s68 dst_sel:DWORD dst_unused:UNUSED_PAD src0_sel:BYTE_3 src1_sel:DWORD
	v_cmp_eq_u64_e32 vcc, 0, v[16:17]
	v_cndmask_b32_e32 v15, v1, v15, vcc
; %bb.6020:                             ;   in Loop: Header=BB4_5454 Depth=2
	s_or_b64 exec, exec, s[20:21]
	v_cmp_lt_u64_e32 vcc, s[42:43], v[12:13]
	v_mov_b32_e32 v3, 0
	s_and_saveexec_b64 s[20:21], vcc
	s_cbranch_execz .LBB4_6026
; %bb.6021:                             ;   in Loop: Header=BB4_5454 Depth=2
	v_lshrrev_b32_e32 v2, 24, v13
	v_cmp_ne_u32_e32 vcc, s69, v2
	v_bfrev_b32_e32 v3, 1
	s_and_saveexec_b64 s[52:53], vcc
	s_cbranch_execz .LBB4_6025
; %bb.6022:                             ;   in Loop: Header=BB4_5454 Depth=2
	v_bfe_u32 v1, v13, 24, 7
	v_cmp_ne_u32_e32 vcc, s68, v1
	v_mov_b32_e32 v3, 0x7f800001
	s_and_saveexec_b64 s[54:55], vcc
	s_cbranch_execz .LBB4_6024
; %bb.6023:                             ;   in Loop: Header=BB4_5454 Depth=2
	v_and_b32_e32 v3, 7, v2
	v_ffbh_u32_e32 v12, v3
	v_min_u32_e32 v21, 32, v12
	v_subrev_u32_e32 v12, 28, v21
	v_lshlrev_b64 v[12:13], v12, v[2:3]
	v_lshrrev_b32_e32 v16, 3, v1
	v_sub_u32_e32 v13, 29, v21
	v_and_b32_e32 v12, 7, v12
	v_cmp_gt_u32_e32 vcc, 8, v1
	v_cndmask_b32_e32 v1, v16, v13, vcc
	v_cndmask_b32_e32 v3, v3, v12, vcc
	v_lshlrev_b32_e32 v2, 24, v2
	v_lshlrev_b32_e32 v3, 20, v3
	v_and_b32_e32 v2, 0x80000000, v2
	v_lshl_add_u32 v1, v1, 23, v47
	v_or3_b32 v3, v2, v1, v3
.LBB4_6024:                             ;   in Loop: Header=BB4_5454 Depth=2
	s_or_b64 exec, exec, s[54:55]
.LBB4_6025:                             ;   in Loop: Header=BB4_5454 Depth=2
	s_or_b64 exec, exec, s[52:53]
.LBB4_6026:                             ;   in Loop: Header=BB4_5454 Depth=2
	s_or_b64 exec, exec, s[20:21]
	v_mul_f32_e32 v3, v5, v3
	v_and_b32_sdwa v5, v3, s69 dst_sel:DWORD dst_unused:UNUSED_PAD src0_sel:BYTE_3 src1_sel:DWORD
	v_and_b32_e32 v12, 0x7f800000, v3
	v_mov_b32_e32 v13, v17
	v_and_b32_e32 v16, 0x7fffff, v3
	v_or_b32_e32 v2, 0x7e, v5
	v_cmp_ne_u64_e32 vcc, s[38:39], v[12:13]
	s_and_saveexec_b64 s[20:21], vcc
	s_xor_b64 s[52:53], exec, s[20:21]
	s_cbranch_execz .LBB4_6036
; %bb.6027:                             ;   in Loop: Header=BB4_5454 Depth=2
	v_and_b32_e32 v12, 0x7fffffff, v3
	v_mov_b32_e32 v13, v17
	v_cmp_gt_u64_e32 vcc, s[40:41], v[12:13]
	s_and_saveexec_b64 s[54:55], vcc
	s_cbranch_execz .LBB4_6035
; %bb.6028:                             ;   in Loop: Header=BB4_5454 Depth=2
	v_cmp_ne_u32_e32 vcc, 0, v3
	v_mov_b32_e32 v2, 0
	s_and_saveexec_b64 s[56:57], vcc
	s_cbranch_execz .LBB4_6034
; %bb.6029:                             ;   in Loop: Header=BB4_5454 Depth=2
	v_bfe_u32 v1, v3, 23, 8
	v_sub_u32_e32 v3, 0x79, v1
	v_cmp_gt_u32_e32 vcc, s70, v1
	v_cndmask_b32_e32 v3, 0, v3, vcc
	v_cmp_eq_u32_e32 vcc, 0, v1
	v_add_u32_e32 v2, 0xffffff81, v1
	v_or_b32_e32 v12, 0x800000, v16
	v_cndmask_b32_e32 v13, v3, v37, vcc
	v_cndmask_b32_e32 v1, v2, v14, vcc
	;; [unrolled: 1-line block ×3, first 2 shown]
	v_add_u32_e32 v2, 20, v13
	v_lshlrev_b64 v[2:3], v2, -1
	v_add_u32_e32 v12, 19, v13
	v_lshrrev_b64 v[50:51], v13, v[16:17]
	v_not_b32_e32 v3, v3
	v_not_b32_e32 v2, v2
	v_lshlrev_b64 v[30:31], v12, 1
	v_lshrrev_b32_e32 v12, 23, v50
	v_and_b32_e32 v3, 0, v3
	v_and_b32_e32 v2, v16, v2
	v_add3_u32 v1, v13, v1, v12
	v_bfe_u32 v12, v50, 20, 1
	v_add_u32_e32 v12, -1, v12
	v_cmp_eq_u64_e32 vcc, v[2:3], v[30:31]
	v_cndmask_b32_e32 v2, 0, v12, vcc
	v_add_u32_e32 v2, v2, v50
	v_and_b32_e32 v2, 0xfffff, v2
	v_add_co_u32_e32 v2, vcc, v2, v50
	v_add_u32_e32 v13, 6, v1
	v_addc_co_u32_e32 v3, vcc, 0, v51, vcc
	v_cmp_ne_u32_e32 vcc, 0, v13
                                        ; implicit-def: $vgpr12
	s_and_saveexec_b64 s[20:21], vcc
	s_xor_b64 s[20:21], exec, s[20:21]
; %bb.6030:                             ;   in Loop: Header=BB4_5454 Depth=2
	v_add_u32_e32 v1, 7, v1
	v_cmp_lt_u64_e32 vcc, s[44:45], v[2:3]
	v_cndmask_b32_e32 v12, v13, v1, vcc
	v_cndmask_b32_e64 v1, 0, 1, vcc
	v_lshrrev_b64 v[2:3], v1, v[2:3]
; %bb.6031:                             ;   in Loop: Header=BB4_5454 Depth=2
	s_andn2_saveexec_b64 s[20:21], s[20:21]
; %bb.6032:                             ;   in Loop: Header=BB4_5454 Depth=2
	v_bfe_u32 v12, v2, 23, 1
; %bb.6033:                             ;   in Loop: Header=BB4_5454 Depth=2
	s_or_b64 exec, exec, s[20:21]
	v_lshrrev_b64 v[2:3], 20, v[2:3]
	v_cmp_gt_i32_e32 vcc, 16, v12
	v_min_i32_e32 v1, 15, v12
	v_cndmask_b32_e32 v3, 0, v3, vcc
	v_cndmask_b32_e32 v2, 7, v2, vcc
	v_lshlrev_b32_e32 v1, 3, v1
	v_cmp_eq_u32_e32 vcc, 0, v12
	v_cmp_eq_u64_e64 s[20:21], 0, v[2:3]
	v_and_b32_e32 v1, 0xf8, v1
	v_and_or_b32 v1, v2, 7, v1
	s_and_b64 s[20:21], vcc, s[20:21]
	v_cndmask_b32_e64 v1, v1, 0, s[20:21]
	v_or_b32_e32 v2, v1, v5
.LBB4_6034:                             ;   in Loop: Header=BB4_5454 Depth=2
	s_or_b64 exec, exec, s[56:57]
.LBB4_6035:                             ;   in Loop: Header=BB4_5454 Depth=2
	s_or_b64 exec, exec, s[54:55]
                                        ; implicit-def: $vgpr3
.LBB4_6036:                             ;   in Loop: Header=BB4_5454 Depth=2
	s_andn2_saveexec_b64 s[20:21], s[52:53]
	s_cbranch_execz .LBB4_5453
; %bb.6037:                             ;   in Loop: Header=BB4_5454 Depth=2
	v_or_b32_sdwa v1, v3, s68 dst_sel:DWORD dst_unused:UNUSED_PAD src0_sel:BYTE_3 src1_sel:DWORD
	v_cmp_eq_u64_e32 vcc, 0, v[16:17]
	v_cndmask_b32_e32 v2, v1, v2, vcc
	s_branch .LBB4_5453
.LBB4_6038:                             ;   in Loop: Header=BB4_5381 Depth=1
	s_or_b64 exec, exec, s[50:51]
.LBB4_6039:                             ;   in Loop: Header=BB4_5381 Depth=1
	s_or_b64 exec, exec, s[22:23]
	v_accvgpr_read_b32 v1, a39
	v_and_b32_e32 v9, 0x3ffff800, v1
	v_cmp_ne_u32_e32 vcc, v9, v1
	s_mov_b64 s[20:21], 0
	v_mov_b32_e32 v1, 0
                                        ; implicit-def: $vgpr4
                                        ; implicit-def: $vgpr5
                                        ; implicit-def: $vgpr8
	s_and_saveexec_b64 s[50:51], vcc
	s_cbranch_execz .LBB4_6343
; %bb.6040:                             ;   in Loop: Header=BB4_5381 Depth=1
	v_lshlrev_b32_e32 v0, 6, v0
	v_accvgpr_read_b32 v1, a19
	v_sub_u32_e32 v0, v1, v0
	v_ashrrev_i32_e32 v1, 31, v0
	v_lshrrev_b32_e32 v1, 26, v1
	v_add_u32_e32 v1, v0, v1
	v_accvgpr_read_b32 v6, a39
	v_ashrrev_i32_e32 v3, 6, v1
	v_and_b32_e32 v1, 0xffffffc0, v1
	v_and_b32_e32 v2, 0x7ff, v6
	v_sub_u32_e32 v0, v0, v1
	v_bfe_u32 v5, v6, 10, 1
	v_and_b32_e32 v6, 0x400, v6
	v_lshlrev_b32_e32 v1, 4, v0
	v_sub_u32_e32 v7, v2, v6
	v_lshl_add_u32 v4, v3, 10, v1
	v_cmp_lt_i32_e64 s[20:21], 15, v7
	v_sub_u32_e32 v1, v2, v4
	v_addc_co_u32_e64 v2, vcc, 0, v5, s[20:21]
	v_sub_u32_e32 v6, v2, v3
	v_cmp_lt_i32_e32 vcc, 15, v1
	s_and_saveexec_b64 s[52:53], vcc
	s_cbranch_execz .LBB4_6340
; %bb.6041:                             ;   in Loop: Header=BB4_5381 Depth=1
	s_trap 2
	ds_read_b64 v[2:3], v0
	v_add_u32_e32 v54, v4, v9
	v_ashrrev_i32_e32 v25, 31, v54
	s_waitcnt lgkmcnt(0)
	v_readfirstlane_b32 s22, v2
	s_and_b32 s23, s22, 7
	s_flbit_i32_b32 s23, s23
	s_min_u32 s23, s23, 32
	s_and_b32 vcc_lo, s22, 0x7f
	s_bfe_u32 vcc_hi, s22, 0x40003
	s_sub_i32 s54, s23, 28
	s_sub_i32 s23, 29, s23
	s_cmp_lt_u32 vcc_lo, 8
	s_cselect_b32 s23, s23, vcc_hi
	s_cselect_b32 vcc_hi, s54, 0
	s_lshl_b32 s22, s22, 24
	s_lshl_b32 s23, s23, 23
	v_lshlrev_b64 v[4:5], vcc_hi, v[2:3]
	s_and_b32 s22, s22, 0x80000000
	s_add_i32 s23, s23, 0x3c000000
	v_lshlrev_b32_e32 v4, 20, v4
	s_or_b32 s22, s22, s23
	v_and_b32_e32 v4, 0x700000, v4
	s_cmpk_lg_i32 vcc_lo, 0x7f
	v_or_b32_e32 v4, s22, v4
	s_cselect_b64 vcc, -1, 0
	v_mov_b32_e32 v5, 0x7f800001
	v_cndmask_b32_e32 v4, v5, v4, vcc
	s_mov_b64 s[54:55], 0
	s_branch .LBB4_6043
.LBB4_6042:                             ;   in Loop: Header=BB4_6043 Depth=2
	s_or_b64 exec, exec, s[22:23]
	v_lshlrev_b32_e32 v8, 16, v26
	v_perm_b32 v11, v24, v23, s71
	v_lshlrev_b32_e32 v12, 24, v27
	v_or3_b32 v51, v8, v11, v12
	v_and_b32_e32 v8, 0xff, v19
	v_lshlrev_b32_e32 v9, 8, v9
	v_lshlrev_b32_e32 v11, 24, v22
	;; [unrolled: 1-line block ×3, first 2 shown]
	v_perm_b32 v5, v9, v5, s72
	v_or3_b32 v50, v11, v8, v5
	v_and_b32_e32 v5, 0xff, v18
	v_lshlrev_b32_e32 v9, 8, v33
	v_lshlrev_b32_e32 v8, 24, v34
	;; [unrolled: 1-line block ×3, first 2 shown]
	v_perm_b32 v9, v9, v32, s72
	v_or3_b32 v52, v8, v5, v9
	v_perm_b32 v5, v35, v20, s71
	v_lshlrev_b32_e32 v8, 24, v10
	v_lshlrev_b32_e32 v9, 16, v15
	v_or3_b32 v53, v9, v5, v8
	v_accvgpr_read_b32 v5, a34
	v_sub_u32_e32 v1, v1, v5
	global_store_dwordx4 v[40:41], v[50:53], off glc slc
	v_cmp_gt_i32_e32 vcc, 16, v1
	v_accvgpr_read_b32 v52, a35
	s_or_b64 s[54:55], vcc, s[54:55]
	v_add_co_u32_e32 v54, vcc, v54, v52
	v_sub_u32_e32 v6, v6, v56
	v_addc_co_u32_e32 v25, vcc, v25, v44, vcc
	s_andn2_b64 exec, exec, s[54:55]
	s_cbranch_execz .LBB4_6339
.LBB4_6043:                             ;   Parent Loop BB4_5381 Depth=1
                                        ; =>  This Inner Loop Header: Depth=2
	v_cmp_lt_i16_sdwa s[22:23], v2, s69 src0_sel:BYTE_0 src1_sel:DWORD
	s_and_b64 vcc, exec, s[22:23]
	s_cbranch_vccnz .LBB4_6047
; %bb.6044:                             ;   in Loop: Header=BB4_6043 Depth=2
	v_cmp_eq_u16_sdwa vcc, v2, s69 src0_sel:BYTE_0 src1_sel:DWORD
	s_mov_b64 s[22:23], -1
	s_and_b64 vcc, exec, vcc
                                        ; implicit-def: $sgpr56
	s_cbranch_vccz .LBB4_6046
; %bb.6045:                             ;   in Loop: Header=BB4_6043 Depth=2
	s_mov_b64 s[22:23], 0
	s_brev_b32 s56, 1
.LBB4_6046:                             ;   in Loop: Header=BB4_6043 Depth=2
	s_branch .LBB4_6049
.LBB4_6047:                             ;   in Loop: Header=BB4_6043 Depth=2
	s_mov_b64 s[22:23], 0
                                        ; implicit-def: $sgpr56
	s_cbranch_execz .LBB4_6049
; %bb.6048:                             ;   in Loop: Header=BB4_6043 Depth=2
	v_cmp_ne_u16_sdwa s[22:23], v2, v17 src0_sel:BYTE_0 src1_sel:DWORD
	s_mov_b32 s56, 0
.LBB4_6049:                             ;   in Loop: Header=BB4_6043 Depth=2
	s_andn2_b64 vcc, exec, s[22:23]
	v_mov_b32_e32 v8, s56
	s_cbranch_vccnz .LBB4_6051
; %bb.6050:                             ;   in Loop: Header=BB4_6043 Depth=2
	v_mov_b32_e32 v8, v4
.LBB4_6051:                             ;   in Loop: Header=BB4_6043 Depth=2
	v_add_co_u32_e32 v40, vcc, v2, v54
	v_addc_co_u32_e32 v41, vcc, v3, v25, vcc
	global_load_dwordx4 v[10:13], v[40:41], off glc slc
	v_mov_b32_e32 v5, 0
	s_waitcnt vmcnt(0)
	v_cmp_ne_u16_sdwa vcc, v10, v17 src0_sel:BYTE_0 src1_sel:DWORD
	s_and_saveexec_b64 s[22:23], vcc
	s_cbranch_execz .LBB4_6057
; %bb.6052:                             ;   in Loop: Header=BB4_6043 Depth=2
	v_cmp_ne_u16_sdwa vcc, v10, s69 src0_sel:BYTE_0 src1_sel:DWORD
	v_bfrev_b32_e32 v5, 1
	s_and_saveexec_b64 s[56:57], vcc
	s_cbranch_execz .LBB4_6056
; %bb.6053:                             ;   in Loop: Header=BB4_6043 Depth=2
	v_and_b32_e32 v9, 0x7f, v10
	v_cmp_ne_u32_e32 vcc, s68, v9
	v_mov_b32_e32 v5, 0x7f800001
	s_and_saveexec_b64 s[58:59], vcc
	s_cbranch_execz .LBB4_6055
; %bb.6054:                             ;   in Loop: Header=BB4_6043 Depth=2
	v_and_b32_e32 v5, 7, v10
	v_ffbh_u32_e32 v5, v5
	v_min_u32_e32 v5, 32, v5
	v_subrev_u32_e32 v16, 28, v5
	v_cmp_gt_u32_e32 vcc, 8, v9
	v_lshrrev_b32_e32 v15, 3, v9
	v_cndmask_b32_e32 v9, 0, v16, vcc
	v_sub_u32_e32 v5, 29, v5
	v_lshlrev_b64 v[18:19], v9, v[10:11]
	v_cndmask_b32_e32 v5, v15, v5, vcc
	v_lshlrev_b32_e32 v9, 20, v18
	v_lshlrev_b32_e32 v15, 24, v10
	v_and_b32_e32 v9, 0x700000, v9
	v_and_b32_e32 v15, 0x80000000, v15
	v_lshl_add_u32 v5, v5, 23, v47
	v_or3_b32 v5, v15, v5, v9
.LBB4_6055:                             ;   in Loop: Header=BB4_6043 Depth=2
	s_or_b64 exec, exec, s[58:59]
.LBB4_6056:                             ;   in Loop: Header=BB4_6043 Depth=2
	s_or_b64 exec, exec, s[56:57]
.LBB4_6057:                             ;   in Loop: Header=BB4_6043 Depth=2
	s_or_b64 exec, exec, s[22:23]
	v_mul_f32_e32 v15, v8, v5
	v_and_b32_sdwa v9, v15, s69 dst_sel:DWORD dst_unused:UNUSED_PAD src0_sel:BYTE_3 src1_sel:DWORD
	v_and_b32_e32 v18, 0x7f800000, v15
	v_mov_b32_e32 v19, v17
	v_and_b32_e32 v16, 0x7fffff, v15
	v_or_b32_e32 v5, 0x7e, v9
	v_cmp_ne_u64_e32 vcc, s[38:39], v[18:19]
	s_and_saveexec_b64 s[22:23], vcc
	s_xor_b64 s[56:57], exec, s[22:23]
	s_cbranch_execz .LBB4_6067
; %bb.6058:                             ;   in Loop: Header=BB4_6043 Depth=2
	v_and_b32_e32 v18, 0x7fffffff, v15
	v_mov_b32_e32 v19, v17
	v_cmp_gt_u64_e32 vcc, s[40:41], v[18:19]
	s_and_saveexec_b64 s[58:59], vcc
	s_cbranch_execz .LBB4_6066
; %bb.6059:                             ;   in Loop: Header=BB4_6043 Depth=2
	v_cmp_ne_u32_e32 vcc, 0, v15
	v_mov_b32_e32 v5, 0
	s_and_saveexec_b64 s[60:61], vcc
	s_cbranch_execz .LBB4_6065
; %bb.6060:                             ;   in Loop: Header=BB4_6043 Depth=2
	v_bfe_u32 v5, v15, 23, 8
	v_sub_u32_e32 v18, 0x79, v5
	v_cmp_gt_u32_e32 vcc, s70, v5
	v_add_u32_e32 v15, 0xffffff81, v5
	v_cndmask_b32_e32 v18, 0, v18, vcc
	v_cmp_eq_u32_e32 vcc, 0, v5
	v_cndmask_b32_e32 v5, v15, v14, vcc
	v_cndmask_b32_e32 v15, v18, v37, vcc
	v_or_b32_e32 v19, 0x800000, v16
	v_add_u32_e32 v18, 20, v15
	v_cndmask_b32_e32 v16, v19, v16, vcc
	v_lshlrev_b64 v[18:19], v18, -1
	v_not_b32_e32 v18, v18
	v_lshrrev_b64 v[22:23], v15, v[16:17]
	v_not_b32_e32 v19, v19
	v_and_b32_e32 v18, v16, v18
	v_add_u32_e32 v20, 19, v15
	v_lshrrev_b32_e32 v16, 23, v22
	v_and_b32_e32 v19, 0, v19
	v_lshlrev_b64 v[20:21], v20, 1
	v_add3_u32 v16, v15, v5, v16
	v_bfe_u32 v5, v22, 20, 1
	v_add_u32_e32 v5, -1, v5
	v_cmp_eq_u64_e32 vcc, v[18:19], v[20:21]
	v_cndmask_b32_e32 v5, 0, v5, vcc
	v_add_u32_e32 v5, v5, v22
	v_and_b32_e32 v5, 0xfffff, v5
	v_add_co_u32_e32 v42, vcc, v5, v22
	v_add_u32_e32 v15, 6, v16
	v_addc_co_u32_e32 v43, vcc, 0, v23, vcc
	v_cmp_ne_u32_e32 vcc, 0, v15
                                        ; implicit-def: $vgpr5
	s_and_saveexec_b64 s[22:23], vcc
	s_xor_b64 s[22:23], exec, s[22:23]
; %bb.6061:                             ;   in Loop: Header=BB4_6043 Depth=2
	v_add_u32_e32 v5, 7, v16
	v_cmp_lt_u64_e32 vcc, s[44:45], v[42:43]
	v_cndmask_b32_e32 v5, v15, v5, vcc
	v_cndmask_b32_e64 v15, 0, 1, vcc
	v_lshrrev_b64 v[42:43], v15, v[42:43]
; %bb.6062:                             ;   in Loop: Header=BB4_6043 Depth=2
	s_andn2_saveexec_b64 s[22:23], s[22:23]
; %bb.6063:                             ;   in Loop: Header=BB4_6043 Depth=2
	v_bfe_u32 v5, v42, 23, 1
; %bb.6064:                             ;   in Loop: Header=BB4_6043 Depth=2
	s_or_b64 exec, exec, s[22:23]
	v_lshrrev_b64 v[18:19], 20, v[42:43]
	v_cmp_gt_i32_e32 vcc, 16, v5
	v_cndmask_b32_e32 v19, 0, v19, vcc
	v_cndmask_b32_e32 v18, 7, v18, vcc
	v_cmp_eq_u32_e32 vcc, 0, v5
	v_min_i32_e32 v5, 15, v5
	v_cmp_eq_u64_e64 s[22:23], 0, v[18:19]
	v_lshlrev_b32_e32 v5, 3, v5
	v_and_or_b32 v5, v18, 7, v5
	s_and_b64 s[22:23], vcc, s[22:23]
	v_cndmask_b32_e64 v5, v5, 0, s[22:23]
	v_or_b32_e32 v5, v5, v9
.LBB4_6065:                             ;   in Loop: Header=BB4_6043 Depth=2
	s_or_b64 exec, exec, s[60:61]
.LBB4_6066:                             ;   in Loop: Header=BB4_6043 Depth=2
	s_or_b64 exec, exec, s[58:59]
                                        ; implicit-def: $vgpr15
.LBB4_6067:                             ;   in Loop: Header=BB4_6043 Depth=2
	s_andn2_saveexec_b64 s[22:23], s[56:57]
; %bb.6068:                             ;   in Loop: Header=BB4_6043 Depth=2
	v_or_b32_sdwa v9, v15, s68 dst_sel:DWORD dst_unused:UNUSED_PAD src0_sel:BYTE_3 src1_sel:DWORD
	v_cmp_eq_u64_e32 vcc, 0, v[16:17]
	v_cndmask_b32_e32 v5, v9, v5, vcc
; %bb.6069:                             ;   in Loop: Header=BB4_6043 Depth=2
	s_or_b64 exec, exec, s[22:23]
	v_lshrrev_b16_e32 v16, 8, v10
	v_cmp_ne_u16_e32 vcc, 0, v16
	v_mov_b32_e32 v9, 0
	s_and_saveexec_b64 s[22:23], vcc
	s_cbranch_execz .LBB4_6075
; %bb.6070:                             ;   in Loop: Header=BB4_6043 Depth=2
	v_cmp_ne_u16_e32 vcc, s69, v16
	v_bfrev_b32_e32 v9, 1
	s_and_saveexec_b64 s[56:57], vcc
	s_cbranch_execz .LBB4_6074
; %bb.6071:                             ;   in Loop: Header=BB4_6043 Depth=2
	v_and_b32_e32 v15, 0x7f, v16
	v_cmp_ne_u32_e32 vcc, s68, v15
	v_mov_b32_e32 v9, 0x7f800001
	s_and_saveexec_b64 s[58:59], vcc
	s_cbranch_execz .LBB4_6073
; %bb.6072:                             ;   in Loop: Header=BB4_6043 Depth=2
	v_and_b32_e32 v9, 7, v16
	v_ffbh_u32_e32 v18, v9
	v_min_u32_e32 v21, 32, v18
	v_subrev_u32_e32 v18, 28, v21
	v_lshlrev_b64 v[18:19], v18, v[16:17]
	v_lshrrev_b32_e32 v20, 3, v15
	v_sub_u32_e32 v16, 29, v21
	v_and_b32_e32 v18, 7, v18
	v_cmp_gt_u32_e32 vcc, 8, v15
	v_cndmask_b32_e32 v15, v20, v16, vcc
	v_cndmask_b32_e32 v9, v9, v18, vcc
	v_lshlrev_b32_e32 v16, 16, v10
	v_lshlrev_b32_e32 v9, 20, v9
	v_and_b32_e32 v16, 0x80000000, v16
	v_lshl_add_u32 v15, v15, 23, v47
	v_or3_b32 v9, v16, v15, v9
.LBB4_6073:                             ;   in Loop: Header=BB4_6043 Depth=2
	s_or_b64 exec, exec, s[58:59]
.LBB4_6074:                             ;   in Loop: Header=BB4_6043 Depth=2
	s_or_b64 exec, exec, s[56:57]
.LBB4_6075:                             ;   in Loop: Header=BB4_6043 Depth=2
	s_or_b64 exec, exec, s[22:23]
	v_mul_f32_e32 v18, v8, v9
	v_and_b32_sdwa v15, v18, s69 dst_sel:DWORD dst_unused:UNUSED_PAD src0_sel:BYTE_3 src1_sel:DWORD
	v_and_b32_e32 v20, 0x7f800000, v18
	v_mov_b32_e32 v21, v17
	v_and_b32_e32 v16, 0x7fffff, v18
	v_or_b32_e32 v9, 0x7e, v15
	v_cmp_ne_u64_e32 vcc, s[38:39], v[20:21]
	s_and_saveexec_b64 s[22:23], vcc
	s_xor_b64 s[56:57], exec, s[22:23]
	s_cbranch_execz .LBB4_6085
; %bb.6076:                             ;   in Loop: Header=BB4_6043 Depth=2
	v_and_b32_e32 v20, 0x7fffffff, v18
	v_mov_b32_e32 v21, v17
	v_cmp_gt_u64_e32 vcc, s[40:41], v[20:21]
	s_and_saveexec_b64 s[58:59], vcc
	s_cbranch_execz .LBB4_6084
; %bb.6077:                             ;   in Loop: Header=BB4_6043 Depth=2
	v_cmp_ne_u32_e32 vcc, 0, v18
	v_mov_b32_e32 v9, 0
	s_and_saveexec_b64 s[60:61], vcc
	s_cbranch_execz .LBB4_6083
; %bb.6078:                             ;   in Loop: Header=BB4_6043 Depth=2
	v_bfe_u32 v9, v18, 23, 8
	v_sub_u32_e32 v19, 0x79, v9
	v_cmp_gt_u32_e32 vcc, s70, v9
	v_cndmask_b32_e32 v19, 0, v19, vcc
	v_cmp_eq_u32_e32 vcc, 0, v9
	v_add_u32_e32 v18, 0xffffff81, v9
	v_cndmask_b32_e32 v24, v19, v37, vcc
	v_or_b32_e32 v20, 0x800000, v16
	v_cndmask_b32_e32 v9, v18, v14, vcc
	v_add_u32_e32 v18, 20, v24
	v_cndmask_b32_e32 v16, v20, v16, vcc
	v_lshlrev_b64 v[18:19], v18, -1
	v_not_b32_e32 v18, v18
	v_lshrrev_b64 v[26:27], v24, v[16:17]
	v_not_b32_e32 v19, v19
	v_and_b32_e32 v20, v16, v18
	v_add_u32_e32 v18, 19, v24
	v_lshrrev_b32_e32 v16, 23, v26
	v_and_b32_e32 v21, 0, v19
	v_lshlrev_b64 v[22:23], v18, 1
	v_add3_u32 v18, v24, v9, v16
	v_bfe_u32 v9, v26, 20, 1
	v_add_u32_e32 v9, -1, v9
	v_cmp_eq_u64_e32 vcc, v[20:21], v[22:23]
	v_cndmask_b32_e32 v9, 0, v9, vcc
	v_add_u32_e32 v9, v9, v26
	v_and_b32_e32 v9, 0xfffff, v9
	v_add_co_u32_e32 v42, vcc, v9, v26
	v_add_u32_e32 v16, 6, v18
	v_addc_co_u32_e32 v43, vcc, 0, v27, vcc
	v_cmp_ne_u32_e32 vcc, 0, v16
                                        ; implicit-def: $vgpr9
	s_and_saveexec_b64 s[22:23], vcc
	s_xor_b64 s[22:23], exec, s[22:23]
; %bb.6079:                             ;   in Loop: Header=BB4_6043 Depth=2
	v_add_u32_e32 v9, 7, v18
	v_cmp_lt_u64_e32 vcc, s[44:45], v[42:43]
	v_cndmask_b32_e32 v9, v16, v9, vcc
	v_cndmask_b32_e64 v16, 0, 1, vcc
	v_lshrrev_b64 v[42:43], v16, v[42:43]
; %bb.6080:                             ;   in Loop: Header=BB4_6043 Depth=2
	s_andn2_saveexec_b64 s[22:23], s[22:23]
; %bb.6081:                             ;   in Loop: Header=BB4_6043 Depth=2
	v_bfe_u32 v9, v42, 23, 1
; %bb.6082:                             ;   in Loop: Header=BB4_6043 Depth=2
	s_or_b64 exec, exec, s[22:23]
	v_lshrrev_b64 v[18:19], 20, v[42:43]
	v_cmp_gt_i32_e32 vcc, 16, v9
	v_cndmask_b32_e32 v19, 0, v19, vcc
	v_cndmask_b32_e32 v18, 7, v18, vcc
	v_cmp_eq_u32_e32 vcc, 0, v9
	v_min_i32_e32 v9, 15, v9
	v_cmp_eq_u64_e64 s[22:23], 0, v[18:19]
	v_lshlrev_b32_e32 v9, 3, v9
	v_and_or_b32 v9, v18, 7, v9
	s_and_b64 s[22:23], vcc, s[22:23]
	v_cndmask_b32_e64 v9, v9, 0, s[22:23]
	v_or_b32_e32 v9, v9, v15
.LBB4_6083:                             ;   in Loop: Header=BB4_6043 Depth=2
	s_or_b64 exec, exec, s[60:61]
.LBB4_6084:                             ;   in Loop: Header=BB4_6043 Depth=2
	s_or_b64 exec, exec, s[58:59]
                                        ; implicit-def: $vgpr18
.LBB4_6085:                             ;   in Loop: Header=BB4_6043 Depth=2
	s_andn2_saveexec_b64 s[22:23], s[56:57]
; %bb.6086:                             ;   in Loop: Header=BB4_6043 Depth=2
	v_or_b32_sdwa v15, v18, s68 dst_sel:DWORD dst_unused:UNUSED_PAD src0_sel:BYTE_3 src1_sel:DWORD
	v_cmp_eq_u64_e32 vcc, 0, v[16:17]
	v_cndmask_b32_e32 v9, v15, v9, vcc
; %bb.6087:                             ;   in Loop: Header=BB4_6043 Depth=2
	s_or_b64 exec, exec, s[22:23]
	v_lshrrev_b32_e32 v16, 16, v10
	v_cmp_ne_u16_sdwa vcc, v16, v17 src0_sel:BYTE_0 src1_sel:DWORD
	v_mov_b32_e32 v15, 0
	s_and_saveexec_b64 s[22:23], vcc
	s_cbranch_execz .LBB4_6093
; %bb.6088:                             ;   in Loop: Header=BB4_6043 Depth=2
	v_cmp_ne_u16_sdwa vcc, v16, s69 src0_sel:BYTE_0 src1_sel:DWORD
	v_bfrev_b32_e32 v15, 1
	s_and_saveexec_b64 s[56:57], vcc
	s_cbranch_execz .LBB4_6092
; %bb.6089:                             ;   in Loop: Header=BB4_6043 Depth=2
	v_bfe_u32 v18, v10, 16, 7
	v_cmp_ne_u32_e32 vcc, s68, v18
	v_mov_b32_e32 v15, 0x7f800001
	s_and_saveexec_b64 s[58:59], vcc
	s_cbranch_execz .LBB4_6091
; %bb.6090:                             ;   in Loop: Header=BB4_6043 Depth=2
	v_and_b32_e32 v15, 7, v16
	v_ffbh_u32_e32 v20, v15
	v_min_u32_e32 v22, 32, v20
	v_subrev_u32_e32 v20, 28, v22
	v_lshlrev_b64 v[20:21], v20, v[16:17]
	v_lshrrev_b32_e32 v19, 3, v18
	v_sub_u32_e32 v21, 29, v22
	v_and_b32_e32 v20, 7, v20
	v_cmp_gt_u32_e32 vcc, 8, v18
	v_cndmask_b32_e32 v18, v19, v21, vcc
	v_cndmask_b32_e32 v15, v15, v20, vcc
	v_lshlrev_b32_e32 v16, 24, v16
	v_lshlrev_b32_e32 v15, 20, v15
	v_and_b32_e32 v16, 0x80000000, v16
	v_lshl_add_u32 v18, v18, 23, v47
	v_or3_b32 v15, v16, v18, v15
.LBB4_6091:                             ;   in Loop: Header=BB4_6043 Depth=2
	s_or_b64 exec, exec, s[58:59]
.LBB4_6092:                             ;   in Loop: Header=BB4_6043 Depth=2
	s_or_b64 exec, exec, s[56:57]
.LBB4_6093:                             ;   in Loop: Header=BB4_6043 Depth=2
	s_or_b64 exec, exec, s[22:23]
	v_mul_f32_e32 v18, v8, v15
	v_and_b32_sdwa v15, v18, s69 dst_sel:DWORD dst_unused:UNUSED_PAD src0_sel:BYTE_3 src1_sel:DWORD
	v_and_b32_e32 v20, 0x7f800000, v18
	v_mov_b32_e32 v21, v17
	v_and_b32_e32 v16, 0x7fffff, v18
	v_or_b32_e32 v19, 0x7e, v15
	v_cmp_ne_u64_e32 vcc, s[38:39], v[20:21]
	s_and_saveexec_b64 s[22:23], vcc
	s_xor_b64 s[56:57], exec, s[22:23]
	s_cbranch_execz .LBB4_6103
; %bb.6094:                             ;   in Loop: Header=BB4_6043 Depth=2
	v_and_b32_e32 v20, 0x7fffffff, v18
	v_mov_b32_e32 v21, v17
	v_cmp_gt_u64_e32 vcc, s[40:41], v[20:21]
	s_and_saveexec_b64 s[58:59], vcc
	s_cbranch_execz .LBB4_6102
; %bb.6095:                             ;   in Loop: Header=BB4_6043 Depth=2
	v_cmp_ne_u32_e32 vcc, 0, v18
	v_mov_b32_e32 v19, 0
	s_and_saveexec_b64 s[60:61], vcc
	s_cbranch_execz .LBB4_6101
; %bb.6096:                             ;   in Loop: Header=BB4_6043 Depth=2
	v_bfe_u32 v18, v18, 23, 8
	v_sub_u32_e32 v20, 0x79, v18
	v_cmp_gt_u32_e32 vcc, s70, v18
	v_cndmask_b32_e32 v20, 0, v20, vcc
	v_cmp_eq_u32_e32 vcc, 0, v18
	v_cndmask_b32_e32 v30, v20, v37, vcc
	v_add_u32_e32 v19, 0xffffff81, v18
	v_or_b32_e32 v21, 0x800000, v16
	v_add_u32_e32 v18, 20, v30
	v_cndmask_b32_e32 v24, v19, v14, vcc
	v_cndmask_b32_e32 v16, v21, v16, vcc
	v_lshlrev_b64 v[18:19], v18, -1
	v_not_b32_e32 v18, v18
	v_lshrrev_b64 v[26:27], v30, v[16:17]
	v_not_b32_e32 v19, v19
	v_and_b32_e32 v20, v16, v18
	v_add_u32_e32 v18, 19, v30
	v_lshrrev_b32_e32 v16, 23, v26
	v_and_b32_e32 v21, 0, v19
	v_lshlrev_b64 v[22:23], v18, 1
	v_add3_u32 v19, v30, v24, v16
	v_bfe_u32 v16, v26, 20, 1
	v_add_u32_e32 v16, -1, v16
	v_cmp_eq_u64_e32 vcc, v[20:21], v[22:23]
	v_cndmask_b32_e32 v16, 0, v16, vcc
	v_add_u32_e32 v16, v16, v26
	v_and_b32_e32 v16, 0xfffff, v16
	v_add_co_u32_e32 v42, vcc, v16, v26
	v_add_u32_e32 v18, 6, v19
	v_addc_co_u32_e32 v43, vcc, 0, v27, vcc
	v_cmp_ne_u32_e32 vcc, 0, v18
                                        ; implicit-def: $vgpr16
	s_and_saveexec_b64 s[22:23], vcc
	s_xor_b64 s[22:23], exec, s[22:23]
; %bb.6097:                             ;   in Loop: Header=BB4_6043 Depth=2
	v_add_u32_e32 v16, 7, v19
	v_cmp_lt_u64_e32 vcc, s[44:45], v[42:43]
	v_cndmask_b32_e32 v16, v18, v16, vcc
	v_cndmask_b32_e64 v18, 0, 1, vcc
	v_lshrrev_b64 v[42:43], v18, v[42:43]
; %bb.6098:                             ;   in Loop: Header=BB4_6043 Depth=2
	s_andn2_saveexec_b64 s[22:23], s[22:23]
; %bb.6099:                             ;   in Loop: Header=BB4_6043 Depth=2
	v_bfe_u32 v16, v42, 23, 1
; %bb.6100:                             ;   in Loop: Header=BB4_6043 Depth=2
	s_or_b64 exec, exec, s[22:23]
	v_lshrrev_b64 v[18:19], 20, v[42:43]
	v_cmp_gt_i32_e32 vcc, 16, v16
	v_cndmask_b32_e32 v19, 0, v19, vcc
	v_cndmask_b32_e32 v18, 7, v18, vcc
	v_cmp_eq_u32_e32 vcc, 0, v16
	v_min_i32_e32 v16, 15, v16
	v_cmp_eq_u64_e64 s[22:23], 0, v[18:19]
	v_lshlrev_b32_e32 v16, 3, v16
	v_and_or_b32 v16, v18, 7, v16
	s_and_b64 s[22:23], vcc, s[22:23]
	v_cndmask_b32_e64 v16, v16, 0, s[22:23]
	v_or_b32_e32 v19, v16, v15
.LBB4_6101:                             ;   in Loop: Header=BB4_6043 Depth=2
	s_or_b64 exec, exec, s[60:61]
.LBB4_6102:                             ;   in Loop: Header=BB4_6043 Depth=2
	s_or_b64 exec, exec, s[58:59]
                                        ; implicit-def: $vgpr18
.LBB4_6103:                             ;   in Loop: Header=BB4_6043 Depth=2
	s_andn2_saveexec_b64 s[22:23], s[56:57]
; %bb.6104:                             ;   in Loop: Header=BB4_6043 Depth=2
	v_or_b32_sdwa v15, v18, s68 dst_sel:DWORD dst_unused:UNUSED_PAD src0_sel:BYTE_3 src1_sel:DWORD
	v_cmp_eq_u64_e32 vcc, 0, v[16:17]
	v_cndmask_b32_e32 v19, v15, v19, vcc
; %bb.6105:                             ;   in Loop: Header=BB4_6043 Depth=2
	s_or_b64 exec, exec, s[22:23]
	v_cmp_lt_u32_e32 vcc, s43, v10
	v_mov_b32_e32 v15, 0
	s_and_saveexec_b64 s[22:23], vcc
	s_cbranch_execz .LBB4_6111
; %bb.6106:                             ;   in Loop: Header=BB4_6043 Depth=2
	v_lshrrev_b32_e32 v16, 24, v10
	v_cmp_ne_u32_e32 vcc, s69, v16
	v_bfrev_b32_e32 v15, 1
	s_and_saveexec_b64 s[56:57], vcc
	s_cbranch_execz .LBB4_6110
; %bb.6107:                             ;   in Loop: Header=BB4_6043 Depth=2
	v_bfe_u32 v18, v10, 24, 7
	v_cmp_ne_u32_e32 vcc, s68, v18
	v_mov_b32_e32 v15, 0x7f800001
	s_and_saveexec_b64 s[58:59], vcc
	s_cbranch_execz .LBB4_6109
; %bb.6108:                             ;   in Loop: Header=BB4_6043 Depth=2
	v_and_b32_e32 v15, 7, v16
	v_ffbh_u32_e32 v20, v15
	v_min_u32_e32 v23, 32, v20
	v_subrev_u32_e32 v20, 28, v23
	v_lshlrev_b64 v[20:21], v20, v[16:17]
	v_lshrrev_b32_e32 v22, 3, v18
	v_sub_u32_e32 v21, 29, v23
	v_and_b32_e32 v20, 7, v20
	v_cmp_gt_u32_e32 vcc, 8, v18
	v_cndmask_b32_e32 v18, v22, v21, vcc
	v_cndmask_b32_e32 v15, v15, v20, vcc
	v_lshlrev_b32_e32 v16, 24, v16
	v_lshlrev_b32_e32 v15, 20, v15
	v_and_b32_e32 v16, 0x80000000, v16
	v_lshl_add_u32 v18, v18, 23, v47
	v_or3_b32 v15, v16, v18, v15
.LBB4_6109:                             ;   in Loop: Header=BB4_6043 Depth=2
	s_or_b64 exec, exec, s[58:59]
.LBB4_6110:                             ;   in Loop: Header=BB4_6043 Depth=2
	s_or_b64 exec, exec, s[56:57]
.LBB4_6111:                             ;   in Loop: Header=BB4_6043 Depth=2
	s_or_b64 exec, exec, s[22:23]
	v_mul_f32_e32 v18, v8, v15
	v_and_b32_sdwa v15, v18, s69 dst_sel:DWORD dst_unused:UNUSED_PAD src0_sel:BYTE_3 src1_sel:DWORD
	v_and_b32_e32 v20, 0x7f800000, v18
	v_mov_b32_e32 v21, v17
	v_and_b32_e32 v16, 0x7fffff, v18
	v_or_b32_e32 v22, 0x7e, v15
	v_cmp_ne_u64_e32 vcc, s[38:39], v[20:21]
	s_and_saveexec_b64 s[22:23], vcc
	s_xor_b64 s[56:57], exec, s[22:23]
	s_cbranch_execz .LBB4_6121
; %bb.6112:                             ;   in Loop: Header=BB4_6043 Depth=2
	v_and_b32_e32 v20, 0x7fffffff, v18
	v_mov_b32_e32 v21, v17
	v_cmp_gt_u64_e32 vcc, s[40:41], v[20:21]
	s_and_saveexec_b64 s[58:59], vcc
	s_cbranch_execz .LBB4_6120
; %bb.6113:                             ;   in Loop: Header=BB4_6043 Depth=2
	v_cmp_ne_u32_e32 vcc, 0, v18
	v_mov_b32_e32 v22, 0
	s_and_saveexec_b64 s[60:61], vcc
	s_cbranch_execz .LBB4_6119
; %bb.6114:                             ;   in Loop: Header=BB4_6043 Depth=2
	v_bfe_u32 v18, v18, 23, 8
	v_sub_u32_e32 v21, 0x79, v18
	v_cmp_gt_u32_e32 vcc, s70, v18
	v_cndmask_b32_e32 v21, 0, v21, vcc
	v_cmp_eq_u32_e32 vcc, 0, v18
	v_add_u32_e32 v20, 0xffffff81, v18
	v_cndmask_b32_e32 v24, v21, v37, vcc
	v_or_b32_e32 v22, 0x800000, v16
	v_cndmask_b32_e32 v18, v20, v14, vcc
	v_add_u32_e32 v20, 20, v24
	v_cndmask_b32_e32 v16, v22, v16, vcc
	v_lshlrev_b64 v[20:21], v20, -1
	v_not_b32_e32 v20, v20
	v_lshrrev_b64 v[30:31], v24, v[16:17]
	v_not_b32_e32 v21, v21
	v_and_b32_e32 v22, v16, v20
	v_add_u32_e32 v20, 19, v24
	v_lshrrev_b32_e32 v16, 23, v30
	v_and_b32_e32 v23, 0, v21
	v_lshlrev_b64 v[26:27], v20, 1
	v_add3_u32 v20, v24, v18, v16
	v_bfe_u32 v16, v30, 20, 1
	v_add_u32_e32 v16, -1, v16
	v_cmp_eq_u64_e32 vcc, v[22:23], v[26:27]
	v_cndmask_b32_e32 v16, 0, v16, vcc
	v_add_u32_e32 v16, v16, v30
	v_and_b32_e32 v16, 0xfffff, v16
	v_add_co_u32_e32 v42, vcc, v16, v30
	v_add_u32_e32 v18, 6, v20
	v_addc_co_u32_e32 v43, vcc, 0, v31, vcc
	v_cmp_ne_u32_e32 vcc, 0, v18
                                        ; implicit-def: $vgpr16
	s_and_saveexec_b64 s[22:23], vcc
	s_xor_b64 s[22:23], exec, s[22:23]
; %bb.6115:                             ;   in Loop: Header=BB4_6043 Depth=2
	v_add_u32_e32 v16, 7, v20
	v_cmp_lt_u64_e32 vcc, s[44:45], v[42:43]
	v_cndmask_b32_e32 v16, v18, v16, vcc
	v_cndmask_b32_e64 v18, 0, 1, vcc
	v_lshrrev_b64 v[42:43], v18, v[42:43]
; %bb.6116:                             ;   in Loop: Header=BB4_6043 Depth=2
	s_andn2_saveexec_b64 s[22:23], s[22:23]
; %bb.6117:                             ;   in Loop: Header=BB4_6043 Depth=2
	v_bfe_u32 v16, v42, 23, 1
; %bb.6118:                             ;   in Loop: Header=BB4_6043 Depth=2
	s_or_b64 exec, exec, s[22:23]
	v_lshrrev_b64 v[20:21], 20, v[42:43]
	v_cmp_gt_i32_e32 vcc, 16, v16
	v_cndmask_b32_e32 v21, 0, v21, vcc
	v_cndmask_b32_e32 v20, 7, v20, vcc
	v_cmp_eq_u32_e32 vcc, 0, v16
	v_min_i32_e32 v16, 15, v16
	v_cmp_eq_u64_e64 s[22:23], 0, v[20:21]
	v_lshlrev_b32_e32 v16, 3, v16
	v_and_or_b32 v16, v20, 7, v16
	s_and_b64 s[22:23], vcc, s[22:23]
	v_cndmask_b32_e64 v16, v16, 0, s[22:23]
	v_or_b32_e32 v22, v16, v15
.LBB4_6119:                             ;   in Loop: Header=BB4_6043 Depth=2
	s_or_b64 exec, exec, s[60:61]
.LBB4_6120:                             ;   in Loop: Header=BB4_6043 Depth=2
	s_or_b64 exec, exec, s[58:59]
                                        ; implicit-def: $vgpr18
.LBB4_6121:                             ;   in Loop: Header=BB4_6043 Depth=2
	s_andn2_saveexec_b64 s[22:23], s[56:57]
; %bb.6122:                             ;   in Loop: Header=BB4_6043 Depth=2
	v_or_b32_sdwa v15, v18, s68 dst_sel:DWORD dst_unused:UNUSED_PAD src0_sel:BYTE_3 src1_sel:DWORD
	v_cmp_eq_u64_e32 vcc, 0, v[16:17]
	v_cndmask_b32_e32 v22, v15, v22, vcc
; %bb.6123:                             ;   in Loop: Header=BB4_6043 Depth=2
	s_or_b64 exec, exec, s[22:23]
	v_mov_b32_e32 v16, v11
	v_cmp_ne_u16_sdwa vcc, v11, v17 src0_sel:BYTE_0 src1_sel:DWORD
	v_mov_b32_e32 v15, 0
	s_and_saveexec_b64 s[22:23], vcc
	s_cbranch_execz .LBB4_6129
; %bb.6124:                             ;   in Loop: Header=BB4_6043 Depth=2
	v_cmp_ne_u16_sdwa vcc, v11, s69 src0_sel:BYTE_0 src1_sel:DWORD
	v_bfrev_b32_e32 v15, 1
	s_and_saveexec_b64 s[56:57], vcc
	s_cbranch_execz .LBB4_6128
; %bb.6125:                             ;   in Loop: Header=BB4_6043 Depth=2
	v_and_b32_e32 v18, 0x7f, v11
	v_cmp_ne_u32_e32 vcc, s68, v18
	v_mov_b32_e32 v15, 0x7f800001
	s_and_saveexec_b64 s[58:59], vcc
	s_cbranch_execz .LBB4_6127
; %bb.6126:                             ;   in Loop: Header=BB4_6043 Depth=2
	v_and_b32_e32 v15, 7, v11
	v_ffbh_u32_e32 v15, v15
	v_min_u32_e32 v15, 32, v15
	v_subrev_u32_e32 v21, 28, v15
	v_cmp_gt_u32_e32 vcc, 8, v18
	v_lshrrev_b32_e32 v20, 3, v18
	v_sub_u32_e32 v15, 29, v15
	v_cndmask_b32_e32 v18, 0, v21, vcc
	v_cndmask_b32_e32 v15, v20, v15, vcc
	v_lshlrev_b64 v[20:21], v18, v[16:17]
	v_lshlrev_b32_e32 v18, 20, v20
	v_lshlrev_b32_e32 v20, 24, v16
	v_and_b32_e32 v18, 0x700000, v18
	v_and_b32_e32 v20, 0x80000000, v20
	v_lshl_add_u32 v15, v15, 23, v47
	v_or3_b32 v15, v20, v15, v18
.LBB4_6127:                             ;   in Loop: Header=BB4_6043 Depth=2
	s_or_b64 exec, exec, s[58:59]
.LBB4_6128:                             ;   in Loop: Header=BB4_6043 Depth=2
	s_or_b64 exec, exec, s[56:57]
.LBB4_6129:                             ;   in Loop: Header=BB4_6043 Depth=2
	s_or_b64 exec, exec, s[22:23]
	v_mul_f32_e32 v18, v8, v15
	v_and_b32_sdwa v15, v18, s69 dst_sel:DWORD dst_unused:UNUSED_PAD src0_sel:BYTE_3 src1_sel:DWORD
	v_and_b32_e32 v20, 0x7f800000, v18
	v_mov_b32_e32 v21, v17
	v_and_b32_e32 v42, 0x7fffff, v18
	v_mov_b32_e32 v43, v17
	v_or_b32_e32 v23, 0x7e, v15
	v_cmp_ne_u64_e32 vcc, s[38:39], v[20:21]
	s_and_saveexec_b64 s[22:23], vcc
	s_xor_b64 s[56:57], exec, s[22:23]
	s_cbranch_execz .LBB4_6139
; %bb.6130:                             ;   in Loop: Header=BB4_6043 Depth=2
	v_and_b32_e32 v20, 0x7fffffff, v18
	v_mov_b32_e32 v21, v17
	v_cmp_gt_u64_e32 vcc, s[40:41], v[20:21]
	s_and_saveexec_b64 s[58:59], vcc
	s_cbranch_execz .LBB4_6138
; %bb.6131:                             ;   in Loop: Header=BB4_6043 Depth=2
	v_cmp_ne_u32_e32 vcc, 0, v18
	v_mov_b32_e32 v23, 0
	s_and_saveexec_b64 s[60:61], vcc
	s_cbranch_execz .LBB4_6137
; %bb.6132:                             ;   in Loop: Header=BB4_6043 Depth=2
	v_bfe_u32 v18, v18, 23, 8
	v_sub_u32_e32 v21, 0x79, v18
	v_cmp_gt_u32_e32 vcc, s70, v18
	v_cndmask_b32_e32 v21, 0, v21, vcc
	v_cmp_eq_u32_e32 vcc, 0, v18
	v_add_u32_e32 v20, 0xffffff81, v18
	v_cndmask_b32_e32 v24, v21, v37, vcc
	v_cndmask_b32_e32 v18, v20, v14, vcc
	v_add_u32_e32 v20, 20, v24
	v_or_b32_e32 v23, 0x800000, v42
	v_lshlrev_b64 v[20:21], v20, -1
	v_cndmask_b32_e32 v42, v23, v42, vcc
	v_not_b32_e32 v20, v20
	v_and_b32_e32 v26, v42, v20
	v_add_u32_e32 v20, 19, v24
	v_lshrrev_b64 v[32:33], v24, v[42:43]
	v_not_b32_e32 v21, v21
	v_lshlrev_b64 v[30:31], v20, 1
	v_lshrrev_b32_e32 v20, 23, v32
	v_and_b32_e32 v27, 0, v21
	v_add3_u32 v23, v24, v18, v20
	v_bfe_u32 v18, v32, 20, 1
	v_add_u32_e32 v18, -1, v18
	v_cmp_eq_u64_e32 vcc, v[26:27], v[30:31]
	v_cndmask_b32_e32 v18, 0, v18, vcc
	v_add_u32_e32 v18, v18, v32
	v_and_b32_e32 v18, 0xfffff, v18
	v_add_co_u32_e32 v42, vcc, v18, v32
	v_add_u32_e32 v20, 6, v23
	v_addc_co_u32_e32 v43, vcc, 0, v33, vcc
	v_cmp_ne_u32_e32 vcc, 0, v20
                                        ; implicit-def: $vgpr18
	s_and_saveexec_b64 s[22:23], vcc
	s_xor_b64 s[22:23], exec, s[22:23]
; %bb.6133:                             ;   in Loop: Header=BB4_6043 Depth=2
	v_add_u32_e32 v18, 7, v23
	v_cmp_lt_u64_e32 vcc, s[44:45], v[42:43]
	v_cndmask_b32_e32 v18, v20, v18, vcc
	v_cndmask_b32_e64 v20, 0, 1, vcc
	v_lshrrev_b64 v[42:43], v20, v[42:43]
; %bb.6134:                             ;   in Loop: Header=BB4_6043 Depth=2
	s_andn2_saveexec_b64 s[22:23], s[22:23]
; %bb.6135:                             ;   in Loop: Header=BB4_6043 Depth=2
	v_bfe_u32 v18, v42, 23, 1
; %bb.6136:                             ;   in Loop: Header=BB4_6043 Depth=2
	s_or_b64 exec, exec, s[22:23]
	v_lshrrev_b64 v[20:21], 20, v[42:43]
	v_cmp_gt_i32_e32 vcc, 16, v18
	v_cndmask_b32_e32 v21, 0, v21, vcc
	v_cndmask_b32_e32 v20, 7, v20, vcc
	v_cmp_eq_u32_e32 vcc, 0, v18
	v_min_i32_e32 v18, 15, v18
	v_cmp_eq_u64_e64 s[22:23], 0, v[20:21]
	v_lshlrev_b32_e32 v18, 3, v18
	v_and_or_b32 v18, v20, 7, v18
	s_and_b64 s[22:23], vcc, s[22:23]
	v_cndmask_b32_e64 v18, v18, 0, s[22:23]
	v_or_b32_e32 v23, v18, v15
.LBB4_6137:                             ;   in Loop: Header=BB4_6043 Depth=2
	s_or_b64 exec, exec, s[60:61]
.LBB4_6138:                             ;   in Loop: Header=BB4_6043 Depth=2
	s_or_b64 exec, exec, s[58:59]
                                        ; implicit-def: $vgpr18
                                        ; implicit-def: $vgpr42_vgpr43
.LBB4_6139:                             ;   in Loop: Header=BB4_6043 Depth=2
	s_andn2_saveexec_b64 s[22:23], s[56:57]
; %bb.6140:                             ;   in Loop: Header=BB4_6043 Depth=2
	v_or_b32_sdwa v15, v18, s68 dst_sel:DWORD dst_unused:UNUSED_PAD src0_sel:BYTE_3 src1_sel:DWORD
	v_cmp_eq_u64_e32 vcc, 0, v[42:43]
	v_cndmask_b32_e32 v23, v15, v23, vcc
; %bb.6141:                             ;   in Loop: Header=BB4_6043 Depth=2
	s_or_b64 exec, exec, s[22:23]
	v_lshrrev_b16_e32 v24, 8, v16
	v_cmp_ne_u16_e32 vcc, 0, v24
	v_mov_b32_e32 v15, 0
	s_and_saveexec_b64 s[22:23], vcc
	s_cbranch_execz .LBB4_6147
; %bb.6142:                             ;   in Loop: Header=BB4_6043 Depth=2
	v_cmp_ne_u16_e32 vcc, s69, v24
	v_bfrev_b32_e32 v15, 1
	s_and_saveexec_b64 s[56:57], vcc
	s_cbranch_execz .LBB4_6146
; %bb.6143:                             ;   in Loop: Header=BB4_6043 Depth=2
	v_and_b32_e32 v18, 0x7f, v24
	v_cmp_ne_u32_e32 vcc, s68, v18
	v_mov_b32_e32 v15, 0x7f800001
	s_and_saveexec_b64 s[58:59], vcc
	s_cbranch_execz .LBB4_6145
; %bb.6144:                             ;   in Loop: Header=BB4_6043 Depth=2
	v_and_b32_e32 v15, 7, v24
	v_ffbh_u32_e32 v20, v15
	v_min_u32_e32 v27, 32, v20
	v_subrev_u32_e32 v20, 28, v27
	v_lshlrev_b64 v[20:21], v20, v[24:25]
	v_lshrrev_b32_e32 v26, 3, v18
	v_sub_u32_e32 v21, 29, v27
	v_and_b32_e32 v20, 7, v20
	v_cmp_gt_u32_e32 vcc, 8, v18
	v_cndmask_b32_e32 v18, v26, v21, vcc
	v_cndmask_b32_e32 v15, v15, v20, vcc
	v_lshlrev_b32_e32 v16, 16, v16
	v_lshlrev_b32_e32 v15, 20, v15
	v_and_b32_e32 v16, 0x80000000, v16
	v_lshl_add_u32 v18, v18, 23, v47
	v_or3_b32 v15, v16, v18, v15
.LBB4_6145:                             ;   in Loop: Header=BB4_6043 Depth=2
	s_or_b64 exec, exec, s[58:59]
.LBB4_6146:                             ;   in Loop: Header=BB4_6043 Depth=2
	s_or_b64 exec, exec, s[56:57]
.LBB4_6147:                             ;   in Loop: Header=BB4_6043 Depth=2
	s_or_b64 exec, exec, s[22:23]
	v_mul_f32_e32 v18, v8, v15
	v_and_b32_sdwa v15, v18, s69 dst_sel:DWORD dst_unused:UNUSED_PAD src0_sel:BYTE_3 src1_sel:DWORD
	v_and_b32_e32 v20, 0x7f800000, v18
	v_mov_b32_e32 v21, v17
	v_and_b32_e32 v16, 0x7fffff, v18
	v_or_b32_e32 v24, 0x7e, v15
	v_cmp_ne_u64_e32 vcc, s[38:39], v[20:21]
	s_and_saveexec_b64 s[22:23], vcc
	s_xor_b64 s[56:57], exec, s[22:23]
	s_cbranch_execz .LBB4_6157
; %bb.6148:                             ;   in Loop: Header=BB4_6043 Depth=2
	v_and_b32_e32 v20, 0x7fffffff, v18
	v_mov_b32_e32 v21, v17
	v_cmp_gt_u64_e32 vcc, s[40:41], v[20:21]
	s_and_saveexec_b64 s[58:59], vcc
	s_cbranch_execz .LBB4_6156
; %bb.6149:                             ;   in Loop: Header=BB4_6043 Depth=2
	v_cmp_ne_u32_e32 vcc, 0, v18
	v_mov_b32_e32 v24, 0
	s_and_saveexec_b64 s[60:61], vcc
	s_cbranch_execz .LBB4_6155
; %bb.6150:                             ;   in Loop: Header=BB4_6043 Depth=2
	v_bfe_u32 v18, v18, 23, 8
	v_sub_u32_e32 v21, 0x79, v18
	v_cmp_gt_u32_e32 vcc, s70, v18
	v_cndmask_b32_e32 v21, 0, v21, vcc
	v_cmp_eq_u32_e32 vcc, 0, v18
	v_add_u32_e32 v20, 0xffffff81, v18
	v_cndmask_b32_e32 v34, v21, v37, vcc
	v_or_b32_e32 v24, 0x800000, v16
	v_cndmask_b32_e32 v18, v20, v14, vcc
	v_add_u32_e32 v20, 20, v34
	v_cndmask_b32_e32 v16, v24, v16, vcc
	v_lshlrev_b64 v[20:21], v20, -1
	v_not_b32_e32 v20, v20
	v_lshrrev_b64 v[32:33], v34, v[16:17]
	v_not_b32_e32 v21, v21
	v_and_b32_e32 v26, v16, v20
	v_add_u32_e32 v20, 19, v34
	v_lshrrev_b32_e32 v16, 23, v32
	v_and_b32_e32 v27, 0, v21
	v_lshlrev_b64 v[30:31], v20, 1
	v_add3_u32 v20, v34, v18, v16
	v_bfe_u32 v16, v32, 20, 1
	v_add_u32_e32 v16, -1, v16
	v_cmp_eq_u64_e32 vcc, v[26:27], v[30:31]
	v_cndmask_b32_e32 v16, 0, v16, vcc
	v_add_u32_e32 v16, v16, v32
	v_and_b32_e32 v16, 0xfffff, v16
	v_add_co_u32_e32 v42, vcc, v16, v32
	v_add_u32_e32 v18, 6, v20
	v_addc_co_u32_e32 v43, vcc, 0, v33, vcc
	v_cmp_ne_u32_e32 vcc, 0, v18
                                        ; implicit-def: $vgpr16
	s_and_saveexec_b64 s[22:23], vcc
	s_xor_b64 s[22:23], exec, s[22:23]
; %bb.6151:                             ;   in Loop: Header=BB4_6043 Depth=2
	v_add_u32_e32 v16, 7, v20
	v_cmp_lt_u64_e32 vcc, s[44:45], v[42:43]
	v_cndmask_b32_e32 v16, v18, v16, vcc
	v_cndmask_b32_e64 v18, 0, 1, vcc
	v_lshrrev_b64 v[42:43], v18, v[42:43]
; %bb.6152:                             ;   in Loop: Header=BB4_6043 Depth=2
	s_andn2_saveexec_b64 s[22:23], s[22:23]
; %bb.6153:                             ;   in Loop: Header=BB4_6043 Depth=2
	v_bfe_u32 v16, v42, 23, 1
; %bb.6154:                             ;   in Loop: Header=BB4_6043 Depth=2
	s_or_b64 exec, exec, s[22:23]
	v_lshrrev_b64 v[20:21], 20, v[42:43]
	v_cmp_gt_i32_e32 vcc, 16, v16
	v_cndmask_b32_e32 v21, 0, v21, vcc
	v_cndmask_b32_e32 v20, 7, v20, vcc
	v_cmp_eq_u32_e32 vcc, 0, v16
	v_min_i32_e32 v16, 15, v16
	v_lshlrev_b32_e32 v16, 3, v16
	v_cmp_eq_u64_e64 s[22:23], 0, v[20:21]
	v_and_b32_e32 v16, 0xf8, v16
	v_and_or_b32 v16, v20, 7, v16
	s_and_b64 s[22:23], vcc, s[22:23]
	v_cndmask_b32_e64 v16, v16, 0, s[22:23]
	v_or_b32_e32 v24, v16, v15
.LBB4_6155:                             ;   in Loop: Header=BB4_6043 Depth=2
	s_or_b64 exec, exec, s[60:61]
.LBB4_6156:                             ;   in Loop: Header=BB4_6043 Depth=2
	s_or_b64 exec, exec, s[58:59]
                                        ; implicit-def: $vgpr18
.LBB4_6157:                             ;   in Loop: Header=BB4_6043 Depth=2
	s_andn2_saveexec_b64 s[22:23], s[56:57]
; %bb.6158:                             ;   in Loop: Header=BB4_6043 Depth=2
	v_or_b32_sdwa v15, v18, s68 dst_sel:DWORD dst_unused:UNUSED_PAD src0_sel:BYTE_3 src1_sel:DWORD
	v_cmp_eq_u64_e32 vcc, 0, v[16:17]
	v_cndmask_b32_e32 v24, v15, v24, vcc
; %bb.6159:                             ;   in Loop: Header=BB4_6043 Depth=2
	s_or_b64 exec, exec, s[22:23]
	v_lshrrev_b32_e32 v16, 16, v11
	v_cmp_ne_u16_sdwa vcc, v16, v17 src0_sel:BYTE_0 src1_sel:DWORD
	v_mov_b32_e32 v15, 0
	s_and_saveexec_b64 s[22:23], vcc
	s_cbranch_execz .LBB4_6165
; %bb.6160:                             ;   in Loop: Header=BB4_6043 Depth=2
	v_cmp_ne_u16_sdwa vcc, v16, s69 src0_sel:BYTE_0 src1_sel:DWORD
	v_bfrev_b32_e32 v15, 1
	s_and_saveexec_b64 s[56:57], vcc
	s_cbranch_execz .LBB4_6164
; %bb.6161:                             ;   in Loop: Header=BB4_6043 Depth=2
	v_bfe_u32 v18, v11, 16, 7
	v_cmp_ne_u32_e32 vcc, s68, v18
	v_mov_b32_e32 v15, 0x7f800001
	s_and_saveexec_b64 s[58:59], vcc
	s_cbranch_execz .LBB4_6163
; %bb.6162:                             ;   in Loop: Header=BB4_6043 Depth=2
	v_and_b32_e32 v15, 7, v16
	v_ffbh_u32_e32 v20, v15
	v_min_u32_e32 v27, 32, v20
	v_subrev_u32_e32 v20, 28, v27
	v_lshlrev_b64 v[20:21], v20, v[16:17]
	v_lshrrev_b32_e32 v26, 3, v18
	v_sub_u32_e32 v21, 29, v27
	v_and_b32_e32 v20, 7, v20
	v_cmp_gt_u32_e32 vcc, 8, v18
	v_cndmask_b32_e32 v18, v26, v21, vcc
	v_cndmask_b32_e32 v15, v15, v20, vcc
	v_lshlrev_b32_e32 v16, 24, v16
	v_lshlrev_b32_e32 v15, 20, v15
	v_and_b32_e32 v16, 0x80000000, v16
	v_lshl_add_u32 v18, v18, 23, v47
	v_or3_b32 v15, v16, v18, v15
.LBB4_6163:                             ;   in Loop: Header=BB4_6043 Depth=2
	s_or_b64 exec, exec, s[58:59]
.LBB4_6164:                             ;   in Loop: Header=BB4_6043 Depth=2
	s_or_b64 exec, exec, s[56:57]
.LBB4_6165:                             ;   in Loop: Header=BB4_6043 Depth=2
	s_or_b64 exec, exec, s[22:23]
	v_mul_f32_e32 v18, v8, v15
	v_and_b32_sdwa v15, v18, s69 dst_sel:DWORD dst_unused:UNUSED_PAD src0_sel:BYTE_3 src1_sel:DWORD
	v_and_b32_e32 v20, 0x7f800000, v18
	v_mov_b32_e32 v21, v17
	v_and_b32_e32 v16, 0x7fffff, v18
	v_or_b32_e32 v26, 0x7e, v15
	v_cmp_ne_u64_e32 vcc, s[38:39], v[20:21]
	s_and_saveexec_b64 s[22:23], vcc
	s_xor_b64 s[56:57], exec, s[22:23]
	s_cbranch_execz .LBB4_6175
; %bb.6166:                             ;   in Loop: Header=BB4_6043 Depth=2
	v_and_b32_e32 v20, 0x7fffffff, v18
	v_mov_b32_e32 v21, v17
	v_cmp_gt_u64_e32 vcc, s[40:41], v[20:21]
	s_and_saveexec_b64 s[58:59], vcc
	s_cbranch_execz .LBB4_6174
; %bb.6167:                             ;   in Loop: Header=BB4_6043 Depth=2
	v_cmp_ne_u32_e32 vcc, 0, v18
	v_mov_b32_e32 v26, 0
	s_and_saveexec_b64 s[60:61], vcc
	s_cbranch_execz .LBB4_6173
; %bb.6168:                             ;   in Loop: Header=BB4_6043 Depth=2
	v_bfe_u32 v18, v18, 23, 8
	v_sub_u32_e32 v21, 0x79, v18
	v_cmp_gt_u32_e32 vcc, s70, v18
	v_cndmask_b32_e32 v21, 0, v21, vcc
	v_cmp_eq_u32_e32 vcc, 0, v18
	v_add_u32_e32 v20, 0xffffff81, v18
	v_cndmask_b32_e32 v34, v21, v37, vcc
	v_or_b32_e32 v26, 0x800000, v16
	v_cndmask_b32_e32 v18, v20, v14, vcc
	v_add_u32_e32 v20, 20, v34
	v_cndmask_b32_e32 v16, v26, v16, vcc
	v_lshlrev_b64 v[20:21], v20, -1
	v_not_b32_e32 v20, v20
	v_lshrrev_b64 v[32:33], v34, v[16:17]
	v_not_b32_e32 v21, v21
	v_and_b32_e32 v26, v16, v20
	v_add_u32_e32 v20, 19, v34
	v_lshrrev_b32_e32 v16, 23, v32
	v_and_b32_e32 v27, 0, v21
	v_lshlrev_b64 v[30:31], v20, 1
	v_add3_u32 v20, v34, v18, v16
	v_bfe_u32 v16, v32, 20, 1
	v_add_u32_e32 v16, -1, v16
	v_cmp_eq_u64_e32 vcc, v[26:27], v[30:31]
	v_cndmask_b32_e32 v16, 0, v16, vcc
	v_add_u32_e32 v16, v16, v32
	v_and_b32_e32 v16, 0xfffff, v16
	v_add_co_u32_e32 v42, vcc, v16, v32
	v_add_u32_e32 v18, 6, v20
	v_addc_co_u32_e32 v43, vcc, 0, v33, vcc
	v_cmp_ne_u32_e32 vcc, 0, v18
                                        ; implicit-def: $vgpr16
	s_and_saveexec_b64 s[22:23], vcc
	s_xor_b64 s[22:23], exec, s[22:23]
; %bb.6169:                             ;   in Loop: Header=BB4_6043 Depth=2
	v_add_u32_e32 v16, 7, v20
	v_cmp_lt_u64_e32 vcc, s[44:45], v[42:43]
	v_cndmask_b32_e32 v16, v18, v16, vcc
	v_cndmask_b32_e64 v18, 0, 1, vcc
	v_lshrrev_b64 v[42:43], v18, v[42:43]
; %bb.6170:                             ;   in Loop: Header=BB4_6043 Depth=2
	s_andn2_saveexec_b64 s[22:23], s[22:23]
; %bb.6171:                             ;   in Loop: Header=BB4_6043 Depth=2
	v_bfe_u32 v16, v42, 23, 1
; %bb.6172:                             ;   in Loop: Header=BB4_6043 Depth=2
	s_or_b64 exec, exec, s[22:23]
	v_lshrrev_b64 v[20:21], 20, v[42:43]
	v_cmp_gt_i32_e32 vcc, 16, v16
	v_cndmask_b32_e32 v21, 0, v21, vcc
	v_cndmask_b32_e32 v20, 7, v20, vcc
	v_cmp_eq_u32_e32 vcc, 0, v16
	v_min_i32_e32 v16, 15, v16
	v_lshlrev_b32_e32 v16, 3, v16
	v_cmp_eq_u64_e64 s[22:23], 0, v[20:21]
	v_and_b32_e32 v16, 0xf8, v16
	v_and_or_b32 v16, v20, 7, v16
	s_and_b64 s[22:23], vcc, s[22:23]
	v_cndmask_b32_e64 v16, v16, 0, s[22:23]
	v_or_b32_e32 v26, v16, v15
.LBB4_6173:                             ;   in Loop: Header=BB4_6043 Depth=2
	s_or_b64 exec, exec, s[60:61]
.LBB4_6174:                             ;   in Loop: Header=BB4_6043 Depth=2
	s_or_b64 exec, exec, s[58:59]
                                        ; implicit-def: $vgpr18
.LBB4_6175:                             ;   in Loop: Header=BB4_6043 Depth=2
	s_andn2_saveexec_b64 s[22:23], s[56:57]
; %bb.6176:                             ;   in Loop: Header=BB4_6043 Depth=2
	v_or_b32_sdwa v15, v18, s68 dst_sel:DWORD dst_unused:UNUSED_PAD src0_sel:BYTE_3 src1_sel:DWORD
	v_cmp_eq_u64_e32 vcc, 0, v[16:17]
	v_cndmask_b32_e32 v26, v15, v26, vcc
; %bb.6177:                             ;   in Loop: Header=BB4_6043 Depth=2
	s_or_b64 exec, exec, s[22:23]
	v_cmp_lt_u64_e32 vcc, s[42:43], v[10:11]
	v_mov_b32_e32 v15, 0
	s_and_saveexec_b64 s[22:23], vcc
	s_cbranch_execz .LBB4_6183
; %bb.6178:                             ;   in Loop: Header=BB4_6043 Depth=2
	v_lshrrev_b32_e32 v10, 24, v11
	v_cmp_ne_u32_e32 vcc, s69, v10
	v_bfrev_b32_e32 v15, 1
	s_and_saveexec_b64 s[56:57], vcc
	s_cbranch_execz .LBB4_6182
; %bb.6179:                             ;   in Loop: Header=BB4_6043 Depth=2
	v_bfe_u32 v11, v11, 24, 7
	v_cmp_ne_u32_e32 vcc, s68, v11
	v_mov_b32_e32 v15, 0x7f800001
	s_and_saveexec_b64 s[58:59], vcc
	s_cbranch_execz .LBB4_6181
; %bb.6180:                             ;   in Loop: Header=BB4_6043 Depth=2
	v_and_b32_e32 v15, 7, v10
	v_ffbh_u32_e32 v18, v15
	v_min_u32_e32 v18, 32, v18
	v_subrev_u32_e32 v20, 28, v18
	v_lshlrev_b64 v[20:21], v20, v[10:11]
	v_lshrrev_b32_e32 v16, 3, v11
	v_sub_u32_e32 v18, 29, v18
	v_and_b32_e32 v20, 7, v20
	v_cmp_gt_u32_e32 vcc, 8, v11
	v_cndmask_b32_e32 v11, v16, v18, vcc
	v_cndmask_b32_e32 v15, v15, v20, vcc
	v_lshlrev_b32_e32 v10, 24, v10
	v_lshlrev_b32_e32 v15, 20, v15
	v_and_b32_e32 v10, 0x80000000, v10
	v_lshl_add_u32 v11, v11, 23, v47
	v_or3_b32 v15, v10, v11, v15
.LBB4_6181:                             ;   in Loop: Header=BB4_6043 Depth=2
	s_or_b64 exec, exec, s[58:59]
.LBB4_6182:                             ;   in Loop: Header=BB4_6043 Depth=2
	s_or_b64 exec, exec, s[56:57]
.LBB4_6183:                             ;   in Loop: Header=BB4_6043 Depth=2
	s_or_b64 exec, exec, s[22:23]
	v_mul_f32_e32 v10, v8, v15
	v_and_b32_sdwa v15, v10, s69 dst_sel:DWORD dst_unused:UNUSED_PAD src0_sel:BYTE_3 src1_sel:DWORD
	v_and_b32_e32 v20, 0x7f800000, v10
	v_mov_b32_e32 v21, v17
	v_and_b32_e32 v16, 0x7fffff, v10
	v_or_b32_e32 v27, 0x7e, v15
	v_cmp_ne_u64_e32 vcc, s[38:39], v[20:21]
	s_and_saveexec_b64 s[22:23], vcc
	s_xor_b64 s[56:57], exec, s[22:23]
	s_cbranch_execz .LBB4_6193
; %bb.6184:                             ;   in Loop: Header=BB4_6043 Depth=2
	v_and_b32_e32 v20, 0x7fffffff, v10
	v_mov_b32_e32 v21, v17
	v_cmp_gt_u64_e32 vcc, s[40:41], v[20:21]
	s_and_saveexec_b64 s[58:59], vcc
	s_cbranch_execz .LBB4_6192
; %bb.6185:                             ;   in Loop: Header=BB4_6043 Depth=2
	v_cmp_ne_u32_e32 vcc, 0, v10
	v_mov_b32_e32 v27, 0
	s_and_saveexec_b64 s[60:61], vcc
	s_cbranch_execz .LBB4_6191
; %bb.6186:                             ;   in Loop: Header=BB4_6043 Depth=2
	v_bfe_u32 v10, v10, 23, 8
	v_sub_u32_e32 v18, 0x79, v10
	v_cmp_gt_u32_e32 vcc, s70, v10
	v_cndmask_b32_e32 v18, 0, v18, vcc
	v_cmp_eq_u32_e32 vcc, 0, v10
	v_cndmask_b32_e32 v18, v18, v37, vcc
	v_add_u32_e32 v11, 0xffffff81, v10
	v_or_b32_e32 v20, 0x800000, v16
	v_add_u32_e32 v10, 20, v18
	v_cndmask_b32_e32 v21, v11, v14, vcc
	v_cndmask_b32_e32 v16, v20, v16, vcc
	v_lshlrev_b64 v[10:11], v10, -1
	v_not_b32_e32 v10, v10
	v_lshrrev_b64 v[32:33], v18, v[16:17]
	v_not_b32_e32 v11, v11
	v_and_b32_e32 v10, v16, v10
	v_add_u32_e32 v20, 19, v18
	v_lshrrev_b32_e32 v16, 23, v32
	v_and_b32_e32 v11, 0, v11
	v_lshlrev_b64 v[30:31], v20, 1
	v_add3_u32 v20, v18, v21, v16
	v_bfe_u32 v16, v32, 20, 1
	v_add_u32_e32 v16, -1, v16
	v_cmp_eq_u64_e32 vcc, v[10:11], v[30:31]
	v_cndmask_b32_e32 v10, 0, v16, vcc
	v_add_u32_e32 v10, v10, v32
	v_and_b32_e32 v10, 0xfffff, v10
	v_add_co_u32_e32 v10, vcc, v10, v32
	v_add_u32_e32 v18, 6, v20
	v_addc_co_u32_e32 v11, vcc, 0, v33, vcc
	v_cmp_ne_u32_e32 vcc, 0, v18
                                        ; implicit-def: $vgpr16
	s_and_saveexec_b64 s[22:23], vcc
	s_xor_b64 s[22:23], exec, s[22:23]
; %bb.6187:                             ;   in Loop: Header=BB4_6043 Depth=2
	v_add_u32_e32 v16, 7, v20
	v_cmp_lt_u64_e32 vcc, s[44:45], v[10:11]
	v_cndmask_b32_e32 v16, v18, v16, vcc
	v_cndmask_b32_e64 v18, 0, 1, vcc
	v_lshrrev_b64 v[10:11], v18, v[10:11]
; %bb.6188:                             ;   in Loop: Header=BB4_6043 Depth=2
	s_andn2_saveexec_b64 s[22:23], s[22:23]
; %bb.6189:                             ;   in Loop: Header=BB4_6043 Depth=2
	v_bfe_u32 v16, v10, 23, 1
; %bb.6190:                             ;   in Loop: Header=BB4_6043 Depth=2
	s_or_b64 exec, exec, s[22:23]
	v_lshrrev_b64 v[10:11], 20, v[10:11]
	v_cmp_gt_i32_e32 vcc, 16, v16
	v_cndmask_b32_e32 v11, 0, v11, vcc
	v_cndmask_b32_e32 v10, 7, v10, vcc
	v_cmp_eq_u64_e64 s[22:23], 0, v[10:11]
	v_min_i32_e32 v11, 15, v16
	v_lshlrev_b32_e32 v11, 3, v11
	v_cmp_eq_u32_e32 vcc, 0, v16
	v_and_b32_e32 v11, 0xf8, v11
	v_and_or_b32 v10, v10, 7, v11
	s_and_b64 s[22:23], vcc, s[22:23]
	v_cndmask_b32_e64 v10, v10, 0, s[22:23]
	v_or_b32_e32 v27, v10, v15
.LBB4_6191:                             ;   in Loop: Header=BB4_6043 Depth=2
	s_or_b64 exec, exec, s[60:61]
.LBB4_6192:                             ;   in Loop: Header=BB4_6043 Depth=2
	s_or_b64 exec, exec, s[58:59]
                                        ; implicit-def: $vgpr10
.LBB4_6193:                             ;   in Loop: Header=BB4_6043 Depth=2
	s_andn2_saveexec_b64 s[22:23], s[56:57]
; %bb.6194:                             ;   in Loop: Header=BB4_6043 Depth=2
	v_or_b32_sdwa v10, v10, s68 dst_sel:DWORD dst_unused:UNUSED_PAD src0_sel:BYTE_3 src1_sel:DWORD
	v_cmp_eq_u64_e32 vcc, 0, v[16:17]
	v_cndmask_b32_e32 v27, v10, v27, vcc
; %bb.6195:                             ;   in Loop: Header=BB4_6043 Depth=2
	s_or_b64 exec, exec, s[22:23]
	v_cmp_ne_u16_sdwa vcc, v12, v17 src0_sel:BYTE_0 src1_sel:DWORD
	v_mov_b32_e32 v10, 0
	s_and_saveexec_b64 s[22:23], vcc
	s_cbranch_execz .LBB4_6201
; %bb.6196:                             ;   in Loop: Header=BB4_6043 Depth=2
	v_cmp_ne_u16_sdwa vcc, v12, s69 src0_sel:BYTE_0 src1_sel:DWORD
	v_bfrev_b32_e32 v10, 1
	s_and_saveexec_b64 s[56:57], vcc
	s_cbranch_execz .LBB4_6200
; %bb.6197:                             ;   in Loop: Header=BB4_6043 Depth=2
	v_and_b32_e32 v11, 0x7f, v12
	v_cmp_ne_u32_e32 vcc, s68, v11
	v_mov_b32_e32 v10, 0x7f800001
	s_and_saveexec_b64 s[58:59], vcc
	s_cbranch_execz .LBB4_6199
; %bb.6198:                             ;   in Loop: Header=BB4_6043 Depth=2
	v_and_b32_e32 v10, 7, v12
	v_ffbh_u32_e32 v10, v10
	v_min_u32_e32 v10, 32, v10
	v_lshrrev_b32_e32 v15, 3, v11
	v_subrev_u32_e32 v16, 28, v10
	v_sub_u32_e32 v10, 29, v10
	v_cmp_gt_u32_e32 vcc, 8, v11
	v_cndmask_b32_e32 v15, v15, v10, vcc
	v_cndmask_b32_e32 v10, 0, v16, vcc
	v_lshlrev_b64 v[10:11], v10, v[12:13]
	v_lshlrev_b32_e32 v10, 20, v10
	v_lshlrev_b32_e32 v11, 24, v12
	v_and_b32_e32 v10, 0x700000, v10
	v_and_b32_e32 v11, 0x80000000, v11
	v_lshl_add_u32 v15, v15, 23, v47
	v_or3_b32 v10, v11, v15, v10
.LBB4_6199:                             ;   in Loop: Header=BB4_6043 Depth=2
	s_or_b64 exec, exec, s[58:59]
.LBB4_6200:                             ;   in Loop: Header=BB4_6043 Depth=2
	s_or_b64 exec, exec, s[56:57]
.LBB4_6201:                             ;   in Loop: Header=BB4_6043 Depth=2
	s_or_b64 exec, exec, s[22:23]
	v_mul_f32_e32 v10, v8, v10
	v_and_b32_sdwa v15, v10, s69 dst_sel:DWORD dst_unused:UNUSED_PAD src0_sel:BYTE_3 src1_sel:DWORD
	v_and_b32_e32 v20, 0x7f800000, v10
	v_mov_b32_e32 v21, v17
	v_and_b32_e32 v16, 0x7fffff, v10
	v_or_b32_e32 v32, 0x7e, v15
	v_cmp_ne_u64_e32 vcc, s[38:39], v[20:21]
	s_and_saveexec_b64 s[22:23], vcc
	s_xor_b64 s[56:57], exec, s[22:23]
	s_cbranch_execz .LBB4_6211
; %bb.6202:                             ;   in Loop: Header=BB4_6043 Depth=2
	v_and_b32_e32 v20, 0x7fffffff, v10
	v_mov_b32_e32 v21, v17
	v_cmp_gt_u64_e32 vcc, s[40:41], v[20:21]
	s_and_saveexec_b64 s[58:59], vcc
	s_cbranch_execz .LBB4_6210
; %bb.6203:                             ;   in Loop: Header=BB4_6043 Depth=2
	v_cmp_ne_u32_e32 vcc, 0, v10
	v_mov_b32_e32 v32, 0
	s_and_saveexec_b64 s[60:61], vcc
	s_cbranch_execz .LBB4_6209
; %bb.6204:                             ;   in Loop: Header=BB4_6043 Depth=2
	v_bfe_u32 v10, v10, 23, 8
	v_sub_u32_e32 v18, 0x79, v10
	v_cmp_gt_u32_e32 vcc, s70, v10
	v_cndmask_b32_e32 v18, 0, v18, vcc
	v_cmp_eq_u32_e32 vcc, 0, v10
	v_cndmask_b32_e32 v18, v18, v37, vcc
	v_add_u32_e32 v11, 0xffffff81, v10
	v_or_b32_e32 v20, 0x800000, v16
	v_add_u32_e32 v10, 20, v18
	v_cndmask_b32_e32 v21, v11, v14, vcc
	v_cndmask_b32_e32 v16, v20, v16, vcc
	v_lshlrev_b64 v[10:11], v10, -1
	v_not_b32_e32 v10, v10
	v_lshrrev_b64 v[32:33], v18, v[16:17]
	v_not_b32_e32 v11, v11
	v_and_b32_e32 v10, v16, v10
	v_add_u32_e32 v20, 19, v18
	v_lshrrev_b32_e32 v16, 23, v32
	v_and_b32_e32 v11, 0, v11
	v_lshlrev_b64 v[30:31], v20, 1
	v_add3_u32 v20, v18, v21, v16
	v_bfe_u32 v16, v32, 20, 1
	v_add_u32_e32 v16, -1, v16
	v_cmp_eq_u64_e32 vcc, v[10:11], v[30:31]
	v_cndmask_b32_e32 v10, 0, v16, vcc
	v_add_u32_e32 v10, v10, v32
	v_and_b32_e32 v10, 0xfffff, v10
	v_add_co_u32_e32 v10, vcc, v10, v32
	v_add_u32_e32 v18, 6, v20
	v_addc_co_u32_e32 v11, vcc, 0, v33, vcc
	v_cmp_ne_u32_e32 vcc, 0, v18
                                        ; implicit-def: $vgpr16
	s_and_saveexec_b64 s[22:23], vcc
	s_xor_b64 s[22:23], exec, s[22:23]
; %bb.6205:                             ;   in Loop: Header=BB4_6043 Depth=2
	v_add_u32_e32 v16, 7, v20
	v_cmp_lt_u64_e32 vcc, s[44:45], v[10:11]
	v_cndmask_b32_e32 v16, v18, v16, vcc
	v_cndmask_b32_e64 v18, 0, 1, vcc
	v_lshrrev_b64 v[10:11], v18, v[10:11]
; %bb.6206:                             ;   in Loop: Header=BB4_6043 Depth=2
	s_andn2_saveexec_b64 s[22:23], s[22:23]
; %bb.6207:                             ;   in Loop: Header=BB4_6043 Depth=2
	v_bfe_u32 v16, v10, 23, 1
; %bb.6208:                             ;   in Loop: Header=BB4_6043 Depth=2
	s_or_b64 exec, exec, s[22:23]
	v_lshrrev_b64 v[10:11], 20, v[10:11]
	v_cmp_gt_i32_e32 vcc, 16, v16
	v_cndmask_b32_e32 v11, 0, v11, vcc
	v_cndmask_b32_e32 v10, 7, v10, vcc
	v_cmp_eq_u64_e64 s[22:23], 0, v[10:11]
	v_min_i32_e32 v11, 15, v16
	v_cmp_eq_u32_e32 vcc, 0, v16
	v_lshlrev_b32_e32 v11, 3, v11
	v_and_or_b32 v10, v10, 7, v11
	s_and_b64 s[22:23], vcc, s[22:23]
	v_cndmask_b32_e64 v10, v10, 0, s[22:23]
	v_or_b32_e32 v32, v10, v15
.LBB4_6209:                             ;   in Loop: Header=BB4_6043 Depth=2
	s_or_b64 exec, exec, s[60:61]
.LBB4_6210:                             ;   in Loop: Header=BB4_6043 Depth=2
	s_or_b64 exec, exec, s[58:59]
                                        ; implicit-def: $vgpr10
.LBB4_6211:                             ;   in Loop: Header=BB4_6043 Depth=2
	s_andn2_saveexec_b64 s[22:23], s[56:57]
; %bb.6212:                             ;   in Loop: Header=BB4_6043 Depth=2
	v_or_b32_sdwa v10, v10, s68 dst_sel:DWORD dst_unused:UNUSED_PAD src0_sel:BYTE_3 src1_sel:DWORD
	v_cmp_eq_u64_e32 vcc, 0, v[16:17]
	v_cndmask_b32_e32 v32, v10, v32, vcc
; %bb.6213:                             ;   in Loop: Header=BB4_6043 Depth=2
	s_or_b64 exec, exec, s[22:23]
	v_lshrrev_b16_e32 v10, 8, v12
	v_cmp_ne_u16_e32 vcc, 0, v10
	v_mov_b32_e32 v11, 0
	s_and_saveexec_b64 s[22:23], vcc
	s_cbranch_execz .LBB4_6219
; %bb.6214:                             ;   in Loop: Header=BB4_6043 Depth=2
	v_cmp_ne_u16_e32 vcc, s69, v10
	v_bfrev_b32_e32 v11, 1
	s_and_saveexec_b64 s[56:57], vcc
	s_cbranch_execz .LBB4_6218
; %bb.6215:                             ;   in Loop: Header=BB4_6043 Depth=2
	v_and_b32_e32 v15, 0x7f, v10
	v_cmp_ne_u32_e32 vcc, s68, v15
	v_mov_b32_e32 v11, 0x7f800001
	s_and_saveexec_b64 s[58:59], vcc
	s_cbranch_execz .LBB4_6217
; %bb.6216:                             ;   in Loop: Header=BB4_6043 Depth=2
	v_and_b32_e32 v16, 7, v10
	v_ffbh_u32_e32 v11, v16
	v_min_u32_e32 v20, 32, v11
	v_subrev_u32_e32 v11, 28, v20
	v_lshlrev_b64 v[10:11], v11, v[10:11]
	v_lshrrev_b32_e32 v18, 3, v15
	v_sub_u32_e32 v11, 29, v20
	v_and_b32_e32 v10, 7, v10
	v_cmp_gt_u32_e32 vcc, 8, v15
	v_cndmask_b32_e32 v11, v18, v11, vcc
	v_cndmask_b32_e32 v10, v16, v10, vcc
	v_lshlrev_b32_e32 v15, 16, v12
	v_lshlrev_b32_e32 v10, 20, v10
	v_and_b32_e32 v15, 0x80000000, v15
	v_lshl_add_u32 v11, v11, 23, v47
	v_or3_b32 v11, v15, v11, v10
.LBB4_6217:                             ;   in Loop: Header=BB4_6043 Depth=2
	s_or_b64 exec, exec, s[58:59]
.LBB4_6218:                             ;   in Loop: Header=BB4_6043 Depth=2
	s_or_b64 exec, exec, s[56:57]
.LBB4_6219:                             ;   in Loop: Header=BB4_6043 Depth=2
	s_or_b64 exec, exec, s[22:23]
	v_mul_f32_e32 v10, v8, v11
	v_and_b32_sdwa v15, v10, s69 dst_sel:DWORD dst_unused:UNUSED_PAD src0_sel:BYTE_3 src1_sel:DWORD
	v_and_b32_e32 v20, 0x7f800000, v10
	v_mov_b32_e32 v21, v17
	v_and_b32_e32 v16, 0x7fffff, v10
	v_or_b32_e32 v33, 0x7e, v15
	v_cmp_ne_u64_e32 vcc, s[38:39], v[20:21]
	s_and_saveexec_b64 s[22:23], vcc
	s_xor_b64 s[56:57], exec, s[22:23]
	s_cbranch_execz .LBB4_6229
; %bb.6220:                             ;   in Loop: Header=BB4_6043 Depth=2
	v_and_b32_e32 v20, 0x7fffffff, v10
	v_mov_b32_e32 v21, v17
	v_cmp_gt_u64_e32 vcc, s[40:41], v[20:21]
	s_and_saveexec_b64 s[58:59], vcc
	s_cbranch_execz .LBB4_6228
; %bb.6221:                             ;   in Loop: Header=BB4_6043 Depth=2
	v_cmp_ne_u32_e32 vcc, 0, v10
	v_mov_b32_e32 v33, 0
	s_and_saveexec_b64 s[60:61], vcc
	s_cbranch_execz .LBB4_6227
; %bb.6222:                             ;   in Loop: Header=BB4_6043 Depth=2
	v_bfe_u32 v10, v10, 23, 8
	v_sub_u32_e32 v18, 0x79, v10
	v_cmp_gt_u32_e32 vcc, s70, v10
	v_cndmask_b32_e32 v18, 0, v18, vcc
	v_cmp_eq_u32_e32 vcc, 0, v10
	v_cndmask_b32_e32 v18, v18, v37, vcc
	v_add_u32_e32 v11, 0xffffff81, v10
	v_or_b32_e32 v20, 0x800000, v16
	v_add_u32_e32 v10, 20, v18
	v_cndmask_b32_e32 v21, v11, v14, vcc
	v_cndmask_b32_e32 v16, v20, v16, vcc
	v_lshlrev_b64 v[10:11], v10, -1
	v_not_b32_e32 v10, v10
	v_lshrrev_b64 v[34:35], v18, v[16:17]
	v_not_b32_e32 v11, v11
	v_and_b32_e32 v10, v16, v10
	v_add_u32_e32 v20, 19, v18
	v_lshrrev_b32_e32 v16, 23, v34
	v_and_b32_e32 v11, 0, v11
	v_lshlrev_b64 v[30:31], v20, 1
	v_add3_u32 v20, v18, v21, v16
	v_bfe_u32 v16, v34, 20, 1
	v_add_u32_e32 v16, -1, v16
	v_cmp_eq_u64_e32 vcc, v[10:11], v[30:31]
	v_cndmask_b32_e32 v10, 0, v16, vcc
	v_add_u32_e32 v10, v10, v34
	v_and_b32_e32 v10, 0xfffff, v10
	v_add_co_u32_e32 v10, vcc, v10, v34
	v_add_u32_e32 v18, 6, v20
	v_addc_co_u32_e32 v11, vcc, 0, v35, vcc
	v_cmp_ne_u32_e32 vcc, 0, v18
                                        ; implicit-def: $vgpr16
	s_and_saveexec_b64 s[22:23], vcc
	s_xor_b64 s[22:23], exec, s[22:23]
; %bb.6223:                             ;   in Loop: Header=BB4_6043 Depth=2
	v_add_u32_e32 v16, 7, v20
	v_cmp_lt_u64_e32 vcc, s[44:45], v[10:11]
	v_cndmask_b32_e32 v16, v18, v16, vcc
	v_cndmask_b32_e64 v18, 0, 1, vcc
	v_lshrrev_b64 v[10:11], v18, v[10:11]
; %bb.6224:                             ;   in Loop: Header=BB4_6043 Depth=2
	s_andn2_saveexec_b64 s[22:23], s[22:23]
; %bb.6225:                             ;   in Loop: Header=BB4_6043 Depth=2
	v_bfe_u32 v16, v10, 23, 1
; %bb.6226:                             ;   in Loop: Header=BB4_6043 Depth=2
	s_or_b64 exec, exec, s[22:23]
	v_lshrrev_b64 v[10:11], 20, v[10:11]
	v_cmp_gt_i32_e32 vcc, 16, v16
	v_cndmask_b32_e32 v11, 0, v11, vcc
	v_cndmask_b32_e32 v10, 7, v10, vcc
	v_cmp_eq_u64_e64 s[22:23], 0, v[10:11]
	v_min_i32_e32 v11, 15, v16
	v_cmp_eq_u32_e32 vcc, 0, v16
	v_lshlrev_b32_e32 v11, 3, v11
	v_and_or_b32 v10, v10, 7, v11
	s_and_b64 s[22:23], vcc, s[22:23]
	v_cndmask_b32_e64 v10, v10, 0, s[22:23]
	v_or_b32_e32 v33, v10, v15
.LBB4_6227:                             ;   in Loop: Header=BB4_6043 Depth=2
	s_or_b64 exec, exec, s[60:61]
.LBB4_6228:                             ;   in Loop: Header=BB4_6043 Depth=2
	s_or_b64 exec, exec, s[58:59]
                                        ; implicit-def: $vgpr10
.LBB4_6229:                             ;   in Loop: Header=BB4_6043 Depth=2
	s_andn2_saveexec_b64 s[22:23], s[56:57]
; %bb.6230:                             ;   in Loop: Header=BB4_6043 Depth=2
	v_or_b32_sdwa v10, v10, s68 dst_sel:DWORD dst_unused:UNUSED_PAD src0_sel:BYTE_3 src1_sel:DWORD
	v_cmp_eq_u64_e32 vcc, 0, v[16:17]
	v_cndmask_b32_e32 v33, v10, v33, vcc
; %bb.6231:                             ;   in Loop: Header=BB4_6043 Depth=2
	s_or_b64 exec, exec, s[22:23]
	v_lshrrev_b32_e32 v10, 16, v12
	v_cmp_ne_u16_sdwa vcc, v10, v17 src0_sel:BYTE_0 src1_sel:DWORD
	v_mov_b32_e32 v11, 0
	s_and_saveexec_b64 s[22:23], vcc
	s_cbranch_execz .LBB4_6237
; %bb.6232:                             ;   in Loop: Header=BB4_6043 Depth=2
	v_cmp_ne_u16_sdwa vcc, v10, s69 src0_sel:BYTE_0 src1_sel:DWORD
	v_bfrev_b32_e32 v11, 1
	s_and_saveexec_b64 s[56:57], vcc
	s_cbranch_execz .LBB4_6236
; %bb.6233:                             ;   in Loop: Header=BB4_6043 Depth=2
	v_bfe_u32 v15, v12, 16, 7
	v_cmp_ne_u32_e32 vcc, s68, v15
	v_mov_b32_e32 v11, 0x7f800001
	s_and_saveexec_b64 s[58:59], vcc
	s_cbranch_execz .LBB4_6235
; %bb.6234:                             ;   in Loop: Header=BB4_6043 Depth=2
	v_and_b32_e32 v11, 7, v10
	v_ffbh_u32_e32 v18, v11
	v_min_u32_e32 v18, 32, v18
	v_subrev_u32_e32 v20, 28, v18
	v_lshlrev_b64 v[20:21], v20, v[10:11]
	v_lshrrev_b32_e32 v16, 3, v15
	v_sub_u32_e32 v18, 29, v18
	v_and_b32_e32 v20, 7, v20
	v_cmp_gt_u32_e32 vcc, 8, v15
	v_cndmask_b32_e32 v15, v16, v18, vcc
	v_cndmask_b32_e32 v11, v11, v20, vcc
	v_lshlrev_b32_e32 v10, 24, v10
	v_lshlrev_b32_e32 v11, 20, v11
	v_and_b32_e32 v10, 0x80000000, v10
	v_lshl_add_u32 v15, v15, 23, v47
	v_or3_b32 v11, v10, v15, v11
.LBB4_6235:                             ;   in Loop: Header=BB4_6043 Depth=2
	s_or_b64 exec, exec, s[58:59]
.LBB4_6236:                             ;   in Loop: Header=BB4_6043 Depth=2
	s_or_b64 exec, exec, s[56:57]
.LBB4_6237:                             ;   in Loop: Header=BB4_6043 Depth=2
	s_or_b64 exec, exec, s[22:23]
	v_mul_f32_e32 v10, v8, v11
	v_and_b32_sdwa v15, v10, s69 dst_sel:DWORD dst_unused:UNUSED_PAD src0_sel:BYTE_3 src1_sel:DWORD
	v_and_b32_e32 v20, 0x7f800000, v10
	v_mov_b32_e32 v21, v17
	v_and_b32_e32 v16, 0x7fffff, v10
	v_or_b32_e32 v18, 0x7e, v15
	v_cmp_ne_u64_e32 vcc, s[38:39], v[20:21]
	s_and_saveexec_b64 s[22:23], vcc
	s_xor_b64 s[56:57], exec, s[22:23]
	s_cbranch_execz .LBB4_6247
; %bb.6238:                             ;   in Loop: Header=BB4_6043 Depth=2
	v_and_b32_e32 v20, 0x7fffffff, v10
	v_mov_b32_e32 v21, v17
	v_cmp_gt_u64_e32 vcc, s[40:41], v[20:21]
	s_and_saveexec_b64 s[58:59], vcc
	s_cbranch_execz .LBB4_6246
; %bb.6239:                             ;   in Loop: Header=BB4_6043 Depth=2
	v_cmp_ne_u32_e32 vcc, 0, v10
	v_mov_b32_e32 v18, 0
	s_and_saveexec_b64 s[60:61], vcc
	s_cbranch_execz .LBB4_6245
; %bb.6240:                             ;   in Loop: Header=BB4_6043 Depth=2
	v_bfe_u32 v10, v10, 23, 8
	v_sub_u32_e32 v18, 0x79, v10
	v_cmp_gt_u32_e32 vcc, s70, v10
	v_cndmask_b32_e32 v18, 0, v18, vcc
	v_cmp_eq_u32_e32 vcc, 0, v10
	v_cndmask_b32_e32 v18, v18, v37, vcc
	v_add_u32_e32 v11, 0xffffff81, v10
	v_or_b32_e32 v20, 0x800000, v16
	v_add_u32_e32 v10, 20, v18
	v_cndmask_b32_e32 v21, v11, v14, vcc
	v_cndmask_b32_e32 v16, v20, v16, vcc
	v_lshlrev_b64 v[10:11], v10, -1
	v_not_b32_e32 v10, v10
	v_lshrrev_b64 v[34:35], v18, v[16:17]
	v_not_b32_e32 v11, v11
	v_and_b32_e32 v10, v16, v10
	v_add_u32_e32 v20, 19, v18
	v_lshrrev_b32_e32 v16, 23, v34
	v_and_b32_e32 v11, 0, v11
	v_lshlrev_b64 v[30:31], v20, 1
	v_add3_u32 v20, v18, v21, v16
	v_bfe_u32 v16, v34, 20, 1
	v_add_u32_e32 v16, -1, v16
	v_cmp_eq_u64_e32 vcc, v[10:11], v[30:31]
	v_cndmask_b32_e32 v10, 0, v16, vcc
	v_add_u32_e32 v10, v10, v34
	v_and_b32_e32 v10, 0xfffff, v10
	v_add_co_u32_e32 v10, vcc, v10, v34
	v_add_u32_e32 v18, 6, v20
	v_addc_co_u32_e32 v11, vcc, 0, v35, vcc
	v_cmp_ne_u32_e32 vcc, 0, v18
                                        ; implicit-def: $vgpr16
	s_and_saveexec_b64 s[22:23], vcc
	s_xor_b64 s[22:23], exec, s[22:23]
; %bb.6241:                             ;   in Loop: Header=BB4_6043 Depth=2
	v_add_u32_e32 v16, 7, v20
	v_cmp_lt_u64_e32 vcc, s[44:45], v[10:11]
	v_cndmask_b32_e32 v16, v18, v16, vcc
	v_cndmask_b32_e64 v18, 0, 1, vcc
	v_lshrrev_b64 v[10:11], v18, v[10:11]
; %bb.6242:                             ;   in Loop: Header=BB4_6043 Depth=2
	s_andn2_saveexec_b64 s[22:23], s[22:23]
; %bb.6243:                             ;   in Loop: Header=BB4_6043 Depth=2
	v_bfe_u32 v16, v10, 23, 1
; %bb.6244:                             ;   in Loop: Header=BB4_6043 Depth=2
	s_or_b64 exec, exec, s[22:23]
	v_lshrrev_b64 v[10:11], 20, v[10:11]
	v_cmp_gt_i32_e32 vcc, 16, v16
	v_cndmask_b32_e32 v11, 0, v11, vcc
	v_cndmask_b32_e32 v10, 7, v10, vcc
	v_cmp_eq_u64_e64 s[22:23], 0, v[10:11]
	v_min_i32_e32 v11, 15, v16
	v_cmp_eq_u32_e32 vcc, 0, v16
	v_lshlrev_b32_e32 v11, 3, v11
	v_and_or_b32 v10, v10, 7, v11
	s_and_b64 s[22:23], vcc, s[22:23]
	v_cndmask_b32_e64 v10, v10, 0, s[22:23]
	v_or_b32_e32 v18, v10, v15
.LBB4_6245:                             ;   in Loop: Header=BB4_6043 Depth=2
	s_or_b64 exec, exec, s[60:61]
.LBB4_6246:                             ;   in Loop: Header=BB4_6043 Depth=2
	s_or_b64 exec, exec, s[58:59]
                                        ; implicit-def: $vgpr10
.LBB4_6247:                             ;   in Loop: Header=BB4_6043 Depth=2
	s_andn2_saveexec_b64 s[22:23], s[56:57]
; %bb.6248:                             ;   in Loop: Header=BB4_6043 Depth=2
	v_or_b32_sdwa v10, v10, s68 dst_sel:DWORD dst_unused:UNUSED_PAD src0_sel:BYTE_3 src1_sel:DWORD
	v_cmp_eq_u64_e32 vcc, 0, v[16:17]
	v_cndmask_b32_e32 v18, v10, v18, vcc
; %bb.6249:                             ;   in Loop: Header=BB4_6043 Depth=2
	s_or_b64 exec, exec, s[22:23]
	v_cmp_lt_u32_e32 vcc, s43, v12
	v_mov_b32_e32 v11, 0
	s_and_saveexec_b64 s[22:23], vcc
	s_cbranch_execz .LBB4_6255
; %bb.6250:                             ;   in Loop: Header=BB4_6043 Depth=2
	v_lshrrev_b32_e32 v10, 24, v12
	v_cmp_ne_u32_e32 vcc, s69, v10
	v_bfrev_b32_e32 v11, 1
	s_and_saveexec_b64 s[56:57], vcc
	s_cbranch_execz .LBB4_6254
; %bb.6251:                             ;   in Loop: Header=BB4_6043 Depth=2
	v_bfe_u32 v15, v12, 24, 7
	v_cmp_ne_u32_e32 vcc, s68, v15
	v_mov_b32_e32 v11, 0x7f800001
	s_and_saveexec_b64 s[58:59], vcc
	s_cbranch_execz .LBB4_6253
; %bb.6252:                             ;   in Loop: Header=BB4_6043 Depth=2
	v_and_b32_e32 v11, 7, v10
	v_ffbh_u32_e32 v20, v11
	v_min_u32_e32 v30, 32, v20
	v_subrev_u32_e32 v20, 28, v30
	v_lshlrev_b64 v[20:21], v20, v[10:11]
	v_lshrrev_b32_e32 v16, 3, v15
	v_sub_u32_e32 v21, 29, v30
	v_and_b32_e32 v20, 7, v20
	v_cmp_gt_u32_e32 vcc, 8, v15
	v_cndmask_b32_e32 v15, v16, v21, vcc
	v_cndmask_b32_e32 v11, v11, v20, vcc
	v_lshlrev_b32_e32 v10, 24, v10
	v_lshlrev_b32_e32 v11, 20, v11
	v_and_b32_e32 v10, 0x80000000, v10
	v_lshl_add_u32 v15, v15, 23, v47
	v_or3_b32 v11, v10, v15, v11
.LBB4_6253:                             ;   in Loop: Header=BB4_6043 Depth=2
	s_or_b64 exec, exec, s[58:59]
.LBB4_6254:                             ;   in Loop: Header=BB4_6043 Depth=2
	s_or_b64 exec, exec, s[56:57]
.LBB4_6255:                             ;   in Loop: Header=BB4_6043 Depth=2
	s_or_b64 exec, exec, s[22:23]
	v_mul_f32_e32 v10, v8, v11
	v_and_b32_sdwa v15, v10, s69 dst_sel:DWORD dst_unused:UNUSED_PAD src0_sel:BYTE_3 src1_sel:DWORD
	v_and_b32_e32 v20, 0x7f800000, v10
	v_mov_b32_e32 v21, v17
	v_and_b32_e32 v16, 0x7fffff, v10
	v_or_b32_e32 v34, 0x7e, v15
	v_cmp_ne_u64_e32 vcc, s[38:39], v[20:21]
	s_and_saveexec_b64 s[22:23], vcc
	s_xor_b64 s[56:57], exec, s[22:23]
	s_cbranch_execz .LBB4_6265
; %bb.6256:                             ;   in Loop: Header=BB4_6043 Depth=2
	v_and_b32_e32 v20, 0x7fffffff, v10
	v_mov_b32_e32 v21, v17
	v_cmp_gt_u64_e32 vcc, s[40:41], v[20:21]
	s_and_saveexec_b64 s[58:59], vcc
	s_cbranch_execz .LBB4_6264
; %bb.6257:                             ;   in Loop: Header=BB4_6043 Depth=2
	v_cmp_ne_u32_e32 vcc, 0, v10
	v_mov_b32_e32 v34, 0
	s_and_saveexec_b64 s[60:61], vcc
	s_cbranch_execz .LBB4_6263
; %bb.6258:                             ;   in Loop: Header=BB4_6043 Depth=2
	v_bfe_u32 v10, v10, 23, 8
	v_sub_u32_e32 v20, 0x79, v10
	v_cmp_gt_u32_e32 vcc, s70, v10
	v_cndmask_b32_e32 v20, 0, v20, vcc
	v_cmp_eq_u32_e32 vcc, 0, v10
	v_cndmask_b32_e32 v20, v20, v37, vcc
	v_add_u32_e32 v11, 0xffffff81, v10
	v_or_b32_e32 v21, 0x800000, v16
	v_add_u32_e32 v10, 20, v20
	v_cndmask_b32_e32 v34, v11, v14, vcc
	v_cndmask_b32_e32 v16, v21, v16, vcc
	v_lshlrev_b64 v[10:11], v10, -1
	v_not_b32_e32 v10, v10
	v_lshrrev_b64 v[38:39], v20, v[16:17]
	v_not_b32_e32 v11, v11
	v_and_b32_e32 v10, v16, v10
	v_add_u32_e32 v21, 19, v20
	v_lshrrev_b32_e32 v16, 23, v38
	v_and_b32_e32 v11, 0, v11
	v_lshlrev_b64 v[30:31], v21, 1
	v_add3_u32 v34, v20, v34, v16
	v_bfe_u32 v16, v38, 20, 1
	v_add_u32_e32 v16, -1, v16
	v_cmp_eq_u64_e32 vcc, v[10:11], v[30:31]
	v_cndmask_b32_e32 v10, 0, v16, vcc
	v_add_u32_e32 v10, v10, v38
	v_and_b32_e32 v10, 0xfffff, v10
	v_add_co_u32_e32 v10, vcc, v10, v38
	v_add_u32_e32 v20, 6, v34
	v_addc_co_u32_e32 v11, vcc, 0, v39, vcc
	v_cmp_ne_u32_e32 vcc, 0, v20
                                        ; implicit-def: $vgpr16
	s_and_saveexec_b64 s[22:23], vcc
	s_xor_b64 s[22:23], exec, s[22:23]
; %bb.6259:                             ;   in Loop: Header=BB4_6043 Depth=2
	v_add_u32_e32 v16, 7, v34
	v_cmp_lt_u64_e32 vcc, s[44:45], v[10:11]
	v_cndmask_b32_e32 v16, v20, v16, vcc
	v_cndmask_b32_e64 v20, 0, 1, vcc
	v_lshrrev_b64 v[10:11], v20, v[10:11]
; %bb.6260:                             ;   in Loop: Header=BB4_6043 Depth=2
	s_andn2_saveexec_b64 s[22:23], s[22:23]
; %bb.6261:                             ;   in Loop: Header=BB4_6043 Depth=2
	v_bfe_u32 v16, v10, 23, 1
; %bb.6262:                             ;   in Loop: Header=BB4_6043 Depth=2
	s_or_b64 exec, exec, s[22:23]
	v_lshrrev_b64 v[10:11], 20, v[10:11]
	v_cmp_gt_i32_e32 vcc, 16, v16
	v_cndmask_b32_e32 v11, 0, v11, vcc
	v_cndmask_b32_e32 v10, 7, v10, vcc
	v_cmp_eq_u64_e64 s[22:23], 0, v[10:11]
	v_min_i32_e32 v11, 15, v16
	v_cmp_eq_u32_e32 vcc, 0, v16
	v_lshlrev_b32_e32 v11, 3, v11
	v_and_or_b32 v10, v10, 7, v11
	s_and_b64 s[22:23], vcc, s[22:23]
	v_cndmask_b32_e64 v10, v10, 0, s[22:23]
	v_or_b32_e32 v34, v10, v15
.LBB4_6263:                             ;   in Loop: Header=BB4_6043 Depth=2
	s_or_b64 exec, exec, s[60:61]
.LBB4_6264:                             ;   in Loop: Header=BB4_6043 Depth=2
	s_or_b64 exec, exec, s[58:59]
                                        ; implicit-def: $vgpr10
.LBB4_6265:                             ;   in Loop: Header=BB4_6043 Depth=2
	s_andn2_saveexec_b64 s[22:23], s[56:57]
; %bb.6266:                             ;   in Loop: Header=BB4_6043 Depth=2
	v_or_b32_sdwa v10, v10, s68 dst_sel:DWORD dst_unused:UNUSED_PAD src0_sel:BYTE_3 src1_sel:DWORD
	v_cmp_eq_u64_e32 vcc, 0, v[16:17]
	v_cndmask_b32_e32 v34, v10, v34, vcc
; %bb.6267:                             ;   in Loop: Header=BB4_6043 Depth=2
	s_or_b64 exec, exec, s[22:23]
	v_mov_b32_e32 v16, v13
	v_cmp_ne_u16_sdwa vcc, v13, v17 src0_sel:BYTE_0 src1_sel:DWORD
	v_mov_b32_e32 v10, 0
	s_and_saveexec_b64 s[22:23], vcc
	s_cbranch_execz .LBB4_6273
; %bb.6268:                             ;   in Loop: Header=BB4_6043 Depth=2
	v_cmp_ne_u16_sdwa vcc, v13, s69 src0_sel:BYTE_0 src1_sel:DWORD
	v_bfrev_b32_e32 v10, 1
	s_and_saveexec_b64 s[56:57], vcc
	s_cbranch_execz .LBB4_6272
; %bb.6269:                             ;   in Loop: Header=BB4_6043 Depth=2
	v_and_b32_e32 v11, 0x7f, v13
	v_cmp_ne_u32_e32 vcc, s68, v11
	v_mov_b32_e32 v10, 0x7f800001
	s_and_saveexec_b64 s[58:59], vcc
	s_cbranch_execz .LBB4_6271
; %bb.6270:                             ;   in Loop: Header=BB4_6043 Depth=2
	v_and_b32_e32 v10, 7, v13
	v_ffbh_u32_e32 v10, v10
	v_min_u32_e32 v10, 32, v10
	v_lshrrev_b32_e32 v15, 3, v11
	v_subrev_u32_e32 v20, 28, v10
	v_sub_u32_e32 v10, 29, v10
	v_cmp_gt_u32_e32 vcc, 8, v11
	v_cndmask_b32_e32 v15, v15, v10, vcc
	v_cndmask_b32_e32 v10, 0, v20, vcc
	v_lshlrev_b64 v[10:11], v10, v[16:17]
	v_lshlrev_b32_e32 v10, 20, v10
	v_lshlrev_b32_e32 v11, 24, v16
	v_and_b32_e32 v10, 0x700000, v10
	v_and_b32_e32 v11, 0x80000000, v11
	v_lshl_add_u32 v15, v15, 23, v47
	v_or3_b32 v10, v11, v15, v10
.LBB4_6271:                             ;   in Loop: Header=BB4_6043 Depth=2
	s_or_b64 exec, exec, s[58:59]
.LBB4_6272:                             ;   in Loop: Header=BB4_6043 Depth=2
	s_or_b64 exec, exec, s[56:57]
.LBB4_6273:                             ;   in Loop: Header=BB4_6043 Depth=2
	s_or_b64 exec, exec, s[22:23]
	v_mul_f32_e32 v35, v8, v10
	v_and_b32_sdwa v15, v35, s69 dst_sel:DWORD dst_unused:UNUSED_PAD src0_sel:BYTE_3 src1_sel:DWORD
	v_and_b32_e32 v30, 0x7f800000, v35
	v_mov_b32_e32 v31, v17
	v_and_b32_e32 v10, 0x7fffff, v35
	v_mov_b32_e32 v11, v17
	v_or_b32_e32 v20, 0x7e, v15
	v_cmp_ne_u64_e32 vcc, s[38:39], v[30:31]
	s_and_saveexec_b64 s[22:23], vcc
	s_xor_b64 s[56:57], exec, s[22:23]
	s_cbranch_execz .LBB4_6283
; %bb.6274:                             ;   in Loop: Header=BB4_6043 Depth=2
	v_and_b32_e32 v30, 0x7fffffff, v35
	v_mov_b32_e32 v31, v17
	v_cmp_gt_u64_e32 vcc, s[40:41], v[30:31]
	s_and_saveexec_b64 s[58:59], vcc
	s_cbranch_execz .LBB4_6282
; %bb.6275:                             ;   in Loop: Header=BB4_6043 Depth=2
	v_cmp_ne_u32_e32 vcc, 0, v35
	v_mov_b32_e32 v20, 0
	s_and_saveexec_b64 s[60:61], vcc
	s_cbranch_execz .LBB4_6281
; %bb.6276:                             ;   in Loop: Header=BB4_6043 Depth=2
	v_bfe_u32 v20, v35, 23, 8
	v_sub_u32_e32 v30, 0x79, v20
	v_cmp_gt_u32_e32 vcc, s70, v20
	v_cndmask_b32_e32 v30, 0, v30, vcc
	v_cmp_eq_u32_e32 vcc, 0, v20
	v_cndmask_b32_e32 v36, v30, v37, vcc
	v_add_u32_e32 v21, 0xffffff81, v20
	v_add_u32_e32 v20, 20, v36
	v_or_b32_e32 v31, 0x800000, v10
	v_cndmask_b32_e32 v35, v21, v14, vcc
	v_lshlrev_b64 v[20:21], v20, -1
	v_cndmask_b32_e32 v10, v31, v10, vcc
	v_not_b32_e32 v20, v20
	v_and_b32_e32 v20, v10, v20
	v_lshrrev_b64 v[10:11], v36, v[10:11]
	v_not_b32_e32 v21, v21
	v_add_u32_e32 v30, 19, v36
	v_lshrrev_b32_e32 v38, 23, v10
	v_and_b32_e32 v21, 0, v21
	v_lshlrev_b64 v[30:31], v30, 1
	v_add3_u32 v36, v36, v35, v38
	v_bfe_u32 v38, v10, 20, 1
	v_add_u32_e32 v38, -1, v38
	v_cmp_eq_u64_e32 vcc, v[20:21], v[30:31]
	v_cndmask_b32_e32 v20, 0, v38, vcc
	v_add_u32_e32 v20, v20, v10
	v_and_b32_e32 v20, 0xfffff, v20
	v_add_co_u32_e32 v10, vcc, v20, v10
	v_add_u32_e32 v35, 6, v36
	v_addc_co_u32_e32 v11, vcc, 0, v11, vcc
	v_cmp_ne_u32_e32 vcc, 0, v35
                                        ; implicit-def: $vgpr20
	s_and_saveexec_b64 s[22:23], vcc
	s_xor_b64 s[22:23], exec, s[22:23]
; %bb.6277:                             ;   in Loop: Header=BB4_6043 Depth=2
	v_cmp_lt_u64_e32 vcc, s[44:45], v[10:11]
	v_add_u32_e32 v20, 7, v36
	v_cndmask_b32_e64 v21, 0, 1, vcc
	v_cndmask_b32_e32 v20, v35, v20, vcc
	v_lshrrev_b64 v[10:11], v21, v[10:11]
; %bb.6278:                             ;   in Loop: Header=BB4_6043 Depth=2
	s_andn2_saveexec_b64 s[22:23], s[22:23]
; %bb.6279:                             ;   in Loop: Header=BB4_6043 Depth=2
	v_bfe_u32 v20, v10, 23, 1
; %bb.6280:                             ;   in Loop: Header=BB4_6043 Depth=2
	s_or_b64 exec, exec, s[22:23]
	v_lshrrev_b64 v[10:11], 20, v[10:11]
	v_cmp_gt_i32_e32 vcc, 16, v20
	v_cndmask_b32_e32 v11, 0, v11, vcc
	v_cndmask_b32_e32 v10, 7, v10, vcc
	v_cmp_eq_u64_e64 s[22:23], 0, v[10:11]
	v_min_i32_e32 v11, 15, v20
	v_cmp_eq_u32_e32 vcc, 0, v20
	v_lshlrev_b32_e32 v11, 3, v11
	v_and_or_b32 v10, v10, 7, v11
	s_and_b64 s[22:23], vcc, s[22:23]
	v_cndmask_b32_e64 v10, v10, 0, s[22:23]
	v_or_b32_e32 v20, v10, v15
.LBB4_6281:                             ;   in Loop: Header=BB4_6043 Depth=2
	s_or_b64 exec, exec, s[60:61]
.LBB4_6282:                             ;   in Loop: Header=BB4_6043 Depth=2
	s_or_b64 exec, exec, s[58:59]
                                        ; implicit-def: $vgpr35
                                        ; implicit-def: $vgpr10_vgpr11
.LBB4_6283:                             ;   in Loop: Header=BB4_6043 Depth=2
	s_andn2_saveexec_b64 s[22:23], s[56:57]
; %bb.6284:                             ;   in Loop: Header=BB4_6043 Depth=2
	v_or_b32_sdwa v15, v35, s68 dst_sel:DWORD dst_unused:UNUSED_PAD src0_sel:BYTE_3 src1_sel:DWORD
	v_cmp_eq_u64_e32 vcc, 0, v[10:11]
	v_cndmask_b32_e32 v20, v15, v20, vcc
; %bb.6285:                             ;   in Loop: Header=BB4_6043 Depth=2
	s_or_b64 exec, exec, s[22:23]
	v_lshrrev_b16_e32 v10, 8, v16
	v_cmp_ne_u16_e32 vcc, 0, v10
	v_mov_b32_e32 v11, 0
	s_and_saveexec_b64 s[22:23], vcc
	s_cbranch_execz .LBB4_6291
; %bb.6286:                             ;   in Loop: Header=BB4_6043 Depth=2
	v_cmp_ne_u16_e32 vcc, s69, v10
	v_bfrev_b32_e32 v11, 1
	s_and_saveexec_b64 s[56:57], vcc
	s_cbranch_execz .LBB4_6290
; %bb.6287:                             ;   in Loop: Header=BB4_6043 Depth=2
	v_and_b32_e32 v15, 0x7f, v10
	v_cmp_ne_u32_e32 vcc, s68, v15
	v_mov_b32_e32 v11, 0x7f800001
	s_and_saveexec_b64 s[58:59], vcc
	s_cbranch_execz .LBB4_6289
; %bb.6288:                             ;   in Loop: Header=BB4_6043 Depth=2
	v_and_b32_e32 v21, 7, v10
	v_ffbh_u32_e32 v11, v21
	v_min_u32_e32 v31, 32, v11
	v_subrev_u32_e32 v11, 28, v31
	v_lshlrev_b64 v[10:11], v11, v[10:11]
	v_lshrrev_b32_e32 v30, 3, v15
	v_sub_u32_e32 v11, 29, v31
	v_and_b32_e32 v10, 7, v10
	v_cmp_gt_u32_e32 vcc, 8, v15
	v_cndmask_b32_e32 v11, v30, v11, vcc
	v_cndmask_b32_e32 v10, v21, v10, vcc
	v_lshlrev_b32_e32 v15, 16, v16
	v_lshlrev_b32_e32 v10, 20, v10
	v_and_b32_e32 v15, 0x80000000, v15
	v_lshl_add_u32 v11, v11, 23, v47
	v_or3_b32 v11, v15, v11, v10
.LBB4_6289:                             ;   in Loop: Header=BB4_6043 Depth=2
	s_or_b64 exec, exec, s[58:59]
.LBB4_6290:                             ;   in Loop: Header=BB4_6043 Depth=2
	s_or_b64 exec, exec, s[56:57]
.LBB4_6291:                             ;   in Loop: Header=BB4_6043 Depth=2
	s_or_b64 exec, exec, s[22:23]
	v_mul_f32_e32 v10, v8, v11
	v_and_b32_sdwa v15, v10, s69 dst_sel:DWORD dst_unused:UNUSED_PAD src0_sel:BYTE_3 src1_sel:DWORD
	v_and_b32_e32 v30, 0x7f800000, v10
	v_mov_b32_e32 v31, v17
	v_and_b32_e32 v16, 0x7fffff, v10
	v_or_b32_e32 v35, 0x7e, v15
	v_cmp_ne_u64_e32 vcc, s[38:39], v[30:31]
	s_and_saveexec_b64 s[22:23], vcc
	s_xor_b64 s[56:57], exec, s[22:23]
	s_cbranch_execz .LBB4_6301
; %bb.6292:                             ;   in Loop: Header=BB4_6043 Depth=2
	v_and_b32_e32 v30, 0x7fffffff, v10
	v_mov_b32_e32 v31, v17
	v_cmp_gt_u64_e32 vcc, s[40:41], v[30:31]
	s_and_saveexec_b64 s[58:59], vcc
	s_cbranch_execz .LBB4_6300
; %bb.6293:                             ;   in Loop: Header=BB4_6043 Depth=2
	v_cmp_ne_u32_e32 vcc, 0, v10
	v_mov_b32_e32 v35, 0
	s_and_saveexec_b64 s[60:61], vcc
	s_cbranch_execz .LBB4_6299
; %bb.6294:                             ;   in Loop: Header=BB4_6043 Depth=2
	v_bfe_u32 v10, v10, 23, 8
	v_sub_u32_e32 v21, 0x79, v10
	v_cmp_gt_u32_e32 vcc, s70, v10
	v_cndmask_b32_e32 v21, 0, v21, vcc
	v_cmp_eq_u32_e32 vcc, 0, v10
	v_cndmask_b32_e32 v21, v21, v37, vcc
	v_add_u32_e32 v11, 0xffffff81, v10
	v_or_b32_e32 v30, 0x800000, v16
	v_add_u32_e32 v10, 20, v21
	v_cndmask_b32_e32 v35, v11, v14, vcc
	v_cndmask_b32_e32 v16, v30, v16, vcc
	v_lshlrev_b64 v[10:11], v10, -1
	v_not_b32_e32 v10, v10
	v_lshrrev_b64 v[38:39], v21, v[16:17]
	v_not_b32_e32 v11, v11
	v_and_b32_e32 v10, v16, v10
	v_add_u32_e32 v30, 19, v21
	v_lshrrev_b32_e32 v16, 23, v38
	v_and_b32_e32 v11, 0, v11
	v_lshlrev_b64 v[30:31], v30, 1
	v_add3_u32 v36, v21, v35, v16
	v_bfe_u32 v16, v38, 20, 1
	v_add_u32_e32 v16, -1, v16
	v_cmp_eq_u64_e32 vcc, v[10:11], v[30:31]
	v_cndmask_b32_e32 v10, 0, v16, vcc
	v_add_u32_e32 v10, v10, v38
	v_and_b32_e32 v10, 0xfffff, v10
	v_add_co_u32_e32 v10, vcc, v10, v38
	v_add_u32_e32 v35, 6, v36
	v_addc_co_u32_e32 v11, vcc, 0, v39, vcc
	v_cmp_ne_u32_e32 vcc, 0, v35
                                        ; implicit-def: $vgpr16
	s_and_saveexec_b64 s[22:23], vcc
	s_xor_b64 s[22:23], exec, s[22:23]
; %bb.6295:                             ;   in Loop: Header=BB4_6043 Depth=2
	v_cmp_lt_u64_e32 vcc, s[44:45], v[10:11]
	v_add_u32_e32 v16, 7, v36
	v_cndmask_b32_e64 v21, 0, 1, vcc
	v_cndmask_b32_e32 v16, v35, v16, vcc
	v_lshrrev_b64 v[10:11], v21, v[10:11]
; %bb.6296:                             ;   in Loop: Header=BB4_6043 Depth=2
	s_andn2_saveexec_b64 s[22:23], s[22:23]
; %bb.6297:                             ;   in Loop: Header=BB4_6043 Depth=2
	v_bfe_u32 v16, v10, 23, 1
; %bb.6298:                             ;   in Loop: Header=BB4_6043 Depth=2
	s_or_b64 exec, exec, s[22:23]
	v_lshrrev_b64 v[10:11], 20, v[10:11]
	v_cmp_gt_i32_e32 vcc, 16, v16
	v_cndmask_b32_e32 v11, 0, v11, vcc
	v_cndmask_b32_e32 v10, 7, v10, vcc
	v_cmp_eq_u64_e64 s[22:23], 0, v[10:11]
	v_min_i32_e32 v11, 15, v16
	v_lshlrev_b32_e32 v11, 3, v11
	v_cmp_eq_u32_e32 vcc, 0, v16
	v_and_b32_e32 v11, 0xf8, v11
	v_and_or_b32 v10, v10, 7, v11
	s_and_b64 s[22:23], vcc, s[22:23]
	v_cndmask_b32_e64 v10, v10, 0, s[22:23]
	v_or_b32_e32 v35, v10, v15
.LBB4_6299:                             ;   in Loop: Header=BB4_6043 Depth=2
	s_or_b64 exec, exec, s[60:61]
.LBB4_6300:                             ;   in Loop: Header=BB4_6043 Depth=2
	s_or_b64 exec, exec, s[58:59]
                                        ; implicit-def: $vgpr10
.LBB4_6301:                             ;   in Loop: Header=BB4_6043 Depth=2
	s_andn2_saveexec_b64 s[22:23], s[56:57]
; %bb.6302:                             ;   in Loop: Header=BB4_6043 Depth=2
	v_or_b32_sdwa v10, v10, s68 dst_sel:DWORD dst_unused:UNUSED_PAD src0_sel:BYTE_3 src1_sel:DWORD
	v_cmp_eq_u64_e32 vcc, 0, v[16:17]
	v_cndmask_b32_e32 v35, v10, v35, vcc
; %bb.6303:                             ;   in Loop: Header=BB4_6043 Depth=2
	s_or_b64 exec, exec, s[22:23]
	v_lshrrev_b32_e32 v10, 16, v13
	v_cmp_ne_u16_sdwa vcc, v10, v17 src0_sel:BYTE_0 src1_sel:DWORD
	v_mov_b32_e32 v11, 0
	s_and_saveexec_b64 s[22:23], vcc
	s_cbranch_execz .LBB4_6309
; %bb.6304:                             ;   in Loop: Header=BB4_6043 Depth=2
	v_cmp_ne_u16_sdwa vcc, v10, s69 src0_sel:BYTE_0 src1_sel:DWORD
	v_bfrev_b32_e32 v11, 1
	s_and_saveexec_b64 s[56:57], vcc
	s_cbranch_execz .LBB4_6308
; %bb.6305:                             ;   in Loop: Header=BB4_6043 Depth=2
	v_bfe_u32 v15, v13, 16, 7
	v_cmp_ne_u32_e32 vcc, s68, v15
	v_mov_b32_e32 v11, 0x7f800001
	s_and_saveexec_b64 s[58:59], vcc
	s_cbranch_execz .LBB4_6307
; %bb.6306:                             ;   in Loop: Header=BB4_6043 Depth=2
	v_and_b32_e32 v11, 7, v10
	v_ffbh_u32_e32 v21, v11
	v_min_u32_e32 v21, 32, v21
	v_subrev_u32_e32 v30, 28, v21
	v_lshlrev_b64 v[30:31], v30, v[10:11]
	v_lshrrev_b32_e32 v16, 3, v15
	v_sub_u32_e32 v21, 29, v21
	v_and_b32_e32 v30, 7, v30
	v_cmp_gt_u32_e32 vcc, 8, v15
	v_cndmask_b32_e32 v15, v16, v21, vcc
	v_cndmask_b32_e32 v11, v11, v30, vcc
	v_lshlrev_b32_e32 v10, 24, v10
	v_lshlrev_b32_e32 v11, 20, v11
	v_and_b32_e32 v10, 0x80000000, v10
	v_lshl_add_u32 v15, v15, 23, v47
	v_or3_b32 v11, v10, v15, v11
.LBB4_6307:                             ;   in Loop: Header=BB4_6043 Depth=2
	s_or_b64 exec, exec, s[58:59]
.LBB4_6308:                             ;   in Loop: Header=BB4_6043 Depth=2
	s_or_b64 exec, exec, s[56:57]
.LBB4_6309:                             ;   in Loop: Header=BB4_6043 Depth=2
	s_or_b64 exec, exec, s[22:23]
	v_mul_f32_e32 v10, v8, v11
	v_and_b32_sdwa v36, v10, s69 dst_sel:DWORD dst_unused:UNUSED_PAD src0_sel:BYTE_3 src1_sel:DWORD
	v_and_b32_e32 v30, 0x7f800000, v10
	v_mov_b32_e32 v31, v17
	v_and_b32_e32 v16, 0x7fffff, v10
	v_or_b32_e32 v15, 0x7e, v36
	v_cmp_ne_u64_e32 vcc, s[38:39], v[30:31]
	s_and_saveexec_b64 s[22:23], vcc
	s_xor_b64 s[56:57], exec, s[22:23]
	s_cbranch_execz .LBB4_6319
; %bb.6310:                             ;   in Loop: Header=BB4_6043 Depth=2
	v_and_b32_e32 v30, 0x7fffffff, v10
	v_mov_b32_e32 v31, v17
	v_cmp_gt_u64_e32 vcc, s[40:41], v[30:31]
	s_and_saveexec_b64 s[58:59], vcc
	s_cbranch_execz .LBB4_6318
; %bb.6311:                             ;   in Loop: Header=BB4_6043 Depth=2
	v_cmp_ne_u32_e32 vcc, 0, v10
	v_mov_b32_e32 v15, 0
	s_and_saveexec_b64 s[60:61], vcc
	s_cbranch_execz .LBB4_6317
; %bb.6312:                             ;   in Loop: Header=BB4_6043 Depth=2
	v_bfe_u32 v10, v10, 23, 8
	v_sub_u32_e32 v15, 0x79, v10
	v_cmp_gt_u32_e32 vcc, s70, v10
	v_cndmask_b32_e32 v15, 0, v15, vcc
	v_cmp_eq_u32_e32 vcc, 0, v10
	v_cndmask_b32_e32 v15, v15, v37, vcc
	v_add_u32_e32 v11, 0xffffff81, v10
	v_or_b32_e32 v21, 0x800000, v16
	v_add_u32_e32 v10, 20, v15
	v_cndmask_b32_e32 v38, v11, v14, vcc
	v_cndmask_b32_e32 v16, v21, v16, vcc
	v_lshlrev_b64 v[10:11], v10, -1
	v_not_b32_e32 v10, v10
	v_lshrrev_b64 v[50:51], v15, v[16:17]
	v_not_b32_e32 v11, v11
	v_and_b32_e32 v10, v16, v10
	v_add_u32_e32 v21, 19, v15
	v_lshrrev_b32_e32 v16, 23, v50
	v_and_b32_e32 v11, 0, v11
	v_lshlrev_b64 v[30:31], v21, 1
	v_add3_u32 v38, v15, v38, v16
	v_bfe_u32 v15, v50, 20, 1
	v_add_u32_e32 v15, -1, v15
	v_cmp_eq_u64_e32 vcc, v[10:11], v[30:31]
	v_cndmask_b32_e32 v10, 0, v15, vcc
	v_add_u32_e32 v10, v10, v50
	v_and_b32_e32 v10, 0xfffff, v10
	v_add_co_u32_e32 v10, vcc, v10, v50
	v_add_u32_e32 v16, 6, v38
	v_addc_co_u32_e32 v11, vcc, 0, v51, vcc
	v_cmp_ne_u32_e32 vcc, 0, v16
                                        ; implicit-def: $vgpr15
	s_and_saveexec_b64 s[22:23], vcc
	s_xor_b64 s[22:23], exec, s[22:23]
; %bb.6313:                             ;   in Loop: Header=BB4_6043 Depth=2
	v_add_u32_e32 v15, 7, v38
	v_cmp_lt_u64_e32 vcc, s[44:45], v[10:11]
	v_cndmask_b32_e32 v15, v16, v15, vcc
	v_cndmask_b32_e64 v16, 0, 1, vcc
	v_lshrrev_b64 v[10:11], v16, v[10:11]
; %bb.6314:                             ;   in Loop: Header=BB4_6043 Depth=2
	s_andn2_saveexec_b64 s[22:23], s[22:23]
; %bb.6315:                             ;   in Loop: Header=BB4_6043 Depth=2
	v_bfe_u32 v15, v10, 23, 1
; %bb.6316:                             ;   in Loop: Header=BB4_6043 Depth=2
	s_or_b64 exec, exec, s[22:23]
	v_lshrrev_b64 v[10:11], 20, v[10:11]
	v_cmp_gt_i32_e32 vcc, 16, v15
	v_cndmask_b32_e32 v11, 0, v11, vcc
	v_cndmask_b32_e32 v10, 7, v10, vcc
	v_cmp_eq_u64_e64 s[22:23], 0, v[10:11]
	v_min_i32_e32 v11, 15, v15
	v_lshlrev_b32_e32 v11, 3, v11
	v_cmp_eq_u32_e32 vcc, 0, v15
	v_and_b32_e32 v11, 0xf8, v11
	v_and_or_b32 v10, v10, 7, v11
	s_and_b64 s[22:23], vcc, s[22:23]
	v_cndmask_b32_e64 v10, v10, 0, s[22:23]
	v_or_b32_e32 v15, v10, v36
.LBB4_6317:                             ;   in Loop: Header=BB4_6043 Depth=2
	s_or_b64 exec, exec, s[60:61]
.LBB4_6318:                             ;   in Loop: Header=BB4_6043 Depth=2
	s_or_b64 exec, exec, s[58:59]
                                        ; implicit-def: $vgpr10
.LBB4_6319:                             ;   in Loop: Header=BB4_6043 Depth=2
	s_andn2_saveexec_b64 s[22:23], s[56:57]
; %bb.6320:                             ;   in Loop: Header=BB4_6043 Depth=2
	v_or_b32_sdwa v10, v10, s68 dst_sel:DWORD dst_unused:UNUSED_PAD src0_sel:BYTE_3 src1_sel:DWORD
	v_cmp_eq_u64_e32 vcc, 0, v[16:17]
	v_cndmask_b32_e32 v15, v10, v15, vcc
; %bb.6321:                             ;   in Loop: Header=BB4_6043 Depth=2
	s_or_b64 exec, exec, s[22:23]
	v_cmp_lt_u64_e32 vcc, s[42:43], v[12:13]
	v_mov_b32_e32 v11, 0
	s_and_saveexec_b64 s[22:23], vcc
	s_cbranch_execz .LBB4_6327
; %bb.6322:                             ;   in Loop: Header=BB4_6043 Depth=2
	v_lshrrev_b32_e32 v10, 24, v13
	v_cmp_ne_u32_e32 vcc, s69, v10
	v_bfrev_b32_e32 v11, 1
	s_and_saveexec_b64 s[56:57], vcc
	s_cbranch_execz .LBB4_6326
; %bb.6323:                             ;   in Loop: Header=BB4_6043 Depth=2
	v_bfe_u32 v12, v13, 24, 7
	v_cmp_ne_u32_e32 vcc, s68, v12
	v_mov_b32_e32 v11, 0x7f800001
	s_and_saveexec_b64 s[58:59], vcc
	s_cbranch_execz .LBB4_6325
; %bb.6324:                             ;   in Loop: Header=BB4_6043 Depth=2
	v_and_b32_e32 v11, 7, v10
	v_ffbh_u32_e32 v16, v11
	v_min_u32_e32 v16, 32, v16
	v_subrev_u32_e32 v21, 28, v16
	v_lshlrev_b64 v[30:31], v21, v[10:11]
	v_lshrrev_b32_e32 v13, 3, v12
	v_sub_u32_e32 v16, 29, v16
	v_and_b32_e32 v21, 7, v30
	v_cmp_gt_u32_e32 vcc, 8, v12
	v_cndmask_b32_e32 v12, v13, v16, vcc
	v_cndmask_b32_e32 v11, v11, v21, vcc
	v_lshlrev_b32_e32 v10, 24, v10
	v_lshlrev_b32_e32 v11, 20, v11
	v_and_b32_e32 v10, 0x80000000, v10
	v_lshl_add_u32 v12, v12, 23, v47
	v_or3_b32 v11, v10, v12, v11
.LBB4_6325:                             ;   in Loop: Header=BB4_6043 Depth=2
	s_or_b64 exec, exec, s[58:59]
.LBB4_6326:                             ;   in Loop: Header=BB4_6043 Depth=2
	s_or_b64 exec, exec, s[56:57]
.LBB4_6327:                             ;   in Loop: Header=BB4_6043 Depth=2
	s_or_b64 exec, exec, s[22:23]
	v_mul_f32_e32 v11, v8, v11
	v_and_b32_sdwa v8, v11, s69 dst_sel:DWORD dst_unused:UNUSED_PAD src0_sel:BYTE_3 src1_sel:DWORD
	v_and_b32_e32 v12, 0x7f800000, v11
	v_mov_b32_e32 v13, v17
	v_and_b32_e32 v16, 0x7fffff, v11
	v_or_b32_e32 v10, 0x7e, v8
	v_cmp_ne_u64_e32 vcc, s[38:39], v[12:13]
	s_and_saveexec_b64 s[22:23], vcc
	s_xor_b64 s[56:57], exec, s[22:23]
	s_cbranch_execz .LBB4_6337
; %bb.6328:                             ;   in Loop: Header=BB4_6043 Depth=2
	v_and_b32_e32 v12, 0x7fffffff, v11
	v_mov_b32_e32 v13, v17
	v_cmp_gt_u64_e32 vcc, s[40:41], v[12:13]
	s_and_saveexec_b64 s[58:59], vcc
	s_cbranch_execz .LBB4_6336
; %bb.6329:                             ;   in Loop: Header=BB4_6043 Depth=2
	v_cmp_ne_u32_e32 vcc, 0, v11
	v_mov_b32_e32 v10, 0
	s_and_saveexec_b64 s[60:61], vcc
	s_cbranch_execz .LBB4_6335
; %bb.6330:                             ;   in Loop: Header=BB4_6043 Depth=2
	v_bfe_u32 v10, v11, 23, 8
	v_sub_u32_e32 v12, 0x79, v10
	v_cmp_gt_u32_e32 vcc, s70, v10
	v_cndmask_b32_e32 v12, 0, v12, vcc
	v_cmp_eq_u32_e32 vcc, 0, v10
	v_or_b32_e32 v13, 0x800000, v16
	v_cndmask_b32_e32 v12, v12, v37, vcc
	v_add_u32_e32 v11, 0xffffff81, v10
	v_cndmask_b32_e32 v16, v13, v16, vcc
	v_add_u32_e32 v10, 20, v12
	v_cndmask_b32_e32 v21, v11, v14, vcc
	v_lshlrev_b64 v[10:11], v10, -1
	v_add_u32_e32 v13, 19, v12
	v_lshrrev_b64 v[38:39], v12, v[16:17]
	v_not_b32_e32 v11, v11
	v_not_b32_e32 v10, v10
	v_lshlrev_b64 v[30:31], v13, 1
	v_lshrrev_b32_e32 v13, 23, v38
	v_and_b32_e32 v11, 0, v11
	v_and_b32_e32 v10, v16, v10
	v_add3_u32 v16, v12, v21, v13
	v_bfe_u32 v12, v38, 20, 1
	v_add_u32_e32 v12, -1, v12
	v_cmp_eq_u64_e32 vcc, v[10:11], v[30:31]
	v_cndmask_b32_e32 v10, 0, v12, vcc
	v_add_u32_e32 v10, v10, v38
	v_and_b32_e32 v10, 0xfffff, v10
	v_add_co_u32_e32 v10, vcc, v10, v38
	v_add_u32_e32 v13, 6, v16
	v_addc_co_u32_e32 v11, vcc, 0, v39, vcc
	v_cmp_ne_u32_e32 vcc, 0, v13
                                        ; implicit-def: $vgpr12
	s_and_saveexec_b64 s[22:23], vcc
	s_xor_b64 s[22:23], exec, s[22:23]
; %bb.6331:                             ;   in Loop: Header=BB4_6043 Depth=2
	v_add_u32_e32 v12, 7, v16
	v_cmp_lt_u64_e32 vcc, s[44:45], v[10:11]
	v_cndmask_b32_e32 v12, v13, v12, vcc
	v_cndmask_b32_e64 v13, 0, 1, vcc
	v_lshrrev_b64 v[10:11], v13, v[10:11]
; %bb.6332:                             ;   in Loop: Header=BB4_6043 Depth=2
	s_andn2_saveexec_b64 s[22:23], s[22:23]
; %bb.6333:                             ;   in Loop: Header=BB4_6043 Depth=2
	v_bfe_u32 v12, v10, 23, 1
; %bb.6334:                             ;   in Loop: Header=BB4_6043 Depth=2
	s_or_b64 exec, exec, s[22:23]
	v_lshrrev_b64 v[10:11], 20, v[10:11]
	v_cmp_gt_i32_e32 vcc, 16, v12
	v_cndmask_b32_e32 v11, 0, v11, vcc
	v_cndmask_b32_e32 v10, 7, v10, vcc
	v_cmp_eq_u64_e64 s[22:23], 0, v[10:11]
	v_min_i32_e32 v11, 15, v12
	v_lshlrev_b32_e32 v11, 3, v11
	v_cmp_eq_u32_e32 vcc, 0, v12
	v_and_b32_e32 v11, 0xf8, v11
	v_and_or_b32 v10, v10, 7, v11
	s_and_b64 s[22:23], vcc, s[22:23]
	v_cndmask_b32_e64 v10, v10, 0, s[22:23]
	v_or_b32_e32 v10, v10, v8
.LBB4_6335:                             ;   in Loop: Header=BB4_6043 Depth=2
	s_or_b64 exec, exec, s[60:61]
.LBB4_6336:                             ;   in Loop: Header=BB4_6043 Depth=2
	s_or_b64 exec, exec, s[58:59]
                                        ; implicit-def: $vgpr11
.LBB4_6337:                             ;   in Loop: Header=BB4_6043 Depth=2
	s_andn2_saveexec_b64 s[22:23], s[56:57]
	s_cbranch_execz .LBB4_6042
; %bb.6338:                             ;   in Loop: Header=BB4_6043 Depth=2
	v_or_b32_sdwa v8, v11, s68 dst_sel:DWORD dst_unused:UNUSED_PAD src0_sel:BYTE_3 src1_sel:DWORD
	v_cmp_eq_u64_e32 vcc, 0, v[16:17]
	v_cndmask_b32_e32 v10, v8, v10, vcc
	s_branch .LBB4_6042
.LBB4_6339:                             ;   in Loop: Header=BB4_5381 Depth=1
	s_or_b64 exec, exec, s[54:55]
.LBB4_6340:                             ;   in Loop: Header=BB4_5381 Depth=1
	s_or_b64 exec, exec, s[52:53]
	v_accvgpr_read_b32 v1, a39
	v_and_b32_e32 v2, 15, v1
	v_cndmask_b32_e64 v4, v7, v2, s[20:21]
	v_cmp_ne_u32_e32 vcc, 0, v4
	s_mov_b64 s[22:23], 0
	v_mov_b32_e32 v1, 0
                                        ; implicit-def: $vgpr5
                                        ; implicit-def: $vgpr8
	s_and_saveexec_b64 s[52:53], vcc
	s_cbranch_execz .LBB4_6342
; %bb.6341:                             ;   in Loop: Header=BB4_5381 Depth=1
	v_accvgpr_read_b32 v1, a39
	v_sub_u32_e32 v2, v7, v2
	v_and_b32_e32 v1, 0x3ffffc00, v1
	v_cndmask_b32_e64 v2, 0, v2, s[20:21]
	v_cmp_lt_i32_e32 vcc, 0, v6
	v_add_u32_e32 v1, v2, v1
	v_cndmask_b32_e32 v2, 0, v56, vcc
	v_sub_u32_e32 v2, v2, v6
	v_lshl_add_u32 v5, v2, 6, v0
	v_ashrrev_i32_e32 v0, 31, v5
	v_lshrrev_b32_e32 v0, 26, v0
	v_add_u32_e32 v0, v5, v0
	s_mov_b64 s[22:23], exec
	v_ashrrev_i32_e32 v8, 6, v0
.LBB4_6342:                             ;   in Loop: Header=BB4_5381 Depth=1
	s_or_b64 exec, exec, s[52:53]
	s_and_b64 s[20:21], s[22:23], exec
.LBB4_6343:                             ;   in Loop: Header=BB4_5381 Depth=1
	s_or_b64 exec, exec, s[50:51]
	s_and_saveexec_b64 s[22:23], s[20:21]
	s_cbranch_execz .LBB4_6736
.LBB4_6344:                             ;   in Loop: Header=BB4_5381 Depth=1
	v_ashrrev_i32_e32 v0, 31, v4
	v_lshrrev_b32_e32 v0, 22, v0
	v_add_u32_e32 v0, v4, v0
	v_ashrrev_i32_e32 v7, 10, v0
	v_sub_u32_e32 v0, v7, v8
	v_ashrrev_i32_e32 v2, 31, v5
	v_cmp_lt_i32_e32 vcc, 0, v0
	v_lshrrev_b32_e32 v6, 26, v2
	s_and_saveexec_b64 s[50:51], vcc
	s_cbranch_execz .LBB4_6705
; %bb.6345:                             ;   in Loop: Header=BB4_5381 Depth=1
	s_trap 2
	ds_read_b64 v[2:3], v0
	v_add_u32_e32 v9, v5, v6
	v_and_b32_e32 v9, 0xffffffc0, v9
	v_sub_u32_e32 v9, v5, v9
	v_lshlrev_b32_e32 v8, 10, v8
	v_add3_u32 v10, v1, v9, v8
	v_ashrrev_i32_e32 v11, 31, v10
	s_mov_b64 s[52:53], 0
	s_waitcnt lgkmcnt(0)
	v_pk_mov_b32 v[12:13], v[2:3], v[2:3] op_sel:[0,1]
	s_branch .LBB4_6347
.LBB4_6346:                             ;   in Loop: Header=BB4_6347 Depth=2
	s_or_b64 exec, exec, s[20:21]
	v_add_co_u32_e32 v30, vcc, v10, v2
	v_addc_co_u32_e32 v31, vcc, v11, v3, vcc
	v_add_co_u32_e32 v12, vcc, v12, v52
	v_sub_u32_e32 v0, v0, v56
	v_addc_co_u32_e32 v13, vcc, v13, v44, vcc
	v_cmp_gt_i32_e32 vcc, 1, v0
	s_or_b64 s[52:53], vcc, s[52:53]
	v_add_co_u32_e32 v2, vcc, v2, v52
	v_addc_co_u32_e32 v3, vcc, v3, v44, vcc
	flat_store_byte v[30:31], v8 glc slc
	flat_store_byte v[30:31], v9 offset:64 glc slc
	flat_store_byte v[30:31], v19 offset:128 glc slc
	;; [unrolled: 1-line block ×15, first 2 shown]
	s_andn2_b64 exec, exec, s[52:53]
	s_cbranch_execz .LBB4_6704
.LBB4_6347:                             ;   Parent Loop BB4_5381 Depth=1
                                        ; =>  This Inner Loop Header: Depth=2
	s_trap 2
	ds_read_b64 v[24:25], v0
	s_waitcnt lgkmcnt(0)
	v_cmp_eq_u16_sdwa vcc, v24, v17 src0_sel:BYTE_0 src1_sel:DWORD
	v_readfirstlane_b32 s20, v24
	v_readfirstlane_b32 s21, v25
	s_and_b64 vcc, exec, vcc
	s_cbranch_vccnz .LBB4_6351
; %bb.6348:                             ;   in Loop: Header=BB4_6347 Depth=2
	v_cmp_eq_u32_sdwa vcc, v24, s69 src0_sel:BYTE_0 src1_sel:DWORD
	s_and_b64 vcc, exec, vcc
	s_brev_b32 s60, 1
	s_cbranch_vccnz .LBB4_6352
; %bb.6349:                             ;   in Loop: Header=BB4_6347 Depth=2
	s_and_b32 vcc_lo, s20, 0x7f
	s_cmpk_eq_i32 vcc_lo, 0x7f
	s_mov_b32 s60, 0x7f800001
	s_cbranch_scc1 .LBB4_6352
; %bb.6350:                             ;   in Loop: Header=BB4_6347 Depth=2
	s_and_b32 vcc_hi, s20, 7
	s_flbit_i32_b32 vcc_hi, vcc_hi
	s_min_u32 vcc_hi, vcc_hi, 32
	s_lshr_b32 s54, vcc_lo, 3
	s_sub_i32 s55, vcc_hi, 28
	s_sub_i32 vcc_hi, 29, vcc_hi
	s_cmp_lt_u32 vcc_lo, 8
	s_cselect_b32 vcc_lo, s55, 0
	s_cselect_b32 s54, vcc_hi, s54
	s_lshl_b64 vcc, s[20:21], vcc_lo
	s_lshl_b32 s21, vcc_lo, 20
	s_lshl_b32 s20, s20, 24
	s_lshl_b32 vcc_lo, s54, 23
	s_and_b32 s20, s20, 0x80000000
	s_add_i32 vcc_lo, vcc_lo, 0x3c000000
	s_and_b32 s21, s21, 0x700000
	s_or_b32 s20, s20, vcc_lo
	s_or_b32 s60, s20, s21
	s_branch .LBB4_6352
.LBB4_6351:                             ;   in Loop: Header=BB4_6347 Depth=2
	s_mov_b32 s60, 0
.LBB4_6352:                             ;   in Loop: Header=BB4_6347 Depth=2
	v_add_co_u32_e32 v54, vcc, v10, v12
	v_addc_co_u32_e32 v55, vcc, v11, v13, vcc
	flat_load_ubyte v8, v[54:55] glc slc
	v_mov_b32_e32 v9, 0
	s_waitcnt vmcnt(0) lgkmcnt(0)
	v_cmp_ne_u16_e32 vcc, 0, v8
	s_and_saveexec_b64 s[20:21], vcc
	s_cbranch_execz .LBB4_6358
; %bb.6353:                             ;   in Loop: Header=BB4_6347 Depth=2
	v_cmp_ne_u16_e32 vcc, s69, v8
	v_bfrev_b32_e32 v9, 1
	s_and_saveexec_b64 s[54:55], vcc
	s_cbranch_execz .LBB4_6357
; %bb.6354:                             ;   in Loop: Header=BB4_6347 Depth=2
	v_and_b32_e32 v16, 0xffff, v8
	v_and_b32_e32 v15, 0x7f, v16
	v_cmp_ne_u32_e32 vcc, s68, v15
	v_mov_b32_e32 v9, 0x7f800001
	s_and_saveexec_b64 s[56:57], vcc
	s_cbranch_execz .LBB4_6356
; %bb.6355:                             ;   in Loop: Header=BB4_6347 Depth=2
	v_and_b32_e32 v9, 7, v16
	v_ffbh_u32_e32 v18, v9
	v_min_u32_e32 v21, 32, v18
	v_subrev_u32_e32 v18, 28, v21
	v_lshlrev_b64 v[18:19], v18, v[16:17]
	v_lshrrev_b32_e32 v20, 3, v15
	v_sub_u32_e32 v16, 29, v21
	v_and_b32_e32 v18, 7, v18
	v_cmp_gt_u32_e32 vcc, 8, v15
	v_cndmask_b32_e32 v15, v20, v16, vcc
	v_cndmask_b32_e32 v9, v9, v18, vcc
	v_lshlrev_b32_e32 v8, 24, v8
	v_lshlrev_b32_e32 v9, 20, v9
	v_and_b32_e32 v8, 0x80000000, v8
	v_lshl_add_u32 v15, v15, 23, v47
	v_or3_b32 v9, v8, v15, v9
.LBB4_6356:                             ;   in Loop: Header=BB4_6347 Depth=2
	s_or_b64 exec, exec, s[56:57]
.LBB4_6357:                             ;   in Loop: Header=BB4_6347 Depth=2
	s_or_b64 exec, exec, s[54:55]
.LBB4_6358:                             ;   in Loop: Header=BB4_6347 Depth=2
	s_or_b64 exec, exec, s[20:21]
	v_mul_f32_e32 v15, s60, v9
	v_and_b32_sdwa v9, v15, s69 dst_sel:DWORD dst_unused:UNUSED_PAD src0_sel:BYTE_3 src1_sel:DWORD
	v_and_b32_e32 v18, 0x7f800000, v15
	v_mov_b32_e32 v19, v17
	v_and_b32_e32 v16, 0x7fffff, v15
	v_or_b32_e32 v8, 0x7e, v9
	v_cmp_ne_u64_e32 vcc, s[38:39], v[18:19]
	s_and_saveexec_b64 s[20:21], vcc
	s_xor_b64 s[54:55], exec, s[20:21]
	s_cbranch_execz .LBB4_6372
; %bb.6359:                             ;   in Loop: Header=BB4_6347 Depth=2
	v_and_b32_e32 v18, 0x7fffffff, v15
	v_mov_b32_e32 v19, v17
	v_cmp_gt_u64_e32 vcc, s[40:41], v[18:19]
	s_and_saveexec_b64 s[20:21], vcc
	s_xor_b64 s[56:57], exec, s[20:21]
	s_cbranch_execz .LBB4_6371
; %bb.6360:                             ;   in Loop: Header=BB4_6347 Depth=2
	v_cmp_ne_u32_e32 vcc, 0, v15
	v_mov_b32_e32 v8, 0
	s_and_saveexec_b64 s[58:59], vcc
	s_cbranch_execz .LBB4_6370
; %bb.6361:                             ;   in Loop: Header=BB4_6347 Depth=2
	v_bfe_u32 v8, v15, 23, 8
	v_sub_u32_e32 v18, 0x79, v8
	v_cmp_gt_u32_e32 vcc, s70, v8
	v_add_u32_e32 v15, 0xffffff81, v8
	v_cndmask_b32_e32 v18, 0, v18, vcc
	v_cmp_eq_u32_e32 vcc, 0, v8
	v_cndmask_b32_e32 v8, v15, v14, vcc
	v_cndmask_b32_e32 v15, v18, v37, vcc
	v_or_b32_e32 v19, 0x800000, v16
	v_add_u32_e32 v18, 20, v15
	v_cndmask_b32_e32 v16, v19, v16, vcc
	v_lshlrev_b64 v[18:19], v18, -1
	v_not_b32_e32 v18, v18
	v_lshrrev_b64 v[22:23], v15, v[16:17]
	v_not_b32_e32 v19, v19
	v_and_b32_e32 v18, v16, v18
	v_add_u32_e32 v20, 19, v15
	v_lshrrev_b32_e32 v16, 23, v22
	v_and_b32_e32 v19, 0, v19
	v_lshlrev_b64 v[20:21], v20, 1
	v_add3_u32 v16, v15, v8, v16
	v_bfe_u32 v15, v22, 20, 1
	v_add_u32_e32 v15, -1, v15
	v_cmp_eq_u64_e32 vcc, v[18:19], v[20:21]
	v_cndmask_b32_e32 v15, 0, v15, vcc
	v_add_u32_e32 v15, v15, v22
	v_and_b32_e32 v15, 0xfffff, v15
	v_add_co_u32_e32 v40, vcc, v15, v22
	v_add_u32_e32 v8, 6, v16
	v_addc_co_u32_e32 v41, vcc, 0, v23, vcc
	v_cmp_ne_u32_e32 vcc, 0, v8
                                        ; implicit-def: $vgpr15
	s_and_saveexec_b64 s[20:21], vcc
	s_xor_b64 s[20:21], exec, s[20:21]
; %bb.6362:                             ;   in Loop: Header=BB4_6347 Depth=2
	v_add_u32_e32 v15, 7, v16
	v_cmp_lt_u64_e32 vcc, s[44:45], v[40:41]
	v_cndmask_b32_e32 v15, v8, v15, vcc
	v_cndmask_b32_e64 v8, 0, 1, vcc
	v_lshrrev_b64 v[40:41], v8, v[40:41]
; %bb.6363:                             ;   in Loop: Header=BB4_6347 Depth=2
	s_andn2_saveexec_b64 s[20:21], s[20:21]
; %bb.6364:                             ;   in Loop: Header=BB4_6347 Depth=2
	v_bfe_u32 v15, v40, 23, 1
; %bb.6365:                             ;   in Loop: Header=BB4_6347 Depth=2
	s_or_b64 exec, exec, s[20:21]
	v_lshrrev_b64 v[18:19], 20, v[40:41]
	v_cmp_gt_i32_e32 vcc, 16, v15
	v_cndmask_b32_e32 v25, 0, v19, vcc
	v_cndmask_b32_e32 v24, 7, v18, vcc
	v_cmp_ne_u32_e32 vcc, 0, v15
	v_cmp_ne_u64_e64 s[20:21], 0, v[24:25]
	s_or_b64 s[20:21], vcc, s[20:21]
                                        ; implicit-def: $vgpr8
	s_and_saveexec_b64 vcc, s[20:21]
	s_xor_b64 s[20:21], exec, vcc
; %bb.6366:                             ;   in Loop: Header=BB4_6347 Depth=2
	v_min_i32_e32 v8, 15, v15
	v_lshl_or_b32 v8, v8, 3, v9
	v_and_or_b32 v8, v24, 7, v8
                                        ; implicit-def: $vgpr9
; %bb.6367:                             ;   in Loop: Header=BB4_6347 Depth=2
	s_andn2_saveexec_b64 s[20:21], s[20:21]
; %bb.6368:                             ;   in Loop: Header=BB4_6347 Depth=2
	v_mov_b32_e32 v8, v9
; %bb.6369:                             ;   in Loop: Header=BB4_6347 Depth=2
	s_or_b64 exec, exec, s[20:21]
.LBB4_6370:                             ;   in Loop: Header=BB4_6347 Depth=2
	s_or_b64 exec, exec, s[58:59]
.LBB4_6371:                             ;   in Loop: Header=BB4_6347 Depth=2
	s_andn2_saveexec_b64 s[20:21], s[56:57]
	s_or_b64 exec, exec, s[20:21]
                                        ; implicit-def: $vgpr15
.LBB4_6372:                             ;   in Loop: Header=BB4_6347 Depth=2
	s_andn2_saveexec_b64 s[20:21], s[54:55]
; %bb.6373:                             ;   in Loop: Header=BB4_6347 Depth=2
	v_or_b32_sdwa v9, v15, s68 dst_sel:DWORD dst_unused:UNUSED_PAD src0_sel:BYTE_3 src1_sel:DWORD
	v_cmp_eq_u64_e32 vcc, 0, v[16:17]
	v_cndmask_b32_e32 v8, v9, v8, vcc
; %bb.6374:                             ;   in Loop: Header=BB4_6347 Depth=2
	s_or_b64 exec, exec, s[20:21]
	flat_load_ubyte v9, v[54:55] offset:64 glc slc
	v_mov_b32_e32 v15, 0
	s_waitcnt vmcnt(0) lgkmcnt(0)
	v_cmp_ne_u16_e32 vcc, 0, v9
	s_and_saveexec_b64 s[20:21], vcc
	s_cbranch_execz .LBB4_6380
; %bb.6375:                             ;   in Loop: Header=BB4_6347 Depth=2
	v_cmp_ne_u16_e32 vcc, s69, v9
	v_bfrev_b32_e32 v15, 1
	s_and_saveexec_b64 s[54:55], vcc
	s_cbranch_execz .LBB4_6379
; %bb.6376:                             ;   in Loop: Header=BB4_6347 Depth=2
	v_and_b32_e32 v16, 0xffff, v9
	v_and_b32_e32 v18, 0x7f, v16
	v_cmp_ne_u32_e32 vcc, s68, v18
	v_mov_b32_e32 v15, 0x7f800001
	s_and_saveexec_b64 s[56:57], vcc
	s_cbranch_execz .LBB4_6378
; %bb.6377:                             ;   in Loop: Header=BB4_6347 Depth=2
	v_and_b32_e32 v15, 7, v16
	v_ffbh_u32_e32 v20, v15
	v_min_u32_e32 v22, 32, v20
	v_subrev_u32_e32 v20, 28, v22
	v_lshlrev_b64 v[20:21], v20, v[16:17]
	v_lshrrev_b32_e32 v19, 3, v18
	v_sub_u32_e32 v16, 29, v22
	v_and_b32_e32 v20, 7, v20
	v_cmp_gt_u32_e32 vcc, 8, v18
	v_cndmask_b32_e32 v16, v19, v16, vcc
	v_cndmask_b32_e32 v15, v15, v20, vcc
	v_lshlrev_b32_e32 v9, 24, v9
	v_lshlrev_b32_e32 v15, 20, v15
	v_and_b32_e32 v9, 0x80000000, v9
	v_lshl_add_u32 v16, v16, 23, v47
	v_or3_b32 v15, v9, v16, v15
.LBB4_6378:                             ;   in Loop: Header=BB4_6347 Depth=2
	s_or_b64 exec, exec, s[56:57]
.LBB4_6379:                             ;   in Loop: Header=BB4_6347 Depth=2
	s_or_b64 exec, exec, s[54:55]
.LBB4_6380:                             ;   in Loop: Header=BB4_6347 Depth=2
	s_or_b64 exec, exec, s[20:21]
	v_mul_f32_e32 v18, s60, v15
	v_and_b32_sdwa v15, v18, s69 dst_sel:DWORD dst_unused:UNUSED_PAD src0_sel:BYTE_3 src1_sel:DWORD
	v_and_b32_e32 v20, 0x7f800000, v18
	v_mov_b32_e32 v21, v17
	v_and_b32_e32 v16, 0x7fffff, v18
	v_or_b32_e32 v9, 0x7e, v15
	v_cmp_ne_u64_e32 vcc, s[38:39], v[20:21]
	s_and_saveexec_b64 s[20:21], vcc
	s_xor_b64 s[54:55], exec, s[20:21]
	s_cbranch_execz .LBB4_6394
; %bb.6381:                             ;   in Loop: Header=BB4_6347 Depth=2
	v_and_b32_e32 v20, 0x7fffffff, v18
	v_mov_b32_e32 v21, v17
	v_cmp_gt_u64_e32 vcc, s[40:41], v[20:21]
	s_and_saveexec_b64 s[20:21], vcc
	s_xor_b64 s[56:57], exec, s[20:21]
	s_cbranch_execz .LBB4_6393
; %bb.6382:                             ;   in Loop: Header=BB4_6347 Depth=2
	v_cmp_ne_u32_e32 vcc, 0, v18
	v_mov_b32_e32 v9, 0
	s_and_saveexec_b64 s[58:59], vcc
	s_cbranch_execz .LBB4_6392
; %bb.6383:                             ;   in Loop: Header=BB4_6347 Depth=2
	v_bfe_u32 v9, v18, 23, 8
	v_sub_u32_e32 v19, 0x79, v9
	v_cmp_gt_u32_e32 vcc, s70, v9
	v_cndmask_b32_e32 v19, 0, v19, vcc
	v_cmp_eq_u32_e32 vcc, 0, v9
	v_add_u32_e32 v18, 0xffffff81, v9
	v_cndmask_b32_e32 v26, v19, v37, vcc
	v_or_b32_e32 v20, 0x800000, v16
	v_cndmask_b32_e32 v9, v18, v14, vcc
	v_add_u32_e32 v18, 20, v26
	v_cndmask_b32_e32 v16, v20, v16, vcc
	v_lshlrev_b64 v[18:19], v18, -1
	v_not_b32_e32 v18, v18
	v_lshrrev_b64 v[24:25], v26, v[16:17]
	v_not_b32_e32 v19, v19
	v_and_b32_e32 v20, v16, v18
	v_add_u32_e32 v18, 19, v26
	v_lshrrev_b32_e32 v16, 23, v24
	v_and_b32_e32 v21, 0, v19
	v_lshlrev_b64 v[22:23], v18, 1
	v_add3_u32 v18, v26, v9, v16
	v_bfe_u32 v16, v24, 20, 1
	v_add_u32_e32 v16, -1, v16
	v_cmp_eq_u64_e32 vcc, v[20:21], v[22:23]
	v_cndmask_b32_e32 v16, 0, v16, vcc
	v_add_u32_e32 v16, v16, v24
	v_and_b32_e32 v16, 0xfffff, v16
	v_add_co_u32_e32 v24, vcc, v16, v24
	v_add_u32_e32 v9, 6, v18
	v_addc_co_u32_e32 v25, vcc, 0, v25, vcc
	v_cmp_ne_u32_e32 vcc, 0, v9
                                        ; implicit-def: $vgpr16
	s_and_saveexec_b64 s[20:21], vcc
	s_xor_b64 s[20:21], exec, s[20:21]
; %bb.6384:                             ;   in Loop: Header=BB4_6347 Depth=2
	v_add_u32_e32 v16, 7, v18
	v_cmp_lt_u64_e32 vcc, s[44:45], v[24:25]
	v_cndmask_b32_e32 v16, v9, v16, vcc
	v_cndmask_b32_e64 v9, 0, 1, vcc
	v_lshrrev_b64 v[24:25], v9, v[24:25]
; %bb.6385:                             ;   in Loop: Header=BB4_6347 Depth=2
	s_andn2_saveexec_b64 s[20:21], s[20:21]
; %bb.6386:                             ;   in Loop: Header=BB4_6347 Depth=2
	v_bfe_u32 v16, v24, 23, 1
; %bb.6387:                             ;   in Loop: Header=BB4_6347 Depth=2
	s_or_b64 exec, exec, s[20:21]
	v_lshrrev_b64 v[18:19], 20, v[24:25]
	v_cmp_gt_i32_e32 vcc, 16, v16
	v_cndmask_b32_e32 v25, 0, v19, vcc
	v_cndmask_b32_e32 v24, 7, v18, vcc
	v_cmp_ne_u32_e32 vcc, 0, v16
	v_cmp_ne_u64_e64 s[20:21], 0, v[24:25]
	s_or_b64 s[20:21], vcc, s[20:21]
                                        ; implicit-def: $vgpr9
	s_and_saveexec_b64 vcc, s[20:21]
	s_xor_b64 s[20:21], exec, vcc
; %bb.6388:                             ;   in Loop: Header=BB4_6347 Depth=2
	v_min_i32_e32 v9, 15, v16
	v_lshl_or_b32 v9, v9, 3, v15
	v_and_or_b32 v9, v24, 7, v9
                                        ; implicit-def: $vgpr15
; %bb.6389:                             ;   in Loop: Header=BB4_6347 Depth=2
	s_andn2_saveexec_b64 s[20:21], s[20:21]
; %bb.6390:                             ;   in Loop: Header=BB4_6347 Depth=2
	v_mov_b32_e32 v9, v15
; %bb.6391:                             ;   in Loop: Header=BB4_6347 Depth=2
	s_or_b64 exec, exec, s[20:21]
.LBB4_6392:                             ;   in Loop: Header=BB4_6347 Depth=2
	s_or_b64 exec, exec, s[58:59]
.LBB4_6393:                             ;   in Loop: Header=BB4_6347 Depth=2
	s_andn2_saveexec_b64 s[20:21], s[56:57]
	s_or_b64 exec, exec, s[20:21]
                                        ; implicit-def: $vgpr18
.LBB4_6394:                             ;   in Loop: Header=BB4_6347 Depth=2
	s_andn2_saveexec_b64 s[20:21], s[54:55]
; %bb.6395:                             ;   in Loop: Header=BB4_6347 Depth=2
	v_or_b32_sdwa v15, v18, s68 dst_sel:DWORD dst_unused:UNUSED_PAD src0_sel:BYTE_3 src1_sel:DWORD
	v_cmp_eq_u64_e32 vcc, 0, v[16:17]
	v_cndmask_b32_e32 v9, v15, v9, vcc
; %bb.6396:                             ;   in Loop: Header=BB4_6347 Depth=2
	s_or_b64 exec, exec, s[20:21]
	flat_load_ubyte v15, v[54:55] offset:128 glc slc
	v_mov_b32_e32 v18, 0
	s_waitcnt vmcnt(0) lgkmcnt(0)
	v_cmp_ne_u16_e32 vcc, 0, v15
	s_and_saveexec_b64 s[20:21], vcc
	s_cbranch_execz .LBB4_6402
; %bb.6397:                             ;   in Loop: Header=BB4_6347 Depth=2
	v_cmp_ne_u16_e32 vcc, s69, v15
	v_bfrev_b32_e32 v18, 1
	s_and_saveexec_b64 s[54:55], vcc
	s_cbranch_execz .LBB4_6401
; %bb.6398:                             ;   in Loop: Header=BB4_6347 Depth=2
	v_and_b32_e32 v16, 0xffff, v15
	v_and_b32_e32 v19, 0x7f, v16
	v_cmp_ne_u32_e32 vcc, s68, v19
	v_mov_b32_e32 v18, 0x7f800001
	s_and_saveexec_b64 s[56:57], vcc
	s_cbranch_execz .LBB4_6400
; %bb.6399:                             ;   in Loop: Header=BB4_6347 Depth=2
	v_and_b32_e32 v18, 7, v16
	v_ffbh_u32_e32 v20, v18
	v_min_u32_e32 v23, 32, v20
	v_subrev_u32_e32 v20, 28, v23
	v_lshlrev_b64 v[20:21], v20, v[16:17]
	v_lshrrev_b32_e32 v22, 3, v19
	v_sub_u32_e32 v16, 29, v23
	v_and_b32_e32 v20, 7, v20
	v_cmp_gt_u32_e32 vcc, 8, v19
	v_cndmask_b32_e32 v16, v22, v16, vcc
	v_cndmask_b32_e32 v18, v18, v20, vcc
	v_lshlrev_b32_e32 v15, 24, v15
	v_lshlrev_b32_e32 v18, 20, v18
	v_and_b32_e32 v15, 0x80000000, v15
	v_lshl_add_u32 v16, v16, 23, v47
	v_or3_b32 v18, v15, v16, v18
.LBB4_6400:                             ;   in Loop: Header=BB4_6347 Depth=2
	s_or_b64 exec, exec, s[56:57]
.LBB4_6401:                             ;   in Loop: Header=BB4_6347 Depth=2
	s_or_b64 exec, exec, s[54:55]
.LBB4_6402:                             ;   in Loop: Header=BB4_6347 Depth=2
	s_or_b64 exec, exec, s[20:21]
	v_mul_f32_e32 v18, s60, v18
	v_and_b32_sdwa v15, v18, s69 dst_sel:DWORD dst_unused:UNUSED_PAD src0_sel:BYTE_3 src1_sel:DWORD
	v_and_b32_e32 v20, 0x7f800000, v18
	v_mov_b32_e32 v21, v17
	v_and_b32_e32 v16, 0x7fffff, v18
	v_or_b32_e32 v19, 0x7e, v15
	v_cmp_ne_u64_e32 vcc, s[38:39], v[20:21]
	s_and_saveexec_b64 s[20:21], vcc
	s_xor_b64 s[54:55], exec, s[20:21]
	s_cbranch_execz .LBB4_6416
; %bb.6403:                             ;   in Loop: Header=BB4_6347 Depth=2
	v_and_b32_e32 v20, 0x7fffffff, v18
	v_mov_b32_e32 v21, v17
	v_cmp_gt_u64_e32 vcc, s[40:41], v[20:21]
	s_and_saveexec_b64 s[20:21], vcc
	s_xor_b64 s[56:57], exec, s[20:21]
	s_cbranch_execz .LBB4_6415
; %bb.6404:                             ;   in Loop: Header=BB4_6347 Depth=2
	v_cmp_ne_u32_e32 vcc, 0, v18
	v_mov_b32_e32 v19, 0
	s_and_saveexec_b64 s[58:59], vcc
	s_cbranch_execz .LBB4_6414
; %bb.6405:                             ;   in Loop: Header=BB4_6347 Depth=2
	v_bfe_u32 v18, v18, 23, 8
	v_sub_u32_e32 v20, 0x79, v18
	v_cmp_gt_u32_e32 vcc, s70, v18
	v_cndmask_b32_e32 v20, 0, v20, vcc
	v_cmp_eq_u32_e32 vcc, 0, v18
	v_cndmask_b32_e32 v27, v20, v37, vcc
	v_add_u32_e32 v19, 0xffffff81, v18
	v_or_b32_e32 v21, 0x800000, v16
	v_add_u32_e32 v18, 20, v27
	v_cndmask_b32_e32 v26, v19, v14, vcc
	v_cndmask_b32_e32 v16, v21, v16, vcc
	v_lshlrev_b64 v[18:19], v18, -1
	v_not_b32_e32 v18, v18
	v_lshrrev_b64 v[24:25], v27, v[16:17]
	v_not_b32_e32 v19, v19
	v_and_b32_e32 v20, v16, v18
	v_add_u32_e32 v18, 19, v27
	v_lshrrev_b32_e32 v16, 23, v24
	v_and_b32_e32 v21, 0, v19
	v_lshlrev_b64 v[22:23], v18, 1
	v_add3_u32 v19, v27, v26, v16
	v_bfe_u32 v16, v24, 20, 1
	v_add_u32_e32 v16, -1, v16
	v_cmp_eq_u64_e32 vcc, v[20:21], v[22:23]
	v_cndmask_b32_e32 v16, 0, v16, vcc
	v_add_u32_e32 v16, v16, v24
	v_and_b32_e32 v16, 0xfffff, v16
	v_add_co_u32_e32 v24, vcc, v16, v24
	v_add_u32_e32 v18, 6, v19
	v_addc_co_u32_e32 v25, vcc, 0, v25, vcc
	v_cmp_ne_u32_e32 vcc, 0, v18
                                        ; implicit-def: $vgpr16
	s_and_saveexec_b64 s[20:21], vcc
	s_xor_b64 s[20:21], exec, s[20:21]
; %bb.6406:                             ;   in Loop: Header=BB4_6347 Depth=2
	v_add_u32_e32 v16, 7, v19
	v_cmp_lt_u64_e32 vcc, s[44:45], v[24:25]
	v_cndmask_b32_e32 v16, v18, v16, vcc
	v_cndmask_b32_e64 v18, 0, 1, vcc
	v_lshrrev_b64 v[24:25], v18, v[24:25]
; %bb.6407:                             ;   in Loop: Header=BB4_6347 Depth=2
	s_andn2_saveexec_b64 s[20:21], s[20:21]
; %bb.6408:                             ;   in Loop: Header=BB4_6347 Depth=2
	v_bfe_u32 v16, v24, 23, 1
; %bb.6409:                             ;   in Loop: Header=BB4_6347 Depth=2
	s_or_b64 exec, exec, s[20:21]
	v_lshrrev_b64 v[18:19], 20, v[24:25]
	v_cmp_gt_i32_e32 vcc, 16, v16
	v_cndmask_b32_e32 v25, 0, v19, vcc
	v_cndmask_b32_e32 v24, 7, v18, vcc
	v_cmp_ne_u32_e32 vcc, 0, v16
	v_cmp_ne_u64_e64 s[20:21], 0, v[24:25]
	s_or_b64 s[20:21], vcc, s[20:21]
                                        ; implicit-def: $vgpr19
	s_and_saveexec_b64 vcc, s[20:21]
	s_xor_b64 s[20:21], exec, vcc
; %bb.6410:                             ;   in Loop: Header=BB4_6347 Depth=2
	v_min_i32_e32 v16, 15, v16
	v_lshl_or_b32 v15, v16, 3, v15
	v_and_or_b32 v19, v24, 7, v15
                                        ; implicit-def: $vgpr15
; %bb.6411:                             ;   in Loop: Header=BB4_6347 Depth=2
	s_andn2_saveexec_b64 s[20:21], s[20:21]
; %bb.6412:                             ;   in Loop: Header=BB4_6347 Depth=2
	v_mov_b32_e32 v19, v15
; %bb.6413:                             ;   in Loop: Header=BB4_6347 Depth=2
	s_or_b64 exec, exec, s[20:21]
.LBB4_6414:                             ;   in Loop: Header=BB4_6347 Depth=2
	s_or_b64 exec, exec, s[58:59]
.LBB4_6415:                             ;   in Loop: Header=BB4_6347 Depth=2
	s_andn2_saveexec_b64 s[20:21], s[56:57]
	s_or_b64 exec, exec, s[20:21]
                                        ; implicit-def: $vgpr18
.LBB4_6416:                             ;   in Loop: Header=BB4_6347 Depth=2
	s_andn2_saveexec_b64 s[20:21], s[54:55]
; %bb.6417:                             ;   in Loop: Header=BB4_6347 Depth=2
	v_or_b32_sdwa v15, v18, s68 dst_sel:DWORD dst_unused:UNUSED_PAD src0_sel:BYTE_3 src1_sel:DWORD
	v_cmp_eq_u64_e32 vcc, 0, v[16:17]
	v_cndmask_b32_e32 v19, v15, v19, vcc
; %bb.6418:                             ;   in Loop: Header=BB4_6347 Depth=2
	s_or_b64 exec, exec, s[20:21]
	flat_load_ubyte v15, v[54:55] offset:192 glc slc
	v_mov_b32_e32 v18, 0
	s_waitcnt vmcnt(0) lgkmcnt(0)
	v_cmp_ne_u16_e32 vcc, 0, v15
	s_and_saveexec_b64 s[20:21], vcc
	s_cbranch_execz .LBB4_6424
; %bb.6419:                             ;   in Loop: Header=BB4_6347 Depth=2
	v_cmp_ne_u16_e32 vcc, s69, v15
	v_bfrev_b32_e32 v18, 1
	s_and_saveexec_b64 s[54:55], vcc
	s_cbranch_execz .LBB4_6423
; %bb.6420:                             ;   in Loop: Header=BB4_6347 Depth=2
	v_and_b32_e32 v16, 0xffff, v15
	v_and_b32_e32 v20, 0x7f, v16
	v_cmp_ne_u32_e32 vcc, s68, v20
	v_mov_b32_e32 v18, 0x7f800001
	s_and_saveexec_b64 s[56:57], vcc
	s_cbranch_execz .LBB4_6422
; %bb.6421:                             ;   in Loop: Header=BB4_6347 Depth=2
	v_and_b32_e32 v18, 7, v16
	v_ffbh_u32_e32 v22, v18
	v_min_u32_e32 v24, 32, v22
	v_subrev_u32_e32 v22, 28, v24
	v_lshlrev_b64 v[22:23], v22, v[16:17]
	v_lshrrev_b32_e32 v21, 3, v20
	v_sub_u32_e32 v16, 29, v24
	v_and_b32_e32 v22, 7, v22
	v_cmp_gt_u32_e32 vcc, 8, v20
	v_cndmask_b32_e32 v16, v21, v16, vcc
	v_cndmask_b32_e32 v18, v18, v22, vcc
	v_lshlrev_b32_e32 v15, 24, v15
	v_lshlrev_b32_e32 v18, 20, v18
	v_and_b32_e32 v15, 0x80000000, v15
	v_lshl_add_u32 v16, v16, 23, v47
	v_or3_b32 v18, v15, v16, v18
.LBB4_6422:                             ;   in Loop: Header=BB4_6347 Depth=2
	s_or_b64 exec, exec, s[56:57]
.LBB4_6423:                             ;   in Loop: Header=BB4_6347 Depth=2
	s_or_b64 exec, exec, s[54:55]
.LBB4_6424:                             ;   in Loop: Header=BB4_6347 Depth=2
	s_or_b64 exec, exec, s[20:21]
	v_mul_f32_e32 v18, s60, v18
	v_and_b32_sdwa v15, v18, s69 dst_sel:DWORD dst_unused:UNUSED_PAD src0_sel:BYTE_3 src1_sel:DWORD
	v_and_b32_e32 v20, 0x7f800000, v18
	v_mov_b32_e32 v21, v17
	v_and_b32_e32 v16, 0x7fffff, v18
	v_or_b32_e32 v22, 0x7e, v15
	v_cmp_ne_u64_e32 vcc, s[38:39], v[20:21]
	s_and_saveexec_b64 s[20:21], vcc
	s_xor_b64 s[54:55], exec, s[20:21]
	s_cbranch_execz .LBB4_6438
; %bb.6425:                             ;   in Loop: Header=BB4_6347 Depth=2
	v_and_b32_e32 v20, 0x7fffffff, v18
	v_mov_b32_e32 v21, v17
	v_cmp_gt_u64_e32 vcc, s[40:41], v[20:21]
	s_and_saveexec_b64 s[20:21], vcc
	s_xor_b64 s[56:57], exec, s[20:21]
	s_cbranch_execz .LBB4_6437
; %bb.6426:                             ;   in Loop: Header=BB4_6347 Depth=2
	v_cmp_ne_u32_e32 vcc, 0, v18
	v_mov_b32_e32 v22, 0
	s_and_saveexec_b64 s[58:59], vcc
	s_cbranch_execz .LBB4_6436
; %bb.6427:                             ;   in Loop: Header=BB4_6347 Depth=2
	v_bfe_u32 v18, v18, 23, 8
	v_sub_u32_e32 v21, 0x79, v18
	v_cmp_gt_u32_e32 vcc, s70, v18
	v_cndmask_b32_e32 v21, 0, v21, vcc
	v_cmp_eq_u32_e32 vcc, 0, v18
	v_add_u32_e32 v20, 0xffffff81, v18
	v_cndmask_b32_e32 v30, v21, v37, vcc
	v_or_b32_e32 v22, 0x800000, v16
	v_cndmask_b32_e32 v18, v20, v14, vcc
	v_add_u32_e32 v20, 20, v30
	v_cndmask_b32_e32 v16, v22, v16, vcc
	v_lshlrev_b64 v[20:21], v20, -1
	v_not_b32_e32 v20, v20
	v_lshrrev_b64 v[26:27], v30, v[16:17]
	v_not_b32_e32 v21, v21
	v_and_b32_e32 v22, v16, v20
	v_add_u32_e32 v20, 19, v30
	v_lshrrev_b32_e32 v16, 23, v26
	v_and_b32_e32 v23, 0, v21
	v_lshlrev_b64 v[24:25], v20, 1
	v_add3_u32 v20, v30, v18, v16
	v_bfe_u32 v16, v26, 20, 1
	v_add_u32_e32 v16, -1, v16
	v_cmp_eq_u64_e32 vcc, v[22:23], v[24:25]
	v_cndmask_b32_e32 v16, 0, v16, vcc
	v_add_u32_e32 v16, v16, v26
	v_and_b32_e32 v16, 0xfffff, v16
	v_add_co_u32_e32 v24, vcc, v16, v26
	v_add_u32_e32 v18, 6, v20
	v_addc_co_u32_e32 v25, vcc, 0, v27, vcc
	v_cmp_ne_u32_e32 vcc, 0, v18
                                        ; implicit-def: $vgpr16
	s_and_saveexec_b64 s[20:21], vcc
	s_xor_b64 s[20:21], exec, s[20:21]
; %bb.6428:                             ;   in Loop: Header=BB4_6347 Depth=2
	v_add_u32_e32 v16, 7, v20
	v_cmp_lt_u64_e32 vcc, s[44:45], v[24:25]
	v_cndmask_b32_e32 v16, v18, v16, vcc
	v_cndmask_b32_e64 v18, 0, 1, vcc
	v_lshrrev_b64 v[24:25], v18, v[24:25]
; %bb.6429:                             ;   in Loop: Header=BB4_6347 Depth=2
	s_andn2_saveexec_b64 s[20:21], s[20:21]
; %bb.6430:                             ;   in Loop: Header=BB4_6347 Depth=2
	v_bfe_u32 v16, v24, 23, 1
; %bb.6431:                             ;   in Loop: Header=BB4_6347 Depth=2
	s_or_b64 exec, exec, s[20:21]
	v_lshrrev_b64 v[20:21], 20, v[24:25]
	v_cmp_gt_i32_e32 vcc, 16, v16
	v_cndmask_b32_e32 v25, 0, v21, vcc
	v_cndmask_b32_e32 v24, 7, v20, vcc
	v_cmp_ne_u32_e32 vcc, 0, v16
	v_cmp_ne_u64_e64 s[20:21], 0, v[24:25]
	s_or_b64 s[20:21], vcc, s[20:21]
                                        ; implicit-def: $vgpr22
	s_and_saveexec_b64 vcc, s[20:21]
	s_xor_b64 s[20:21], exec, vcc
; %bb.6432:                             ;   in Loop: Header=BB4_6347 Depth=2
	v_min_i32_e32 v16, 15, v16
	v_lshl_or_b32 v15, v16, 3, v15
	v_and_or_b32 v22, v24, 7, v15
                                        ; implicit-def: $vgpr15
; %bb.6433:                             ;   in Loop: Header=BB4_6347 Depth=2
	s_andn2_saveexec_b64 s[20:21], s[20:21]
; %bb.6434:                             ;   in Loop: Header=BB4_6347 Depth=2
	v_mov_b32_e32 v22, v15
; %bb.6435:                             ;   in Loop: Header=BB4_6347 Depth=2
	s_or_b64 exec, exec, s[20:21]
.LBB4_6436:                             ;   in Loop: Header=BB4_6347 Depth=2
	s_or_b64 exec, exec, s[58:59]
.LBB4_6437:                             ;   in Loop: Header=BB4_6347 Depth=2
	s_andn2_saveexec_b64 s[20:21], s[56:57]
	s_or_b64 exec, exec, s[20:21]
                                        ; implicit-def: $vgpr18
.LBB4_6438:                             ;   in Loop: Header=BB4_6347 Depth=2
	s_andn2_saveexec_b64 s[20:21], s[54:55]
; %bb.6439:                             ;   in Loop: Header=BB4_6347 Depth=2
	v_or_b32_sdwa v15, v18, s68 dst_sel:DWORD dst_unused:UNUSED_PAD src0_sel:BYTE_3 src1_sel:DWORD
	v_cmp_eq_u64_e32 vcc, 0, v[16:17]
	v_cndmask_b32_e32 v22, v15, v22, vcc
; %bb.6440:                             ;   in Loop: Header=BB4_6347 Depth=2
	s_or_b64 exec, exec, s[20:21]
	flat_load_ubyte v15, v[54:55] offset:256 glc slc
	v_mov_b32_e32 v18, 0
	s_waitcnt vmcnt(0) lgkmcnt(0)
	v_cmp_ne_u16_e32 vcc, 0, v15
	s_and_saveexec_b64 s[20:21], vcc
	s_cbranch_execz .LBB4_6446
; %bb.6441:                             ;   in Loop: Header=BB4_6347 Depth=2
	v_cmp_ne_u16_e32 vcc, s69, v15
	v_bfrev_b32_e32 v18, 1
	s_and_saveexec_b64 s[54:55], vcc
	s_cbranch_execz .LBB4_6445
; %bb.6442:                             ;   in Loop: Header=BB4_6347 Depth=2
	v_and_b32_e32 v16, 0xffff, v15
	v_and_b32_e32 v20, 0x7f, v16
	v_cmp_ne_u32_e32 vcc, s68, v20
	v_mov_b32_e32 v18, 0x7f800001
	s_and_saveexec_b64 s[56:57], vcc
	s_cbranch_execz .LBB4_6444
; %bb.6443:                             ;   in Loop: Header=BB4_6347 Depth=2
	v_and_b32_e32 v18, 7, v16
	v_ffbh_u32_e32 v23, v18
	v_min_u32_e32 v23, 32, v23
	v_subrev_u32_e32 v24, 28, v23
	v_lshlrev_b64 v[24:25], v24, v[16:17]
	v_lshrrev_b32_e32 v21, 3, v20
	v_sub_u32_e32 v16, 29, v23
	v_and_b32_e32 v23, 7, v24
	v_cmp_gt_u32_e32 vcc, 8, v20
	v_cndmask_b32_e32 v16, v21, v16, vcc
	v_cndmask_b32_e32 v18, v18, v23, vcc
	v_lshlrev_b32_e32 v15, 24, v15
	v_lshlrev_b32_e32 v18, 20, v18
	v_and_b32_e32 v15, 0x80000000, v15
	v_lshl_add_u32 v16, v16, 23, v47
	v_or3_b32 v18, v15, v16, v18
.LBB4_6444:                             ;   in Loop: Header=BB4_6347 Depth=2
	s_or_b64 exec, exec, s[56:57]
.LBB4_6445:                             ;   in Loop: Header=BB4_6347 Depth=2
	s_or_b64 exec, exec, s[54:55]
.LBB4_6446:                             ;   in Loop: Header=BB4_6347 Depth=2
	s_or_b64 exec, exec, s[20:21]
	v_mul_f32_e32 v18, s60, v18
	v_and_b32_sdwa v15, v18, s69 dst_sel:DWORD dst_unused:UNUSED_PAD src0_sel:BYTE_3 src1_sel:DWORD
	v_and_b32_e32 v20, 0x7f800000, v18
	v_mov_b32_e32 v21, v17
	v_and_b32_e32 v16, 0x7fffff, v18
	v_or_b32_e32 v23, 0x7e, v15
	v_cmp_ne_u64_e32 vcc, s[38:39], v[20:21]
	s_and_saveexec_b64 s[20:21], vcc
	s_xor_b64 s[54:55], exec, s[20:21]
	s_cbranch_execz .LBB4_6460
; %bb.6447:                             ;   in Loop: Header=BB4_6347 Depth=2
	v_and_b32_e32 v20, 0x7fffffff, v18
	v_mov_b32_e32 v21, v17
	v_cmp_gt_u64_e32 vcc, s[40:41], v[20:21]
	s_and_saveexec_b64 s[20:21], vcc
	s_xor_b64 s[56:57], exec, s[20:21]
	s_cbranch_execz .LBB4_6459
; %bb.6448:                             ;   in Loop: Header=BB4_6347 Depth=2
	v_cmp_ne_u32_e32 vcc, 0, v18
	v_mov_b32_e32 v23, 0
	s_and_saveexec_b64 s[58:59], vcc
	s_cbranch_execz .LBB4_6458
; %bb.6449:                             ;   in Loop: Header=BB4_6347 Depth=2
	v_bfe_u32 v18, v18, 23, 8
	v_sub_u32_e32 v21, 0x79, v18
	v_cmp_gt_u32_e32 vcc, s70, v18
	v_cndmask_b32_e32 v21, 0, v21, vcc
	v_cmp_eq_u32_e32 vcc, 0, v18
	v_add_u32_e32 v20, 0xffffff81, v18
	v_cndmask_b32_e32 v32, v21, v37, vcc
	v_or_b32_e32 v23, 0x800000, v16
	v_cndmask_b32_e32 v18, v20, v14, vcc
	v_add_u32_e32 v20, 20, v32
	v_cndmask_b32_e32 v16, v23, v16, vcc
	v_lshlrev_b64 v[20:21], v20, -1
	v_not_b32_e32 v20, v20
	v_lshrrev_b64 v[30:31], v32, v[16:17]
	v_not_b32_e32 v21, v21
	v_and_b32_e32 v24, v16, v20
	v_add_u32_e32 v20, 19, v32
	v_lshrrev_b32_e32 v16, 23, v30
	v_and_b32_e32 v25, 0, v21
	v_lshlrev_b64 v[26:27], v20, 1
	v_add3_u32 v20, v32, v18, v16
	v_bfe_u32 v16, v30, 20, 1
	v_add_u32_e32 v16, -1, v16
	v_cmp_eq_u64_e32 vcc, v[24:25], v[26:27]
	v_cndmask_b32_e32 v16, 0, v16, vcc
	v_add_u32_e32 v16, v16, v30
	v_and_b32_e32 v16, 0xfffff, v16
	v_add_co_u32_e32 v24, vcc, v16, v30
	v_add_u32_e32 v18, 6, v20
	v_addc_co_u32_e32 v25, vcc, 0, v31, vcc
	v_cmp_ne_u32_e32 vcc, 0, v18
                                        ; implicit-def: $vgpr16
	s_and_saveexec_b64 s[20:21], vcc
	s_xor_b64 s[20:21], exec, s[20:21]
; %bb.6450:                             ;   in Loop: Header=BB4_6347 Depth=2
	v_add_u32_e32 v16, 7, v20
	v_cmp_lt_u64_e32 vcc, s[44:45], v[24:25]
	v_cndmask_b32_e32 v16, v18, v16, vcc
	v_cndmask_b32_e64 v18, 0, 1, vcc
	v_lshrrev_b64 v[24:25], v18, v[24:25]
; %bb.6451:                             ;   in Loop: Header=BB4_6347 Depth=2
	s_andn2_saveexec_b64 s[20:21], s[20:21]
; %bb.6452:                             ;   in Loop: Header=BB4_6347 Depth=2
	v_bfe_u32 v16, v24, 23, 1
; %bb.6453:                             ;   in Loop: Header=BB4_6347 Depth=2
	s_or_b64 exec, exec, s[20:21]
	v_lshrrev_b64 v[20:21], 20, v[24:25]
	v_cmp_gt_i32_e32 vcc, 16, v16
	v_cndmask_b32_e32 v25, 0, v21, vcc
	v_cndmask_b32_e32 v24, 7, v20, vcc
	v_cmp_ne_u32_e32 vcc, 0, v16
	v_cmp_ne_u64_e64 s[20:21], 0, v[24:25]
	s_or_b64 s[20:21], vcc, s[20:21]
                                        ; implicit-def: $vgpr23
	s_and_saveexec_b64 vcc, s[20:21]
	s_xor_b64 s[20:21], exec, vcc
; %bb.6454:                             ;   in Loop: Header=BB4_6347 Depth=2
	v_min_i32_e32 v16, 15, v16
	v_lshl_or_b32 v15, v16, 3, v15
	v_and_or_b32 v23, v24, 7, v15
                                        ; implicit-def: $vgpr15
; %bb.6455:                             ;   in Loop: Header=BB4_6347 Depth=2
	s_andn2_saveexec_b64 s[20:21], s[20:21]
; %bb.6456:                             ;   in Loop: Header=BB4_6347 Depth=2
	v_mov_b32_e32 v23, v15
; %bb.6457:                             ;   in Loop: Header=BB4_6347 Depth=2
	s_or_b64 exec, exec, s[20:21]
.LBB4_6458:                             ;   in Loop: Header=BB4_6347 Depth=2
	s_or_b64 exec, exec, s[58:59]
.LBB4_6459:                             ;   in Loop: Header=BB4_6347 Depth=2
	s_andn2_saveexec_b64 s[20:21], s[56:57]
	s_or_b64 exec, exec, s[20:21]
                                        ; implicit-def: $vgpr18
.LBB4_6460:                             ;   in Loop: Header=BB4_6347 Depth=2
	s_andn2_saveexec_b64 s[20:21], s[54:55]
; %bb.6461:                             ;   in Loop: Header=BB4_6347 Depth=2
	v_or_b32_sdwa v15, v18, s68 dst_sel:DWORD dst_unused:UNUSED_PAD src0_sel:BYTE_3 src1_sel:DWORD
	v_cmp_eq_u64_e32 vcc, 0, v[16:17]
	v_cndmask_b32_e32 v23, v15, v23, vcc
; %bb.6462:                             ;   in Loop: Header=BB4_6347 Depth=2
	s_or_b64 exec, exec, s[20:21]
	flat_load_ubyte v15, v[54:55] offset:320 glc slc
	v_mov_b32_e32 v18, 0
	s_waitcnt vmcnt(0) lgkmcnt(0)
	v_cmp_ne_u16_e32 vcc, 0, v15
	s_and_saveexec_b64 s[20:21], vcc
	s_cbranch_execz .LBB4_6468
; %bb.6463:                             ;   in Loop: Header=BB4_6347 Depth=2
	v_cmp_ne_u16_e32 vcc, s69, v15
	v_bfrev_b32_e32 v18, 1
	s_and_saveexec_b64 s[54:55], vcc
	s_cbranch_execz .LBB4_6467
; %bb.6464:                             ;   in Loop: Header=BB4_6347 Depth=2
	v_and_b32_e32 v16, 0xffff, v15
	v_and_b32_e32 v20, 0x7f, v16
	v_cmp_ne_u32_e32 vcc, s68, v20
	v_mov_b32_e32 v18, 0x7f800001
	s_and_saveexec_b64 s[56:57], vcc
	s_cbranch_execz .LBB4_6466
; %bb.6465:                             ;   in Loop: Header=BB4_6347 Depth=2
	v_and_b32_e32 v18, 7, v16
	v_ffbh_u32_e32 v24, v18
	v_min_u32_e32 v26, 32, v24
	v_subrev_u32_e32 v24, 28, v26
	v_lshlrev_b64 v[24:25], v24, v[16:17]
	v_lshrrev_b32_e32 v21, 3, v20
	v_sub_u32_e32 v16, 29, v26
	v_and_b32_e32 v24, 7, v24
	v_cmp_gt_u32_e32 vcc, 8, v20
	v_cndmask_b32_e32 v16, v21, v16, vcc
	v_cndmask_b32_e32 v18, v18, v24, vcc
	v_lshlrev_b32_e32 v15, 24, v15
	v_lshlrev_b32_e32 v18, 20, v18
	v_and_b32_e32 v15, 0x80000000, v15
	v_lshl_add_u32 v16, v16, 23, v47
	v_or3_b32 v18, v15, v16, v18
.LBB4_6466:                             ;   in Loop: Header=BB4_6347 Depth=2
	s_or_b64 exec, exec, s[56:57]
.LBB4_6467:                             ;   in Loop: Header=BB4_6347 Depth=2
	s_or_b64 exec, exec, s[54:55]
.LBB4_6468:                             ;   in Loop: Header=BB4_6347 Depth=2
	s_or_b64 exec, exec, s[20:21]
	v_mul_f32_e32 v18, s60, v18
	v_and_b32_sdwa v15, v18, s69 dst_sel:DWORD dst_unused:UNUSED_PAD src0_sel:BYTE_3 src1_sel:DWORD
	v_and_b32_e32 v20, 0x7f800000, v18
	v_mov_b32_e32 v21, v17
	v_and_b32_e32 v16, 0x7fffff, v18
	v_or_b32_e32 v26, 0x7e, v15
	v_cmp_ne_u64_e32 vcc, s[38:39], v[20:21]
	s_and_saveexec_b64 s[20:21], vcc
	s_xor_b64 s[54:55], exec, s[20:21]
	s_cbranch_execz .LBB4_6482
; %bb.6469:                             ;   in Loop: Header=BB4_6347 Depth=2
	v_and_b32_e32 v20, 0x7fffffff, v18
	v_mov_b32_e32 v21, v17
	v_cmp_gt_u64_e32 vcc, s[40:41], v[20:21]
	s_and_saveexec_b64 s[20:21], vcc
	s_xor_b64 s[56:57], exec, s[20:21]
	s_cbranch_execz .LBB4_6481
; %bb.6470:                             ;   in Loop: Header=BB4_6347 Depth=2
	v_cmp_ne_u32_e32 vcc, 0, v18
	v_mov_b32_e32 v26, 0
	s_and_saveexec_b64 s[58:59], vcc
	s_cbranch_execz .LBB4_6480
; %bb.6471:                             ;   in Loop: Header=BB4_6347 Depth=2
	v_bfe_u32 v18, v18, 23, 8
	v_sub_u32_e32 v21, 0x79, v18
	v_cmp_gt_u32_e32 vcc, s70, v18
	v_cndmask_b32_e32 v21, 0, v21, vcc
	v_cmp_eq_u32_e32 vcc, 0, v18
	v_add_u32_e32 v20, 0xffffff81, v18
	v_cndmask_b32_e32 v32, v21, v37, vcc
	v_or_b32_e32 v24, 0x800000, v16
	v_cndmask_b32_e32 v18, v20, v14, vcc
	v_add_u32_e32 v20, 20, v32
	v_cndmask_b32_e32 v16, v24, v16, vcc
	v_lshlrev_b64 v[20:21], v20, -1
	v_not_b32_e32 v20, v20
	v_lshrrev_b64 v[30:31], v32, v[16:17]
	v_not_b32_e32 v21, v21
	v_and_b32_e32 v24, v16, v20
	v_add_u32_e32 v20, 19, v32
	v_lshrrev_b32_e32 v16, 23, v30
	v_and_b32_e32 v25, 0, v21
	v_lshlrev_b64 v[26:27], v20, 1
	v_add3_u32 v20, v32, v18, v16
	v_bfe_u32 v16, v30, 20, 1
	v_add_u32_e32 v16, -1, v16
	v_cmp_eq_u64_e32 vcc, v[24:25], v[26:27]
	v_cndmask_b32_e32 v16, 0, v16, vcc
	v_add_u32_e32 v16, v16, v30
	v_and_b32_e32 v16, 0xfffff, v16
	v_add_co_u32_e32 v24, vcc, v16, v30
	v_add_u32_e32 v18, 6, v20
	v_addc_co_u32_e32 v25, vcc, 0, v31, vcc
	v_cmp_ne_u32_e32 vcc, 0, v18
                                        ; implicit-def: $vgpr16
	s_and_saveexec_b64 s[20:21], vcc
	s_xor_b64 s[20:21], exec, s[20:21]
; %bb.6472:                             ;   in Loop: Header=BB4_6347 Depth=2
	v_add_u32_e32 v16, 7, v20
	v_cmp_lt_u64_e32 vcc, s[44:45], v[24:25]
	v_cndmask_b32_e32 v16, v18, v16, vcc
	v_cndmask_b32_e64 v18, 0, 1, vcc
	v_lshrrev_b64 v[24:25], v18, v[24:25]
; %bb.6473:                             ;   in Loop: Header=BB4_6347 Depth=2
	s_andn2_saveexec_b64 s[20:21], s[20:21]
; %bb.6474:                             ;   in Loop: Header=BB4_6347 Depth=2
	v_bfe_u32 v16, v24, 23, 1
; %bb.6475:                             ;   in Loop: Header=BB4_6347 Depth=2
	s_or_b64 exec, exec, s[20:21]
	v_lshrrev_b64 v[20:21], 20, v[24:25]
	v_cmp_gt_i32_e32 vcc, 16, v16
	v_cndmask_b32_e32 v25, 0, v21, vcc
	v_cndmask_b32_e32 v24, 7, v20, vcc
	v_cmp_ne_u32_e32 vcc, 0, v16
	v_cmp_ne_u64_e64 s[20:21], 0, v[24:25]
	s_or_b64 s[20:21], vcc, s[20:21]
                                        ; implicit-def: $vgpr26
	s_and_saveexec_b64 vcc, s[20:21]
	s_xor_b64 s[20:21], exec, vcc
; %bb.6476:                             ;   in Loop: Header=BB4_6347 Depth=2
	v_min_i32_e32 v16, 15, v16
	v_lshl_or_b32 v15, v16, 3, v15
	v_and_or_b32 v26, v24, 7, v15
                                        ; implicit-def: $vgpr15
; %bb.6477:                             ;   in Loop: Header=BB4_6347 Depth=2
	s_andn2_saveexec_b64 s[20:21], s[20:21]
; %bb.6478:                             ;   in Loop: Header=BB4_6347 Depth=2
	v_mov_b32_e32 v26, v15
; %bb.6479:                             ;   in Loop: Header=BB4_6347 Depth=2
	s_or_b64 exec, exec, s[20:21]
.LBB4_6480:                             ;   in Loop: Header=BB4_6347 Depth=2
	s_or_b64 exec, exec, s[58:59]
.LBB4_6481:                             ;   in Loop: Header=BB4_6347 Depth=2
	s_andn2_saveexec_b64 s[20:21], s[56:57]
	s_or_b64 exec, exec, s[20:21]
                                        ; implicit-def: $vgpr18
.LBB4_6482:                             ;   in Loop: Header=BB4_6347 Depth=2
	s_andn2_saveexec_b64 s[20:21], s[54:55]
; %bb.6483:                             ;   in Loop: Header=BB4_6347 Depth=2
	v_or_b32_sdwa v15, v18, s68 dst_sel:DWORD dst_unused:UNUSED_PAD src0_sel:BYTE_3 src1_sel:DWORD
	v_cmp_eq_u64_e32 vcc, 0, v[16:17]
	v_cndmask_b32_e32 v26, v15, v26, vcc
; %bb.6484:                             ;   in Loop: Header=BB4_6347 Depth=2
	s_or_b64 exec, exec, s[20:21]
	flat_load_ubyte v15, v[54:55] offset:384 glc slc
	v_mov_b32_e32 v18, 0
	s_waitcnt vmcnt(0) lgkmcnt(0)
	v_cmp_ne_u16_e32 vcc, 0, v15
	s_and_saveexec_b64 s[20:21], vcc
	s_cbranch_execz .LBB4_6490
; %bb.6485:                             ;   in Loop: Header=BB4_6347 Depth=2
	v_cmp_ne_u16_e32 vcc, s69, v15
	v_bfrev_b32_e32 v18, 1
	s_and_saveexec_b64 s[54:55], vcc
	s_cbranch_execz .LBB4_6489
; %bb.6486:                             ;   in Loop: Header=BB4_6347 Depth=2
	v_and_b32_e32 v16, 0xffff, v15
	v_and_b32_e32 v20, 0x7f, v16
	v_cmp_ne_u32_e32 vcc, s68, v20
	v_mov_b32_e32 v18, 0x7f800001
	s_and_saveexec_b64 s[56:57], vcc
	s_cbranch_execz .LBB4_6488
; %bb.6487:                             ;   in Loop: Header=BB4_6347 Depth=2
	v_and_b32_e32 v18, 7, v16
	v_ffbh_u32_e32 v24, v18
	v_min_u32_e32 v27, 32, v24
	v_subrev_u32_e32 v24, 28, v27
	v_lshlrev_b64 v[24:25], v24, v[16:17]
	v_lshrrev_b32_e32 v21, 3, v20
	v_sub_u32_e32 v16, 29, v27
	v_and_b32_e32 v24, 7, v24
	v_cmp_gt_u32_e32 vcc, 8, v20
	v_cndmask_b32_e32 v16, v21, v16, vcc
	v_cndmask_b32_e32 v18, v18, v24, vcc
	v_lshlrev_b32_e32 v15, 24, v15
	v_lshlrev_b32_e32 v18, 20, v18
	v_and_b32_e32 v15, 0x80000000, v15
	v_lshl_add_u32 v16, v16, 23, v47
	v_or3_b32 v18, v15, v16, v18
.LBB4_6488:                             ;   in Loop: Header=BB4_6347 Depth=2
	s_or_b64 exec, exec, s[56:57]
.LBB4_6489:                             ;   in Loop: Header=BB4_6347 Depth=2
	s_or_b64 exec, exec, s[54:55]
.LBB4_6490:                             ;   in Loop: Header=BB4_6347 Depth=2
	s_or_b64 exec, exec, s[20:21]
	v_mul_f32_e32 v18, s60, v18
	v_and_b32_sdwa v15, v18, s69 dst_sel:DWORD dst_unused:UNUSED_PAD src0_sel:BYTE_3 src1_sel:DWORD
	v_and_b32_e32 v20, 0x7f800000, v18
	v_mov_b32_e32 v21, v17
	v_and_b32_e32 v16, 0x7fffff, v18
	v_or_b32_e32 v27, 0x7e, v15
	v_cmp_ne_u64_e32 vcc, s[38:39], v[20:21]
	s_and_saveexec_b64 s[20:21], vcc
	s_xor_b64 s[54:55], exec, s[20:21]
	s_cbranch_execz .LBB4_6504
; %bb.6491:                             ;   in Loop: Header=BB4_6347 Depth=2
	v_and_b32_e32 v20, 0x7fffffff, v18
	v_mov_b32_e32 v21, v17
	v_cmp_gt_u64_e32 vcc, s[40:41], v[20:21]
	s_and_saveexec_b64 s[20:21], vcc
	s_xor_b64 s[56:57], exec, s[20:21]
	s_cbranch_execz .LBB4_6503
; %bb.6492:                             ;   in Loop: Header=BB4_6347 Depth=2
	v_cmp_ne_u32_e32 vcc, 0, v18
	v_mov_b32_e32 v27, 0
	s_and_saveexec_b64 s[58:59], vcc
	s_cbranch_execz .LBB4_6502
; %bb.6493:                             ;   in Loop: Header=BB4_6347 Depth=2
	v_bfe_u32 v18, v18, 23, 8
	v_sub_u32_e32 v21, 0x79, v18
	v_cmp_gt_u32_e32 vcc, s70, v18
	v_cndmask_b32_e32 v21, 0, v21, vcc
	v_cmp_eq_u32_e32 vcc, 0, v18
	v_add_u32_e32 v20, 0xffffff81, v18
	v_cndmask_b32_e32 v27, v21, v37, vcc
	v_or_b32_e32 v24, 0x800000, v16
	v_cndmask_b32_e32 v18, v20, v14, vcc
	v_add_u32_e32 v20, 20, v27
	v_cndmask_b32_e32 v16, v24, v16, vcc
	v_lshlrev_b64 v[20:21], v20, -1
	v_not_b32_e32 v20, v20
	v_lshrrev_b64 v[32:33], v27, v[16:17]
	v_not_b32_e32 v21, v21
	v_and_b32_e32 v24, v16, v20
	v_add_u32_e32 v20, 19, v27
	v_lshrrev_b32_e32 v16, 23, v32
	v_and_b32_e32 v25, 0, v21
	v_lshlrev_b64 v[30:31], v20, 1
	v_add3_u32 v20, v27, v18, v16
	v_bfe_u32 v16, v32, 20, 1
	v_add_u32_e32 v16, -1, v16
	v_cmp_eq_u64_e32 vcc, v[24:25], v[30:31]
	v_cndmask_b32_e32 v16, 0, v16, vcc
	v_add_u32_e32 v16, v16, v32
	v_and_b32_e32 v16, 0xfffff, v16
	v_add_co_u32_e32 v24, vcc, v16, v32
	v_add_u32_e32 v18, 6, v20
	v_addc_co_u32_e32 v25, vcc, 0, v33, vcc
	v_cmp_ne_u32_e32 vcc, 0, v18
                                        ; implicit-def: $vgpr16
	s_and_saveexec_b64 s[20:21], vcc
	s_xor_b64 s[20:21], exec, s[20:21]
; %bb.6494:                             ;   in Loop: Header=BB4_6347 Depth=2
	v_add_u32_e32 v16, 7, v20
	v_cmp_lt_u64_e32 vcc, s[44:45], v[24:25]
	v_cndmask_b32_e32 v16, v18, v16, vcc
	v_cndmask_b32_e64 v18, 0, 1, vcc
	v_lshrrev_b64 v[24:25], v18, v[24:25]
; %bb.6495:                             ;   in Loop: Header=BB4_6347 Depth=2
	s_andn2_saveexec_b64 s[20:21], s[20:21]
; %bb.6496:                             ;   in Loop: Header=BB4_6347 Depth=2
	v_bfe_u32 v16, v24, 23, 1
; %bb.6497:                             ;   in Loop: Header=BB4_6347 Depth=2
	s_or_b64 exec, exec, s[20:21]
	v_lshrrev_b64 v[20:21], 20, v[24:25]
	v_cmp_gt_i32_e32 vcc, 16, v16
	v_cndmask_b32_e32 v25, 0, v21, vcc
	v_cndmask_b32_e32 v24, 7, v20, vcc
	v_cmp_ne_u32_e32 vcc, 0, v16
	v_cmp_ne_u64_e64 s[20:21], 0, v[24:25]
	s_or_b64 s[20:21], vcc, s[20:21]
                                        ; implicit-def: $vgpr27
	s_and_saveexec_b64 vcc, s[20:21]
	s_xor_b64 s[20:21], exec, vcc
; %bb.6498:                             ;   in Loop: Header=BB4_6347 Depth=2
	v_min_i32_e32 v16, 15, v16
	v_lshl_or_b32 v15, v16, 3, v15
	v_and_or_b32 v27, v24, 7, v15
                                        ; implicit-def: $vgpr15
; %bb.6499:                             ;   in Loop: Header=BB4_6347 Depth=2
	s_andn2_saveexec_b64 s[20:21], s[20:21]
; %bb.6500:                             ;   in Loop: Header=BB4_6347 Depth=2
	v_mov_b32_e32 v27, v15
; %bb.6501:                             ;   in Loop: Header=BB4_6347 Depth=2
	s_or_b64 exec, exec, s[20:21]
.LBB4_6502:                             ;   in Loop: Header=BB4_6347 Depth=2
	s_or_b64 exec, exec, s[58:59]
.LBB4_6503:                             ;   in Loop: Header=BB4_6347 Depth=2
	s_andn2_saveexec_b64 s[20:21], s[56:57]
	s_or_b64 exec, exec, s[20:21]
                                        ; implicit-def: $vgpr18
.LBB4_6504:                             ;   in Loop: Header=BB4_6347 Depth=2
	s_andn2_saveexec_b64 s[20:21], s[54:55]
; %bb.6505:                             ;   in Loop: Header=BB4_6347 Depth=2
	v_or_b32_sdwa v15, v18, s68 dst_sel:DWORD dst_unused:UNUSED_PAD src0_sel:BYTE_3 src1_sel:DWORD
	v_cmp_eq_u64_e32 vcc, 0, v[16:17]
	v_cndmask_b32_e32 v27, v15, v27, vcc
; %bb.6506:                             ;   in Loop: Header=BB4_6347 Depth=2
	s_or_b64 exec, exec, s[20:21]
	flat_load_ubyte v15, v[54:55] offset:448 glc slc
	v_mov_b32_e32 v18, 0
	s_waitcnt vmcnt(0) lgkmcnt(0)
	v_cmp_ne_u16_e32 vcc, 0, v15
	s_and_saveexec_b64 s[20:21], vcc
	s_cbranch_execz .LBB4_6512
; %bb.6507:                             ;   in Loop: Header=BB4_6347 Depth=2
	v_cmp_ne_u16_e32 vcc, s69, v15
	v_bfrev_b32_e32 v18, 1
	s_and_saveexec_b64 s[54:55], vcc
	s_cbranch_execz .LBB4_6511
; %bb.6508:                             ;   in Loop: Header=BB4_6347 Depth=2
	v_and_b32_e32 v16, 0xffff, v15
	v_and_b32_e32 v20, 0x7f, v16
	v_cmp_ne_u32_e32 vcc, s68, v20
	v_mov_b32_e32 v18, 0x7f800001
	s_and_saveexec_b64 s[56:57], vcc
	s_cbranch_execz .LBB4_6510
; %bb.6509:                             ;   in Loop: Header=BB4_6347 Depth=2
	v_and_b32_e32 v18, 7, v16
	v_ffbh_u32_e32 v24, v18
	v_min_u32_e32 v30, 32, v24
	v_subrev_u32_e32 v24, 28, v30
	v_lshlrev_b64 v[24:25], v24, v[16:17]
	v_lshrrev_b32_e32 v21, 3, v20
	v_sub_u32_e32 v16, 29, v30
	v_and_b32_e32 v24, 7, v24
	v_cmp_gt_u32_e32 vcc, 8, v20
	v_cndmask_b32_e32 v16, v21, v16, vcc
	v_cndmask_b32_e32 v18, v18, v24, vcc
	v_lshlrev_b32_e32 v15, 24, v15
	v_lshlrev_b32_e32 v18, 20, v18
	v_and_b32_e32 v15, 0x80000000, v15
	v_lshl_add_u32 v16, v16, 23, v47
	v_or3_b32 v18, v15, v16, v18
.LBB4_6510:                             ;   in Loop: Header=BB4_6347 Depth=2
	s_or_b64 exec, exec, s[56:57]
.LBB4_6511:                             ;   in Loop: Header=BB4_6347 Depth=2
	s_or_b64 exec, exec, s[54:55]
.LBB4_6512:                             ;   in Loop: Header=BB4_6347 Depth=2
	s_or_b64 exec, exec, s[20:21]
	v_mul_f32_e32 v18, s60, v18
	v_and_b32_sdwa v15, v18, s69 dst_sel:DWORD dst_unused:UNUSED_PAD src0_sel:BYTE_3 src1_sel:DWORD
	v_and_b32_e32 v20, 0x7f800000, v18
	v_mov_b32_e32 v21, v17
	v_and_b32_e32 v16, 0x7fffff, v18
	v_or_b32_e32 v32, 0x7e, v15
	v_cmp_ne_u64_e32 vcc, s[38:39], v[20:21]
	s_and_saveexec_b64 s[20:21], vcc
	s_xor_b64 s[54:55], exec, s[20:21]
	s_cbranch_execz .LBB4_6526
; %bb.6513:                             ;   in Loop: Header=BB4_6347 Depth=2
	v_and_b32_e32 v20, 0x7fffffff, v18
	v_mov_b32_e32 v21, v17
	v_cmp_gt_u64_e32 vcc, s[40:41], v[20:21]
	s_and_saveexec_b64 s[20:21], vcc
	s_xor_b64 s[56:57], exec, s[20:21]
	s_cbranch_execz .LBB4_6525
; %bb.6514:                             ;   in Loop: Header=BB4_6347 Depth=2
	v_cmp_ne_u32_e32 vcc, 0, v18
	v_mov_b32_e32 v32, 0
	s_and_saveexec_b64 s[58:59], vcc
	s_cbranch_execz .LBB4_6524
; %bb.6515:                             ;   in Loop: Header=BB4_6347 Depth=2
	v_bfe_u32 v18, v18, 23, 8
	v_sub_u32_e32 v21, 0x79, v18
	v_cmp_gt_u32_e32 vcc, s70, v18
	v_cndmask_b32_e32 v21, 0, v21, vcc
	v_cmp_eq_u32_e32 vcc, 0, v18
	v_add_u32_e32 v20, 0xffffff81, v18
	v_cndmask_b32_e32 v34, v21, v37, vcc
	v_or_b32_e32 v24, 0x800000, v16
	v_cndmask_b32_e32 v18, v20, v14, vcc
	v_add_u32_e32 v20, 20, v34
	v_cndmask_b32_e32 v16, v24, v16, vcc
	v_lshlrev_b64 v[20:21], v20, -1
	v_not_b32_e32 v20, v20
	v_lshrrev_b64 v[32:33], v34, v[16:17]
	v_not_b32_e32 v21, v21
	v_and_b32_e32 v24, v16, v20
	v_add_u32_e32 v20, 19, v34
	v_lshrrev_b32_e32 v16, 23, v32
	v_and_b32_e32 v25, 0, v21
	v_lshlrev_b64 v[30:31], v20, 1
	v_add3_u32 v20, v34, v18, v16
	v_bfe_u32 v16, v32, 20, 1
	v_add_u32_e32 v16, -1, v16
	v_cmp_eq_u64_e32 vcc, v[24:25], v[30:31]
	v_cndmask_b32_e32 v16, 0, v16, vcc
	v_add_u32_e32 v16, v16, v32
	v_and_b32_e32 v16, 0xfffff, v16
	v_add_co_u32_e32 v24, vcc, v16, v32
	v_add_u32_e32 v18, 6, v20
	v_addc_co_u32_e32 v25, vcc, 0, v33, vcc
	v_cmp_ne_u32_e32 vcc, 0, v18
                                        ; implicit-def: $vgpr16
	s_and_saveexec_b64 s[20:21], vcc
	s_xor_b64 s[20:21], exec, s[20:21]
; %bb.6516:                             ;   in Loop: Header=BB4_6347 Depth=2
	v_add_u32_e32 v16, 7, v20
	v_cmp_lt_u64_e32 vcc, s[44:45], v[24:25]
	v_cndmask_b32_e32 v16, v18, v16, vcc
	v_cndmask_b32_e64 v18, 0, 1, vcc
	v_lshrrev_b64 v[24:25], v18, v[24:25]
; %bb.6517:                             ;   in Loop: Header=BB4_6347 Depth=2
	s_andn2_saveexec_b64 s[20:21], s[20:21]
; %bb.6518:                             ;   in Loop: Header=BB4_6347 Depth=2
	v_bfe_u32 v16, v24, 23, 1
; %bb.6519:                             ;   in Loop: Header=BB4_6347 Depth=2
	s_or_b64 exec, exec, s[20:21]
	v_lshrrev_b64 v[20:21], 20, v[24:25]
	v_cmp_gt_i32_e32 vcc, 16, v16
	v_cndmask_b32_e32 v25, 0, v21, vcc
	v_cndmask_b32_e32 v24, 7, v20, vcc
	v_cmp_ne_u32_e32 vcc, 0, v16
	v_cmp_ne_u64_e64 s[20:21], 0, v[24:25]
	s_or_b64 s[20:21], vcc, s[20:21]
                                        ; implicit-def: $vgpr32
	s_and_saveexec_b64 vcc, s[20:21]
	s_xor_b64 s[20:21], exec, vcc
; %bb.6520:                             ;   in Loop: Header=BB4_6347 Depth=2
	v_min_i32_e32 v16, 15, v16
	v_lshl_or_b32 v15, v16, 3, v15
	v_and_or_b32 v32, v24, 7, v15
                                        ; implicit-def: $vgpr15
; %bb.6521:                             ;   in Loop: Header=BB4_6347 Depth=2
	s_andn2_saveexec_b64 s[20:21], s[20:21]
; %bb.6522:                             ;   in Loop: Header=BB4_6347 Depth=2
	v_mov_b32_e32 v32, v15
; %bb.6523:                             ;   in Loop: Header=BB4_6347 Depth=2
	s_or_b64 exec, exec, s[20:21]
.LBB4_6524:                             ;   in Loop: Header=BB4_6347 Depth=2
	s_or_b64 exec, exec, s[58:59]
.LBB4_6525:                             ;   in Loop: Header=BB4_6347 Depth=2
	s_andn2_saveexec_b64 s[20:21], s[56:57]
	s_or_b64 exec, exec, s[20:21]
                                        ; implicit-def: $vgpr18
.LBB4_6526:                             ;   in Loop: Header=BB4_6347 Depth=2
	s_andn2_saveexec_b64 s[20:21], s[54:55]
; %bb.6527:                             ;   in Loop: Header=BB4_6347 Depth=2
	v_or_b32_sdwa v15, v18, s68 dst_sel:DWORD dst_unused:UNUSED_PAD src0_sel:BYTE_3 src1_sel:DWORD
	v_cmp_eq_u64_e32 vcc, 0, v[16:17]
	v_cndmask_b32_e32 v32, v15, v32, vcc
; %bb.6528:                             ;   in Loop: Header=BB4_6347 Depth=2
	s_or_b64 exec, exec, s[20:21]
	flat_load_ubyte v15, v[54:55] offset:512 glc slc
	v_mov_b32_e32 v18, 0
	s_waitcnt vmcnt(0) lgkmcnt(0)
	v_cmp_ne_u16_e32 vcc, 0, v15
	s_and_saveexec_b64 s[20:21], vcc
	s_cbranch_execz .LBB4_6534
; %bb.6529:                             ;   in Loop: Header=BB4_6347 Depth=2
	v_cmp_ne_u16_e32 vcc, s69, v15
	v_bfrev_b32_e32 v18, 1
	s_and_saveexec_b64 s[54:55], vcc
	s_cbranch_execz .LBB4_6533
; %bb.6530:                             ;   in Loop: Header=BB4_6347 Depth=2
	v_and_b32_e32 v16, 0xffff, v15
	v_and_b32_e32 v20, 0x7f, v16
	v_cmp_ne_u32_e32 vcc, s68, v20
	v_mov_b32_e32 v18, 0x7f800001
	s_and_saveexec_b64 s[56:57], vcc
	s_cbranch_execz .LBB4_6532
; %bb.6531:                             ;   in Loop: Header=BB4_6347 Depth=2
	v_and_b32_e32 v18, 7, v16
	v_ffbh_u32_e32 v24, v18
	v_min_u32_e32 v30, 32, v24
	v_subrev_u32_e32 v24, 28, v30
	v_lshlrev_b64 v[24:25], v24, v[16:17]
	v_lshrrev_b32_e32 v21, 3, v20
	v_sub_u32_e32 v16, 29, v30
	v_and_b32_e32 v24, 7, v24
	v_cmp_gt_u32_e32 vcc, 8, v20
	v_cndmask_b32_e32 v16, v21, v16, vcc
	v_cndmask_b32_e32 v18, v18, v24, vcc
	v_lshlrev_b32_e32 v15, 24, v15
	v_lshlrev_b32_e32 v18, 20, v18
	v_and_b32_e32 v15, 0x80000000, v15
	v_lshl_add_u32 v16, v16, 23, v47
	v_or3_b32 v18, v15, v16, v18
.LBB4_6532:                             ;   in Loop: Header=BB4_6347 Depth=2
	s_or_b64 exec, exec, s[56:57]
.LBB4_6533:                             ;   in Loop: Header=BB4_6347 Depth=2
	s_or_b64 exec, exec, s[54:55]
.LBB4_6534:                             ;   in Loop: Header=BB4_6347 Depth=2
	s_or_b64 exec, exec, s[20:21]
	v_mul_f32_e32 v18, s60, v18
	v_and_b32_sdwa v15, v18, s69 dst_sel:DWORD dst_unused:UNUSED_PAD src0_sel:BYTE_3 src1_sel:DWORD
	v_and_b32_e32 v20, 0x7f800000, v18
	v_mov_b32_e32 v21, v17
	v_and_b32_e32 v16, 0x7fffff, v18
	v_or_b32_e32 v33, 0x7e, v15
	v_cmp_ne_u64_e32 vcc, s[38:39], v[20:21]
	s_and_saveexec_b64 s[20:21], vcc
	s_xor_b64 s[54:55], exec, s[20:21]
	s_cbranch_execz .LBB4_6548
; %bb.6535:                             ;   in Loop: Header=BB4_6347 Depth=2
	v_and_b32_e32 v20, 0x7fffffff, v18
	v_mov_b32_e32 v21, v17
	v_cmp_gt_u64_e32 vcc, s[40:41], v[20:21]
	s_and_saveexec_b64 s[20:21], vcc
	s_xor_b64 s[56:57], exec, s[20:21]
	s_cbranch_execz .LBB4_6547
; %bb.6536:                             ;   in Loop: Header=BB4_6347 Depth=2
	v_cmp_ne_u32_e32 vcc, 0, v18
	v_mov_b32_e32 v33, 0
	s_and_saveexec_b64 s[58:59], vcc
	s_cbranch_execz .LBB4_6546
; %bb.6537:                             ;   in Loop: Header=BB4_6347 Depth=2
	v_bfe_u32 v18, v18, 23, 8
	v_sub_u32_e32 v21, 0x79, v18
	v_cmp_gt_u32_e32 vcc, s70, v18
	v_cndmask_b32_e32 v21, 0, v21, vcc
	v_cmp_eq_u32_e32 vcc, 0, v18
	v_add_u32_e32 v20, 0xffffff81, v18
	v_cndmask_b32_e32 v33, v21, v37, vcc
	v_or_b32_e32 v24, 0x800000, v16
	v_cndmask_b32_e32 v18, v20, v14, vcc
	v_add_u32_e32 v20, 20, v33
	v_cndmask_b32_e32 v16, v24, v16, vcc
	v_lshlrev_b64 v[20:21], v20, -1
	v_not_b32_e32 v20, v20
	v_lshrrev_b64 v[34:35], v33, v[16:17]
	v_not_b32_e32 v21, v21
	v_and_b32_e32 v24, v16, v20
	v_add_u32_e32 v20, 19, v33
	v_lshrrev_b32_e32 v16, 23, v34
	v_and_b32_e32 v25, 0, v21
	v_lshlrev_b64 v[30:31], v20, 1
	v_add3_u32 v20, v33, v18, v16
	v_bfe_u32 v16, v34, 20, 1
	v_add_u32_e32 v16, -1, v16
	v_cmp_eq_u64_e32 vcc, v[24:25], v[30:31]
	v_cndmask_b32_e32 v16, 0, v16, vcc
	v_add_u32_e32 v16, v16, v34
	v_and_b32_e32 v16, 0xfffff, v16
	v_add_co_u32_e32 v24, vcc, v16, v34
	v_add_u32_e32 v18, 6, v20
	v_addc_co_u32_e32 v25, vcc, 0, v35, vcc
	v_cmp_ne_u32_e32 vcc, 0, v18
                                        ; implicit-def: $vgpr16
	s_and_saveexec_b64 s[20:21], vcc
	s_xor_b64 s[20:21], exec, s[20:21]
; %bb.6538:                             ;   in Loop: Header=BB4_6347 Depth=2
	v_add_u32_e32 v16, 7, v20
	v_cmp_lt_u64_e32 vcc, s[44:45], v[24:25]
	v_cndmask_b32_e32 v16, v18, v16, vcc
	v_cndmask_b32_e64 v18, 0, 1, vcc
	v_lshrrev_b64 v[24:25], v18, v[24:25]
; %bb.6539:                             ;   in Loop: Header=BB4_6347 Depth=2
	s_andn2_saveexec_b64 s[20:21], s[20:21]
; %bb.6540:                             ;   in Loop: Header=BB4_6347 Depth=2
	v_bfe_u32 v16, v24, 23, 1
; %bb.6541:                             ;   in Loop: Header=BB4_6347 Depth=2
	s_or_b64 exec, exec, s[20:21]
	v_lshrrev_b64 v[20:21], 20, v[24:25]
	v_cmp_gt_i32_e32 vcc, 16, v16
	v_cndmask_b32_e32 v25, 0, v21, vcc
	v_cndmask_b32_e32 v24, 7, v20, vcc
	v_cmp_ne_u32_e32 vcc, 0, v16
	v_cmp_ne_u64_e64 s[20:21], 0, v[24:25]
	s_or_b64 s[20:21], vcc, s[20:21]
                                        ; implicit-def: $vgpr33
	s_and_saveexec_b64 vcc, s[20:21]
	s_xor_b64 s[20:21], exec, vcc
; %bb.6542:                             ;   in Loop: Header=BB4_6347 Depth=2
	v_min_i32_e32 v16, 15, v16
	v_lshl_or_b32 v15, v16, 3, v15
	v_and_or_b32 v33, v24, 7, v15
                                        ; implicit-def: $vgpr15
; %bb.6543:                             ;   in Loop: Header=BB4_6347 Depth=2
	s_andn2_saveexec_b64 s[20:21], s[20:21]
; %bb.6544:                             ;   in Loop: Header=BB4_6347 Depth=2
	v_mov_b32_e32 v33, v15
; %bb.6545:                             ;   in Loop: Header=BB4_6347 Depth=2
	s_or_b64 exec, exec, s[20:21]
.LBB4_6546:                             ;   in Loop: Header=BB4_6347 Depth=2
	s_or_b64 exec, exec, s[58:59]
.LBB4_6547:                             ;   in Loop: Header=BB4_6347 Depth=2
	s_andn2_saveexec_b64 s[20:21], s[56:57]
	s_or_b64 exec, exec, s[20:21]
                                        ; implicit-def: $vgpr18
.LBB4_6548:                             ;   in Loop: Header=BB4_6347 Depth=2
	s_andn2_saveexec_b64 s[20:21], s[54:55]
; %bb.6549:                             ;   in Loop: Header=BB4_6347 Depth=2
	v_or_b32_sdwa v15, v18, s68 dst_sel:DWORD dst_unused:UNUSED_PAD src0_sel:BYTE_3 src1_sel:DWORD
	v_cmp_eq_u64_e32 vcc, 0, v[16:17]
	v_cndmask_b32_e32 v33, v15, v33, vcc
; %bb.6550:                             ;   in Loop: Header=BB4_6347 Depth=2
	s_or_b64 exec, exec, s[20:21]
	flat_load_ubyte v15, v[54:55] offset:576 glc slc
	v_mov_b32_e32 v18, 0
	s_waitcnt vmcnt(0) lgkmcnt(0)
	v_cmp_ne_u16_e32 vcc, 0, v15
	s_and_saveexec_b64 s[20:21], vcc
	s_cbranch_execz .LBB4_6556
; %bb.6551:                             ;   in Loop: Header=BB4_6347 Depth=2
	v_cmp_ne_u16_e32 vcc, s69, v15
	v_bfrev_b32_e32 v18, 1
	s_and_saveexec_b64 s[54:55], vcc
	s_cbranch_execz .LBB4_6555
; %bb.6552:                             ;   in Loop: Header=BB4_6347 Depth=2
	v_and_b32_e32 v16, 0xffff, v15
	v_and_b32_e32 v20, 0x7f, v16
	v_cmp_ne_u32_e32 vcc, s68, v20
	v_mov_b32_e32 v18, 0x7f800001
	s_and_saveexec_b64 s[56:57], vcc
	s_cbranch_execz .LBB4_6554
; %bb.6553:                             ;   in Loop: Header=BB4_6347 Depth=2
	v_and_b32_e32 v18, 7, v16
	v_ffbh_u32_e32 v24, v18
	v_min_u32_e32 v30, 32, v24
	v_subrev_u32_e32 v24, 28, v30
	v_lshlrev_b64 v[24:25], v24, v[16:17]
	v_lshrrev_b32_e32 v21, 3, v20
	v_sub_u32_e32 v16, 29, v30
	v_and_b32_e32 v24, 7, v24
	v_cmp_gt_u32_e32 vcc, 8, v20
	v_cndmask_b32_e32 v16, v21, v16, vcc
	v_cndmask_b32_e32 v18, v18, v24, vcc
	v_lshlrev_b32_e32 v15, 24, v15
	v_lshlrev_b32_e32 v18, 20, v18
	v_and_b32_e32 v15, 0x80000000, v15
	v_lshl_add_u32 v16, v16, 23, v47
	v_or3_b32 v18, v15, v16, v18
.LBB4_6554:                             ;   in Loop: Header=BB4_6347 Depth=2
	s_or_b64 exec, exec, s[56:57]
.LBB4_6555:                             ;   in Loop: Header=BB4_6347 Depth=2
	s_or_b64 exec, exec, s[54:55]
.LBB4_6556:                             ;   in Loop: Header=BB4_6347 Depth=2
	s_or_b64 exec, exec, s[20:21]
	v_mul_f32_e32 v18, s60, v18
	v_and_b32_sdwa v15, v18, s69 dst_sel:DWORD dst_unused:UNUSED_PAD src0_sel:BYTE_3 src1_sel:DWORD
	v_and_b32_e32 v20, 0x7f800000, v18
	v_mov_b32_e32 v21, v17
	v_and_b32_e32 v16, 0x7fffff, v18
	v_or_b32_e32 v34, 0x7e, v15
	v_cmp_ne_u64_e32 vcc, s[38:39], v[20:21]
	s_and_saveexec_b64 s[20:21], vcc
	s_xor_b64 s[54:55], exec, s[20:21]
	s_cbranch_execz .LBB4_6570
; %bb.6557:                             ;   in Loop: Header=BB4_6347 Depth=2
	v_and_b32_e32 v20, 0x7fffffff, v18
	v_mov_b32_e32 v21, v17
	v_cmp_gt_u64_e32 vcc, s[40:41], v[20:21]
	s_and_saveexec_b64 s[20:21], vcc
	s_xor_b64 s[56:57], exec, s[20:21]
	s_cbranch_execz .LBB4_6569
; %bb.6558:                             ;   in Loop: Header=BB4_6347 Depth=2
	v_cmp_ne_u32_e32 vcc, 0, v18
	v_mov_b32_e32 v34, 0
	s_and_saveexec_b64 s[58:59], vcc
	s_cbranch_execz .LBB4_6568
; %bb.6559:                             ;   in Loop: Header=BB4_6347 Depth=2
	v_bfe_u32 v18, v18, 23, 8
	v_sub_u32_e32 v21, 0x79, v18
	v_cmp_gt_u32_e32 vcc, s70, v18
	v_cndmask_b32_e32 v21, 0, v21, vcc
	v_cmp_eq_u32_e32 vcc, 0, v18
	v_add_u32_e32 v20, 0xffffff81, v18
	v_cndmask_b32_e32 v36, v21, v37, vcc
	v_or_b32_e32 v24, 0x800000, v16
	v_cndmask_b32_e32 v18, v20, v14, vcc
	v_add_u32_e32 v20, 20, v36
	v_cndmask_b32_e32 v16, v24, v16, vcc
	v_lshlrev_b64 v[20:21], v20, -1
	v_not_b32_e32 v20, v20
	v_lshrrev_b64 v[34:35], v36, v[16:17]
	v_not_b32_e32 v21, v21
	v_and_b32_e32 v24, v16, v20
	v_add_u32_e32 v20, 19, v36
	v_lshrrev_b32_e32 v16, 23, v34
	v_and_b32_e32 v25, 0, v21
	v_lshlrev_b64 v[30:31], v20, 1
	v_add3_u32 v20, v36, v18, v16
	v_bfe_u32 v16, v34, 20, 1
	v_add_u32_e32 v16, -1, v16
	v_cmp_eq_u64_e32 vcc, v[24:25], v[30:31]
	v_cndmask_b32_e32 v16, 0, v16, vcc
	v_add_u32_e32 v16, v16, v34
	v_and_b32_e32 v16, 0xfffff, v16
	v_add_co_u32_e32 v24, vcc, v16, v34
	v_add_u32_e32 v18, 6, v20
	v_addc_co_u32_e32 v25, vcc, 0, v35, vcc
	v_cmp_ne_u32_e32 vcc, 0, v18
                                        ; implicit-def: $vgpr16
	s_and_saveexec_b64 s[20:21], vcc
	s_xor_b64 s[20:21], exec, s[20:21]
; %bb.6560:                             ;   in Loop: Header=BB4_6347 Depth=2
	v_add_u32_e32 v16, 7, v20
	v_cmp_lt_u64_e32 vcc, s[44:45], v[24:25]
	v_cndmask_b32_e32 v16, v18, v16, vcc
	v_cndmask_b32_e64 v18, 0, 1, vcc
	v_lshrrev_b64 v[24:25], v18, v[24:25]
; %bb.6561:                             ;   in Loop: Header=BB4_6347 Depth=2
	s_andn2_saveexec_b64 s[20:21], s[20:21]
; %bb.6562:                             ;   in Loop: Header=BB4_6347 Depth=2
	v_bfe_u32 v16, v24, 23, 1
; %bb.6563:                             ;   in Loop: Header=BB4_6347 Depth=2
	s_or_b64 exec, exec, s[20:21]
	v_lshrrev_b64 v[20:21], 20, v[24:25]
	v_cmp_gt_i32_e32 vcc, 16, v16
	v_cndmask_b32_e32 v25, 0, v21, vcc
	v_cndmask_b32_e32 v24, 7, v20, vcc
	v_cmp_ne_u32_e32 vcc, 0, v16
	v_cmp_ne_u64_e64 s[20:21], 0, v[24:25]
	s_or_b64 s[20:21], vcc, s[20:21]
                                        ; implicit-def: $vgpr34
	s_and_saveexec_b64 vcc, s[20:21]
	s_xor_b64 s[20:21], exec, vcc
; %bb.6564:                             ;   in Loop: Header=BB4_6347 Depth=2
	v_min_i32_e32 v16, 15, v16
	v_lshl_or_b32 v15, v16, 3, v15
	v_and_or_b32 v34, v24, 7, v15
                                        ; implicit-def: $vgpr15
; %bb.6565:                             ;   in Loop: Header=BB4_6347 Depth=2
	s_andn2_saveexec_b64 s[20:21], s[20:21]
; %bb.6566:                             ;   in Loop: Header=BB4_6347 Depth=2
	v_mov_b32_e32 v34, v15
; %bb.6567:                             ;   in Loop: Header=BB4_6347 Depth=2
	s_or_b64 exec, exec, s[20:21]
.LBB4_6568:                             ;   in Loop: Header=BB4_6347 Depth=2
	s_or_b64 exec, exec, s[58:59]
.LBB4_6569:                             ;   in Loop: Header=BB4_6347 Depth=2
	s_andn2_saveexec_b64 s[20:21], s[56:57]
	s_or_b64 exec, exec, s[20:21]
                                        ; implicit-def: $vgpr18
.LBB4_6570:                             ;   in Loop: Header=BB4_6347 Depth=2
	s_andn2_saveexec_b64 s[20:21], s[54:55]
; %bb.6571:                             ;   in Loop: Header=BB4_6347 Depth=2
	v_or_b32_sdwa v15, v18, s68 dst_sel:DWORD dst_unused:UNUSED_PAD src0_sel:BYTE_3 src1_sel:DWORD
	v_cmp_eq_u64_e32 vcc, 0, v[16:17]
	v_cndmask_b32_e32 v34, v15, v34, vcc
; %bb.6572:                             ;   in Loop: Header=BB4_6347 Depth=2
	s_or_b64 exec, exec, s[20:21]
	flat_load_ubyte v15, v[54:55] offset:640 glc slc
	v_mov_b32_e32 v18, 0
	s_waitcnt vmcnt(0) lgkmcnt(0)
	v_cmp_ne_u16_e32 vcc, 0, v15
	s_and_saveexec_b64 s[20:21], vcc
	s_cbranch_execz .LBB4_6578
; %bb.6573:                             ;   in Loop: Header=BB4_6347 Depth=2
	v_cmp_ne_u16_e32 vcc, s69, v15
	v_bfrev_b32_e32 v18, 1
	s_and_saveexec_b64 s[54:55], vcc
	s_cbranch_execz .LBB4_6577
; %bb.6574:                             ;   in Loop: Header=BB4_6347 Depth=2
	v_and_b32_e32 v16, 0xffff, v15
	v_and_b32_e32 v20, 0x7f, v16
	v_cmp_ne_u32_e32 vcc, s68, v20
	v_mov_b32_e32 v18, 0x7f800001
	s_and_saveexec_b64 s[56:57], vcc
	s_cbranch_execz .LBB4_6576
; %bb.6575:                             ;   in Loop: Header=BB4_6347 Depth=2
	v_and_b32_e32 v18, 7, v16
	v_ffbh_u32_e32 v24, v18
	v_min_u32_e32 v30, 32, v24
	v_subrev_u32_e32 v24, 28, v30
	v_lshlrev_b64 v[24:25], v24, v[16:17]
	v_lshrrev_b32_e32 v21, 3, v20
	v_sub_u32_e32 v16, 29, v30
	v_and_b32_e32 v24, 7, v24
	v_cmp_gt_u32_e32 vcc, 8, v20
	v_cndmask_b32_e32 v16, v21, v16, vcc
	v_cndmask_b32_e32 v18, v18, v24, vcc
	v_lshlrev_b32_e32 v15, 24, v15
	v_lshlrev_b32_e32 v18, 20, v18
	v_and_b32_e32 v15, 0x80000000, v15
	v_lshl_add_u32 v16, v16, 23, v47
	v_or3_b32 v18, v15, v16, v18
.LBB4_6576:                             ;   in Loop: Header=BB4_6347 Depth=2
	s_or_b64 exec, exec, s[56:57]
.LBB4_6577:                             ;   in Loop: Header=BB4_6347 Depth=2
	s_or_b64 exec, exec, s[54:55]
.LBB4_6578:                             ;   in Loop: Header=BB4_6347 Depth=2
	s_or_b64 exec, exec, s[20:21]
	v_mul_f32_e32 v18, s60, v18
	v_and_b32_sdwa v15, v18, s69 dst_sel:DWORD dst_unused:UNUSED_PAD src0_sel:BYTE_3 src1_sel:DWORD
	v_and_b32_e32 v20, 0x7f800000, v18
	v_mov_b32_e32 v21, v17
	v_and_b32_e32 v16, 0x7fffff, v18
	v_or_b32_e32 v35, 0x7e, v15
	v_cmp_ne_u64_e32 vcc, s[38:39], v[20:21]
	s_and_saveexec_b64 s[20:21], vcc
	s_xor_b64 s[54:55], exec, s[20:21]
	s_cbranch_execz .LBB4_6592
; %bb.6579:                             ;   in Loop: Header=BB4_6347 Depth=2
	v_and_b32_e32 v20, 0x7fffffff, v18
	v_mov_b32_e32 v21, v17
	v_cmp_gt_u64_e32 vcc, s[40:41], v[20:21]
	s_and_saveexec_b64 s[20:21], vcc
	s_xor_b64 s[56:57], exec, s[20:21]
	s_cbranch_execz .LBB4_6591
; %bb.6580:                             ;   in Loop: Header=BB4_6347 Depth=2
	v_cmp_ne_u32_e32 vcc, 0, v18
	v_mov_b32_e32 v35, 0
	s_and_saveexec_b64 s[58:59], vcc
	s_cbranch_execz .LBB4_6590
; %bb.6581:                             ;   in Loop: Header=BB4_6347 Depth=2
	v_bfe_u32 v18, v18, 23, 8
	v_sub_u32_e32 v21, 0x79, v18
	v_cmp_gt_u32_e32 vcc, s70, v18
	v_cndmask_b32_e32 v21, 0, v21, vcc
	v_cmp_eq_u32_e32 vcc, 0, v18
	v_add_u32_e32 v20, 0xffffff81, v18
	v_cndmask_b32_e32 v35, v21, v37, vcc
	v_or_b32_e32 v24, 0x800000, v16
	v_cndmask_b32_e32 v18, v20, v14, vcc
	v_add_u32_e32 v20, 20, v35
	v_cndmask_b32_e32 v16, v24, v16, vcc
	v_lshlrev_b64 v[20:21], v20, -1
	v_not_b32_e32 v20, v20
	v_lshrrev_b64 v[38:39], v35, v[16:17]
	v_not_b32_e32 v21, v21
	v_and_b32_e32 v24, v16, v20
	v_add_u32_e32 v20, 19, v35
	v_lshrrev_b32_e32 v16, 23, v38
	v_and_b32_e32 v25, 0, v21
	v_lshlrev_b64 v[30:31], v20, 1
	v_add3_u32 v20, v35, v18, v16
	v_bfe_u32 v16, v38, 20, 1
	v_add_u32_e32 v16, -1, v16
	v_cmp_eq_u64_e32 vcc, v[24:25], v[30:31]
	v_cndmask_b32_e32 v16, 0, v16, vcc
	v_add_u32_e32 v16, v16, v38
	v_and_b32_e32 v16, 0xfffff, v16
	v_add_co_u32_e32 v24, vcc, v16, v38
	v_add_u32_e32 v18, 6, v20
	v_addc_co_u32_e32 v25, vcc, 0, v39, vcc
	v_cmp_ne_u32_e32 vcc, 0, v18
                                        ; implicit-def: $vgpr16
	s_and_saveexec_b64 s[20:21], vcc
	s_xor_b64 s[20:21], exec, s[20:21]
; %bb.6582:                             ;   in Loop: Header=BB4_6347 Depth=2
	v_add_u32_e32 v16, 7, v20
	v_cmp_lt_u64_e32 vcc, s[44:45], v[24:25]
	v_cndmask_b32_e32 v16, v18, v16, vcc
	v_cndmask_b32_e64 v18, 0, 1, vcc
	v_lshrrev_b64 v[24:25], v18, v[24:25]
; %bb.6583:                             ;   in Loop: Header=BB4_6347 Depth=2
	s_andn2_saveexec_b64 s[20:21], s[20:21]
; %bb.6584:                             ;   in Loop: Header=BB4_6347 Depth=2
	v_bfe_u32 v16, v24, 23, 1
; %bb.6585:                             ;   in Loop: Header=BB4_6347 Depth=2
	s_or_b64 exec, exec, s[20:21]
	v_lshrrev_b64 v[20:21], 20, v[24:25]
	v_cmp_gt_i32_e32 vcc, 16, v16
	v_cndmask_b32_e32 v25, 0, v21, vcc
	v_cndmask_b32_e32 v24, 7, v20, vcc
	v_cmp_ne_u32_e32 vcc, 0, v16
	v_cmp_ne_u64_e64 s[20:21], 0, v[24:25]
	s_or_b64 s[20:21], vcc, s[20:21]
                                        ; implicit-def: $vgpr35
	s_and_saveexec_b64 vcc, s[20:21]
	s_xor_b64 s[20:21], exec, vcc
; %bb.6586:                             ;   in Loop: Header=BB4_6347 Depth=2
	v_min_i32_e32 v16, 15, v16
	v_lshl_or_b32 v15, v16, 3, v15
	v_and_or_b32 v35, v24, 7, v15
                                        ; implicit-def: $vgpr15
; %bb.6587:                             ;   in Loop: Header=BB4_6347 Depth=2
	s_andn2_saveexec_b64 s[20:21], s[20:21]
; %bb.6588:                             ;   in Loop: Header=BB4_6347 Depth=2
	v_mov_b32_e32 v35, v15
; %bb.6589:                             ;   in Loop: Header=BB4_6347 Depth=2
	s_or_b64 exec, exec, s[20:21]
.LBB4_6590:                             ;   in Loop: Header=BB4_6347 Depth=2
	s_or_b64 exec, exec, s[58:59]
.LBB4_6591:                             ;   in Loop: Header=BB4_6347 Depth=2
	s_andn2_saveexec_b64 s[20:21], s[56:57]
	s_or_b64 exec, exec, s[20:21]
                                        ; implicit-def: $vgpr18
.LBB4_6592:                             ;   in Loop: Header=BB4_6347 Depth=2
	s_andn2_saveexec_b64 s[20:21], s[54:55]
; %bb.6593:                             ;   in Loop: Header=BB4_6347 Depth=2
	v_or_b32_sdwa v15, v18, s68 dst_sel:DWORD dst_unused:UNUSED_PAD src0_sel:BYTE_3 src1_sel:DWORD
	v_cmp_eq_u64_e32 vcc, 0, v[16:17]
	v_cndmask_b32_e32 v35, v15, v35, vcc
; %bb.6594:                             ;   in Loop: Header=BB4_6347 Depth=2
	s_or_b64 exec, exec, s[20:21]
	flat_load_ubyte v15, v[54:55] offset:704 glc slc
	v_mov_b32_e32 v18, 0
	s_waitcnt vmcnt(0) lgkmcnt(0)
	v_cmp_ne_u16_e32 vcc, 0, v15
	s_and_saveexec_b64 s[20:21], vcc
	s_cbranch_execz .LBB4_6600
; %bb.6595:                             ;   in Loop: Header=BB4_6347 Depth=2
	v_cmp_ne_u16_e32 vcc, s69, v15
	v_bfrev_b32_e32 v18, 1
	s_and_saveexec_b64 s[54:55], vcc
	s_cbranch_execz .LBB4_6599
; %bb.6596:                             ;   in Loop: Header=BB4_6347 Depth=2
	v_and_b32_e32 v16, 0xffff, v15
	v_and_b32_e32 v20, 0x7f, v16
	v_cmp_ne_u32_e32 vcc, s68, v20
	v_mov_b32_e32 v18, 0x7f800001
	s_and_saveexec_b64 s[56:57], vcc
	s_cbranch_execz .LBB4_6598
; %bb.6597:                             ;   in Loop: Header=BB4_6347 Depth=2
	v_and_b32_e32 v18, 7, v16
	v_ffbh_u32_e32 v24, v18
	v_min_u32_e32 v30, 32, v24
	v_subrev_u32_e32 v24, 28, v30
	v_lshlrev_b64 v[24:25], v24, v[16:17]
	v_lshrrev_b32_e32 v21, 3, v20
	v_sub_u32_e32 v16, 29, v30
	v_and_b32_e32 v24, 7, v24
	v_cmp_gt_u32_e32 vcc, 8, v20
	v_cndmask_b32_e32 v16, v21, v16, vcc
	v_cndmask_b32_e32 v18, v18, v24, vcc
	v_lshlrev_b32_e32 v15, 24, v15
	v_lshlrev_b32_e32 v18, 20, v18
	v_and_b32_e32 v15, 0x80000000, v15
	v_lshl_add_u32 v16, v16, 23, v47
	v_or3_b32 v18, v15, v16, v18
.LBB4_6598:                             ;   in Loop: Header=BB4_6347 Depth=2
	s_or_b64 exec, exec, s[56:57]
.LBB4_6599:                             ;   in Loop: Header=BB4_6347 Depth=2
	s_or_b64 exec, exec, s[54:55]
.LBB4_6600:                             ;   in Loop: Header=BB4_6347 Depth=2
	s_or_b64 exec, exec, s[20:21]
	v_mul_f32_e32 v20, s60, v18
	v_and_b32_sdwa v15, v20, s69 dst_sel:DWORD dst_unused:UNUSED_PAD src0_sel:BYTE_3 src1_sel:DWORD
	v_and_b32_e32 v24, 0x7f800000, v20
	v_mov_b32_e32 v25, v17
	v_and_b32_e32 v16, 0x7fffff, v20
	v_or_b32_e32 v18, 0x7e, v15
	v_cmp_ne_u64_e32 vcc, s[38:39], v[24:25]
	s_and_saveexec_b64 s[20:21], vcc
	s_xor_b64 s[54:55], exec, s[20:21]
	s_cbranch_execz .LBB4_6614
; %bb.6601:                             ;   in Loop: Header=BB4_6347 Depth=2
	v_and_b32_e32 v24, 0x7fffffff, v20
	v_mov_b32_e32 v25, v17
	v_cmp_gt_u64_e32 vcc, s[40:41], v[24:25]
	s_and_saveexec_b64 s[20:21], vcc
	s_xor_b64 s[56:57], exec, s[20:21]
	s_cbranch_execz .LBB4_6613
; %bb.6602:                             ;   in Loop: Header=BB4_6347 Depth=2
	v_cmp_ne_u32_e32 vcc, 0, v20
	v_mov_b32_e32 v18, 0
	s_and_saveexec_b64 s[58:59], vcc
	s_cbranch_execz .LBB4_6612
; %bb.6603:                             ;   in Loop: Header=BB4_6347 Depth=2
	v_bfe_u32 v18, v20, 23, 8
	v_sub_u32_e32 v21, 0x79, v18
	v_cmp_gt_u32_e32 vcc, s70, v18
	v_cndmask_b32_e32 v21, 0, v21, vcc
	v_cmp_eq_u32_e32 vcc, 0, v18
	v_add_u32_e32 v20, 0xffffff81, v18
	v_cndmask_b32_e32 v36, v21, v37, vcc
	v_or_b32_e32 v24, 0x800000, v16
	v_cndmask_b32_e32 v18, v20, v14, vcc
	v_add_u32_e32 v20, 20, v36
	v_cndmask_b32_e32 v16, v24, v16, vcc
	v_lshlrev_b64 v[20:21], v20, -1
	v_not_b32_e32 v20, v20
	v_lshrrev_b64 v[38:39], v36, v[16:17]
	v_not_b32_e32 v21, v21
	v_and_b32_e32 v24, v16, v20
	v_add_u32_e32 v20, 19, v36
	v_lshrrev_b32_e32 v16, 23, v38
	v_and_b32_e32 v25, 0, v21
	v_lshlrev_b64 v[30:31], v20, 1
	v_add3_u32 v20, v36, v18, v16
	v_bfe_u32 v16, v38, 20, 1
	v_add_u32_e32 v16, -1, v16
	v_cmp_eq_u64_e32 vcc, v[24:25], v[30:31]
	v_cndmask_b32_e32 v16, 0, v16, vcc
	v_add_u32_e32 v16, v16, v38
	v_and_b32_e32 v16, 0xfffff, v16
	v_add_co_u32_e32 v24, vcc, v16, v38
	v_add_u32_e32 v18, 6, v20
	v_addc_co_u32_e32 v25, vcc, 0, v39, vcc
	v_cmp_ne_u32_e32 vcc, 0, v18
                                        ; implicit-def: $vgpr16
	s_and_saveexec_b64 s[20:21], vcc
	s_xor_b64 s[20:21], exec, s[20:21]
; %bb.6604:                             ;   in Loop: Header=BB4_6347 Depth=2
	v_add_u32_e32 v16, 7, v20
	v_cmp_lt_u64_e32 vcc, s[44:45], v[24:25]
	v_cndmask_b32_e32 v16, v18, v16, vcc
	v_cndmask_b32_e64 v18, 0, 1, vcc
	v_lshrrev_b64 v[24:25], v18, v[24:25]
; %bb.6605:                             ;   in Loop: Header=BB4_6347 Depth=2
	s_andn2_saveexec_b64 s[20:21], s[20:21]
; %bb.6606:                             ;   in Loop: Header=BB4_6347 Depth=2
	v_bfe_u32 v16, v24, 23, 1
; %bb.6607:                             ;   in Loop: Header=BB4_6347 Depth=2
	s_or_b64 exec, exec, s[20:21]
	v_lshrrev_b64 v[20:21], 20, v[24:25]
	v_cmp_gt_i32_e32 vcc, 16, v16
	v_cndmask_b32_e32 v25, 0, v21, vcc
	v_cndmask_b32_e32 v24, 7, v20, vcc
	v_cmp_ne_u32_e32 vcc, 0, v16
	v_cmp_ne_u64_e64 s[20:21], 0, v[24:25]
	s_or_b64 s[20:21], vcc, s[20:21]
                                        ; implicit-def: $vgpr18
	s_and_saveexec_b64 vcc, s[20:21]
	s_xor_b64 s[20:21], exec, vcc
; %bb.6608:                             ;   in Loop: Header=BB4_6347 Depth=2
	v_min_i32_e32 v16, 15, v16
	v_lshl_or_b32 v15, v16, 3, v15
	v_and_or_b32 v18, v24, 7, v15
                                        ; implicit-def: $vgpr15
; %bb.6609:                             ;   in Loop: Header=BB4_6347 Depth=2
	s_andn2_saveexec_b64 s[20:21], s[20:21]
; %bb.6610:                             ;   in Loop: Header=BB4_6347 Depth=2
	v_mov_b32_e32 v18, v15
; %bb.6611:                             ;   in Loop: Header=BB4_6347 Depth=2
	s_or_b64 exec, exec, s[20:21]
.LBB4_6612:                             ;   in Loop: Header=BB4_6347 Depth=2
	s_or_b64 exec, exec, s[58:59]
.LBB4_6613:                             ;   in Loop: Header=BB4_6347 Depth=2
	s_andn2_saveexec_b64 s[20:21], s[56:57]
	s_or_b64 exec, exec, s[20:21]
                                        ; implicit-def: $vgpr20
.LBB4_6614:                             ;   in Loop: Header=BB4_6347 Depth=2
	s_andn2_saveexec_b64 s[20:21], s[54:55]
; %bb.6615:                             ;   in Loop: Header=BB4_6347 Depth=2
	v_or_b32_sdwa v15, v20, s68 dst_sel:DWORD dst_unused:UNUSED_PAD src0_sel:BYTE_3 src1_sel:DWORD
	v_cmp_eq_u64_e32 vcc, 0, v[16:17]
	v_cndmask_b32_e32 v18, v15, v18, vcc
; %bb.6616:                             ;   in Loop: Header=BB4_6347 Depth=2
	s_or_b64 exec, exec, s[20:21]
	flat_load_ubyte v15, v[54:55] offset:768 glc slc
	v_mov_b32_e32 v20, 0
	s_waitcnt vmcnt(0) lgkmcnt(0)
	v_cmp_ne_u16_e32 vcc, 0, v15
	s_and_saveexec_b64 s[20:21], vcc
	s_cbranch_execz .LBB4_6622
; %bb.6617:                             ;   in Loop: Header=BB4_6347 Depth=2
	v_cmp_ne_u16_e32 vcc, s69, v15
	v_bfrev_b32_e32 v20, 1
	s_and_saveexec_b64 s[54:55], vcc
	s_cbranch_execz .LBB4_6621
; %bb.6618:                             ;   in Loop: Header=BB4_6347 Depth=2
	v_and_b32_e32 v16, 0xffff, v15
	v_and_b32_e32 v24, 0x7f, v16
	v_cmp_ne_u32_e32 vcc, s68, v24
	v_mov_b32_e32 v20, 0x7f800001
	s_and_saveexec_b64 s[56:57], vcc
	s_cbranch_execz .LBB4_6620
; %bb.6619:                             ;   in Loop: Header=BB4_6347 Depth=2
	v_and_b32_e32 v25, 7, v16
	v_ffbh_u32_e32 v20, v25
	v_min_u32_e32 v31, 32, v20
	v_subrev_u32_e32 v20, 28, v31
	v_lshlrev_b64 v[20:21], v20, v[16:17]
	v_lshrrev_b32_e32 v30, 3, v24
	v_sub_u32_e32 v16, 29, v31
	v_and_b32_e32 v20, 7, v20
	v_cmp_gt_u32_e32 vcc, 8, v24
	v_cndmask_b32_e32 v16, v30, v16, vcc
	v_cndmask_b32_e32 v20, v25, v20, vcc
	v_lshlrev_b32_e32 v15, 24, v15
	v_lshlrev_b32_e32 v20, 20, v20
	v_and_b32_e32 v15, 0x80000000, v15
	v_lshl_add_u32 v16, v16, 23, v47
	v_or3_b32 v20, v15, v16, v20
.LBB4_6620:                             ;   in Loop: Header=BB4_6347 Depth=2
	s_or_b64 exec, exec, s[56:57]
.LBB4_6621:                             ;   in Loop: Header=BB4_6347 Depth=2
	s_or_b64 exec, exec, s[54:55]
.LBB4_6622:                             ;   in Loop: Header=BB4_6347 Depth=2
	s_or_b64 exec, exec, s[20:21]
	v_mul_f32_e32 v20, s60, v20
	v_and_b32_sdwa v15, v20, s69 dst_sel:DWORD dst_unused:UNUSED_PAD src0_sel:BYTE_3 src1_sel:DWORD
	v_and_b32_e32 v24, 0x7f800000, v20
	v_mov_b32_e32 v25, v17
	v_and_b32_e32 v16, 0x7fffff, v20
	v_or_b32_e32 v38, 0x7e, v15
	v_cmp_ne_u64_e32 vcc, s[38:39], v[24:25]
	s_and_saveexec_b64 s[20:21], vcc
	s_xor_b64 s[54:55], exec, s[20:21]
	s_cbranch_execz .LBB4_6636
; %bb.6623:                             ;   in Loop: Header=BB4_6347 Depth=2
	v_and_b32_e32 v24, 0x7fffffff, v20
	v_mov_b32_e32 v25, v17
	v_cmp_gt_u64_e32 vcc, s[40:41], v[24:25]
	s_and_saveexec_b64 s[20:21], vcc
	s_xor_b64 s[56:57], exec, s[20:21]
	s_cbranch_execz .LBB4_6635
; %bb.6624:                             ;   in Loop: Header=BB4_6347 Depth=2
	v_cmp_ne_u32_e32 vcc, 0, v20
	v_mov_b32_e32 v38, 0
	s_and_saveexec_b64 s[58:59], vcc
	s_cbranch_execz .LBB4_6634
; %bb.6625:                             ;   in Loop: Header=BB4_6347 Depth=2
	v_bfe_u32 v20, v20, 23, 8
	v_sub_u32_e32 v24, 0x79, v20
	v_cmp_gt_u32_e32 vcc, s70, v20
	v_cndmask_b32_e32 v24, 0, v24, vcc
	v_cmp_eq_u32_e32 vcc, 0, v20
	v_cndmask_b32_e32 v50, v24, v37, vcc
	v_add_u32_e32 v21, 0xffffff81, v20
	v_or_b32_e32 v25, 0x800000, v16
	v_add_u32_e32 v20, 20, v50
	v_cndmask_b32_e32 v36, v21, v14, vcc
	v_cndmask_b32_e32 v16, v25, v16, vcc
	v_lshlrev_b64 v[20:21], v20, -1
	v_not_b32_e32 v20, v20
	v_lshrrev_b64 v[38:39], v50, v[16:17]
	v_not_b32_e32 v21, v21
	v_and_b32_e32 v24, v16, v20
	v_add_u32_e32 v20, 19, v50
	v_lshrrev_b32_e32 v16, 23, v38
	v_and_b32_e32 v25, 0, v21
	v_lshlrev_b64 v[30:31], v20, 1
	v_add3_u32 v36, v50, v36, v16
	v_bfe_u32 v16, v38, 20, 1
	v_add_u32_e32 v16, -1, v16
	v_cmp_eq_u64_e32 vcc, v[24:25], v[30:31]
	v_cndmask_b32_e32 v16, 0, v16, vcc
	v_add_u32_e32 v16, v16, v38
	v_and_b32_e32 v16, 0xfffff, v16
	v_add_co_u32_e32 v24, vcc, v16, v38
	v_add_u32_e32 v20, 6, v36
	v_addc_co_u32_e32 v25, vcc, 0, v39, vcc
	v_cmp_ne_u32_e32 vcc, 0, v20
                                        ; implicit-def: $vgpr16
	s_and_saveexec_b64 s[20:21], vcc
	s_xor_b64 s[20:21], exec, s[20:21]
; %bb.6626:                             ;   in Loop: Header=BB4_6347 Depth=2
	v_add_u32_e32 v16, 7, v36
	v_cmp_lt_u64_e32 vcc, s[44:45], v[24:25]
	v_cndmask_b32_e32 v16, v20, v16, vcc
	v_cndmask_b32_e64 v20, 0, 1, vcc
	v_lshrrev_b64 v[24:25], v20, v[24:25]
; %bb.6627:                             ;   in Loop: Header=BB4_6347 Depth=2
	s_andn2_saveexec_b64 s[20:21], s[20:21]
; %bb.6628:                             ;   in Loop: Header=BB4_6347 Depth=2
	v_bfe_u32 v16, v24, 23, 1
; %bb.6629:                             ;   in Loop: Header=BB4_6347 Depth=2
	s_or_b64 exec, exec, s[20:21]
	v_lshrrev_b64 v[20:21], 20, v[24:25]
	v_cmp_gt_i32_e32 vcc, 16, v16
	v_cndmask_b32_e32 v25, 0, v21, vcc
	v_cndmask_b32_e32 v24, 7, v20, vcc
	v_cmp_ne_u32_e32 vcc, 0, v16
	v_cmp_ne_u64_e64 s[20:21], 0, v[24:25]
	s_or_b64 s[20:21], vcc, s[20:21]
                                        ; implicit-def: $vgpr38
	s_and_saveexec_b64 vcc, s[20:21]
	s_xor_b64 s[20:21], exec, vcc
; %bb.6630:                             ;   in Loop: Header=BB4_6347 Depth=2
	v_min_i32_e32 v16, 15, v16
	v_lshl_or_b32 v15, v16, 3, v15
	v_and_or_b32 v38, v24, 7, v15
                                        ; implicit-def: $vgpr15
; %bb.6631:                             ;   in Loop: Header=BB4_6347 Depth=2
	s_andn2_saveexec_b64 s[20:21], s[20:21]
; %bb.6632:                             ;   in Loop: Header=BB4_6347 Depth=2
	v_mov_b32_e32 v38, v15
; %bb.6633:                             ;   in Loop: Header=BB4_6347 Depth=2
	s_or_b64 exec, exec, s[20:21]
.LBB4_6634:                             ;   in Loop: Header=BB4_6347 Depth=2
	s_or_b64 exec, exec, s[58:59]
.LBB4_6635:                             ;   in Loop: Header=BB4_6347 Depth=2
	s_andn2_saveexec_b64 s[20:21], s[56:57]
	s_or_b64 exec, exec, s[20:21]
                                        ; implicit-def: $vgpr20
.LBB4_6636:                             ;   in Loop: Header=BB4_6347 Depth=2
	s_andn2_saveexec_b64 s[20:21], s[54:55]
; %bb.6637:                             ;   in Loop: Header=BB4_6347 Depth=2
	v_or_b32_sdwa v15, v20, s68 dst_sel:DWORD dst_unused:UNUSED_PAD src0_sel:BYTE_3 src1_sel:DWORD
	v_cmp_eq_u64_e32 vcc, 0, v[16:17]
	v_cndmask_b32_e32 v38, v15, v38, vcc
; %bb.6638:                             ;   in Loop: Header=BB4_6347 Depth=2
	s_or_b64 exec, exec, s[20:21]
	flat_load_ubyte v15, v[54:55] offset:832 glc slc
	v_mov_b32_e32 v20, 0
	s_waitcnt vmcnt(0) lgkmcnt(0)
	v_cmp_ne_u16_e32 vcc, 0, v15
	s_and_saveexec_b64 s[20:21], vcc
	s_cbranch_execz .LBB4_6644
; %bb.6639:                             ;   in Loop: Header=BB4_6347 Depth=2
	v_cmp_ne_u16_e32 vcc, s69, v15
	v_bfrev_b32_e32 v20, 1
	s_and_saveexec_b64 s[54:55], vcc
	s_cbranch_execz .LBB4_6643
; %bb.6640:                             ;   in Loop: Header=BB4_6347 Depth=2
	v_and_b32_e32 v16, 0xffff, v15
	v_and_b32_e32 v24, 0x7f, v16
	v_cmp_ne_u32_e32 vcc, s68, v24
	v_mov_b32_e32 v20, 0x7f800001
	s_and_saveexec_b64 s[56:57], vcc
	s_cbranch_execz .LBB4_6642
; %bb.6641:                             ;   in Loop: Header=BB4_6347 Depth=2
	v_and_b32_e32 v25, 7, v16
	v_ffbh_u32_e32 v20, v25
	v_min_u32_e32 v31, 32, v20
	v_subrev_u32_e32 v20, 28, v31
	v_lshlrev_b64 v[20:21], v20, v[16:17]
	v_lshrrev_b32_e32 v30, 3, v24
	v_sub_u32_e32 v16, 29, v31
	v_and_b32_e32 v20, 7, v20
	v_cmp_gt_u32_e32 vcc, 8, v24
	v_cndmask_b32_e32 v16, v30, v16, vcc
	v_cndmask_b32_e32 v20, v25, v20, vcc
	v_lshlrev_b32_e32 v15, 24, v15
	v_lshlrev_b32_e32 v20, 20, v20
	v_and_b32_e32 v15, 0x80000000, v15
	v_lshl_add_u32 v16, v16, 23, v47
	v_or3_b32 v20, v15, v16, v20
.LBB4_6642:                             ;   in Loop: Header=BB4_6347 Depth=2
	s_or_b64 exec, exec, s[56:57]
.LBB4_6643:                             ;   in Loop: Header=BB4_6347 Depth=2
	s_or_b64 exec, exec, s[54:55]
.LBB4_6644:                             ;   in Loop: Header=BB4_6347 Depth=2
	s_or_b64 exec, exec, s[20:21]
	v_mul_f32_e32 v24, s60, v20
	v_and_b32_sdwa v15, v24, s69 dst_sel:DWORD dst_unused:UNUSED_PAD src0_sel:BYTE_3 src1_sel:DWORD
	v_and_b32_e32 v30, 0x7f800000, v24
	v_mov_b32_e32 v31, v17
	v_and_b32_e32 v16, 0x7fffff, v24
	v_or_b32_e32 v20, 0x7e, v15
	v_cmp_ne_u64_e32 vcc, s[38:39], v[30:31]
	s_and_saveexec_b64 s[20:21], vcc
	s_xor_b64 s[54:55], exec, s[20:21]
	s_cbranch_execz .LBB4_6658
; %bb.6645:                             ;   in Loop: Header=BB4_6347 Depth=2
	v_and_b32_e32 v30, 0x7fffffff, v24
	v_mov_b32_e32 v31, v17
	v_cmp_gt_u64_e32 vcc, s[40:41], v[30:31]
	s_and_saveexec_b64 s[20:21], vcc
	s_xor_b64 s[56:57], exec, s[20:21]
	s_cbranch_execz .LBB4_6657
; %bb.6646:                             ;   in Loop: Header=BB4_6347 Depth=2
	v_cmp_ne_u32_e32 vcc, 0, v24
	v_mov_b32_e32 v20, 0
	s_and_saveexec_b64 s[58:59], vcc
	s_cbranch_execz .LBB4_6656
; %bb.6647:                             ;   in Loop: Header=BB4_6347 Depth=2
	v_bfe_u32 v20, v24, 23, 8
	v_sub_u32_e32 v24, 0x79, v20
	v_cmp_gt_u32_e32 vcc, s70, v20
	v_cndmask_b32_e32 v24, 0, v24, vcc
	v_cmp_eq_u32_e32 vcc, 0, v20
	v_cndmask_b32_e32 v39, v24, v37, vcc
	v_add_u32_e32 v21, 0xffffff81, v20
	v_or_b32_e32 v25, 0x800000, v16
	v_add_u32_e32 v20, 20, v39
	v_cndmask_b32_e32 v36, v21, v14, vcc
	v_cndmask_b32_e32 v16, v25, v16, vcc
	v_lshlrev_b64 v[20:21], v20, -1
	v_not_b32_e32 v20, v20
	v_lshrrev_b64 v[50:51], v39, v[16:17]
	v_not_b32_e32 v21, v21
	v_and_b32_e32 v24, v16, v20
	v_add_u32_e32 v20, 19, v39
	v_lshrrev_b32_e32 v16, 23, v50
	v_and_b32_e32 v25, 0, v21
	v_lshlrev_b64 v[30:31], v20, 1
	v_add3_u32 v36, v39, v36, v16
	v_bfe_u32 v16, v50, 20, 1
	v_add_u32_e32 v16, -1, v16
	v_cmp_eq_u64_e32 vcc, v[24:25], v[30:31]
	v_cndmask_b32_e32 v16, 0, v16, vcc
	v_add_u32_e32 v16, v16, v50
	v_and_b32_e32 v16, 0xfffff, v16
	v_add_co_u32_e32 v24, vcc, v16, v50
	v_add_u32_e32 v20, 6, v36
	v_addc_co_u32_e32 v25, vcc, 0, v51, vcc
	v_cmp_ne_u32_e32 vcc, 0, v20
                                        ; implicit-def: $vgpr16
	s_and_saveexec_b64 s[20:21], vcc
	s_xor_b64 s[20:21], exec, s[20:21]
; %bb.6648:                             ;   in Loop: Header=BB4_6347 Depth=2
	v_add_u32_e32 v16, 7, v36
	v_cmp_lt_u64_e32 vcc, s[44:45], v[24:25]
	v_cndmask_b32_e32 v16, v20, v16, vcc
	v_cndmask_b32_e64 v20, 0, 1, vcc
	v_lshrrev_b64 v[24:25], v20, v[24:25]
; %bb.6649:                             ;   in Loop: Header=BB4_6347 Depth=2
	s_andn2_saveexec_b64 s[20:21], s[20:21]
; %bb.6650:                             ;   in Loop: Header=BB4_6347 Depth=2
	v_bfe_u32 v16, v24, 23, 1
; %bb.6651:                             ;   in Loop: Header=BB4_6347 Depth=2
	s_or_b64 exec, exec, s[20:21]
	v_lshrrev_b64 v[20:21], 20, v[24:25]
	v_cmp_gt_i32_e32 vcc, 16, v16
	v_cndmask_b32_e32 v25, 0, v21, vcc
	v_cndmask_b32_e32 v24, 7, v20, vcc
	v_cmp_ne_u32_e32 vcc, 0, v16
	v_cmp_ne_u64_e64 s[20:21], 0, v[24:25]
	s_or_b64 s[20:21], vcc, s[20:21]
                                        ; implicit-def: $vgpr20
	s_and_saveexec_b64 vcc, s[20:21]
	s_xor_b64 s[20:21], exec, vcc
; %bb.6652:                             ;   in Loop: Header=BB4_6347 Depth=2
	v_min_i32_e32 v16, 15, v16
	v_lshl_or_b32 v15, v16, 3, v15
	v_and_or_b32 v20, v24, 7, v15
                                        ; implicit-def: $vgpr15
; %bb.6653:                             ;   in Loop: Header=BB4_6347 Depth=2
	s_andn2_saveexec_b64 s[20:21], s[20:21]
; %bb.6654:                             ;   in Loop: Header=BB4_6347 Depth=2
	v_mov_b32_e32 v20, v15
; %bb.6655:                             ;   in Loop: Header=BB4_6347 Depth=2
	s_or_b64 exec, exec, s[20:21]
.LBB4_6656:                             ;   in Loop: Header=BB4_6347 Depth=2
	s_or_b64 exec, exec, s[58:59]
.LBB4_6657:                             ;   in Loop: Header=BB4_6347 Depth=2
	s_andn2_saveexec_b64 s[20:21], s[56:57]
	s_or_b64 exec, exec, s[20:21]
                                        ; implicit-def: $vgpr24
.LBB4_6658:                             ;   in Loop: Header=BB4_6347 Depth=2
	s_andn2_saveexec_b64 s[20:21], s[54:55]
; %bb.6659:                             ;   in Loop: Header=BB4_6347 Depth=2
	v_or_b32_sdwa v15, v24, s68 dst_sel:DWORD dst_unused:UNUSED_PAD src0_sel:BYTE_3 src1_sel:DWORD
	v_cmp_eq_u64_e32 vcc, 0, v[16:17]
	v_cndmask_b32_e32 v20, v15, v20, vcc
; %bb.6660:                             ;   in Loop: Header=BB4_6347 Depth=2
	s_or_b64 exec, exec, s[20:21]
	flat_load_ubyte v15, v[54:55] offset:896 glc slc
	v_mov_b32_e32 v24, 0
	s_waitcnt vmcnt(0) lgkmcnt(0)
	v_cmp_ne_u16_e32 vcc, 0, v15
	s_and_saveexec_b64 s[20:21], vcc
	s_cbranch_execz .LBB4_6666
; %bb.6661:                             ;   in Loop: Header=BB4_6347 Depth=2
	v_cmp_ne_u16_e32 vcc, s69, v15
	v_bfrev_b32_e32 v24, 1
	s_and_saveexec_b64 s[54:55], vcc
	s_cbranch_execz .LBB4_6665
; %bb.6662:                             ;   in Loop: Header=BB4_6347 Depth=2
	v_and_b32_e32 v16, 0xffff, v15
	v_and_b32_e32 v25, 0x7f, v16
	v_cmp_ne_u32_e32 vcc, s68, v25
	v_mov_b32_e32 v24, 0x7f800001
	s_and_saveexec_b64 s[56:57], vcc
	s_cbranch_execz .LBB4_6664
; %bb.6663:                             ;   in Loop: Header=BB4_6347 Depth=2
	v_and_b32_e32 v21, 7, v16
	v_ffbh_u32_e32 v30, v21
	v_min_u32_e32 v36, 32, v30
	v_subrev_u32_e32 v30, 28, v36
	v_lshlrev_b64 v[30:31], v30, v[16:17]
	v_lshrrev_b32_e32 v24, 3, v25
	v_sub_u32_e32 v16, 29, v36
	v_and_b32_e32 v30, 7, v30
	v_cmp_gt_u32_e32 vcc, 8, v25
	v_cndmask_b32_e32 v16, v24, v16, vcc
	v_cndmask_b32_e32 v21, v21, v30, vcc
	v_lshlrev_b32_e32 v15, 24, v15
	v_lshlrev_b32_e32 v21, 20, v21
	v_and_b32_e32 v15, 0x80000000, v15
	v_lshl_add_u32 v16, v16, 23, v47
	v_or3_b32 v24, v15, v16, v21
.LBB4_6664:                             ;   in Loop: Header=BB4_6347 Depth=2
	s_or_b64 exec, exec, s[56:57]
.LBB4_6665:                             ;   in Loop: Header=BB4_6347 Depth=2
	s_or_b64 exec, exec, s[54:55]
.LBB4_6666:                             ;   in Loop: Header=BB4_6347 Depth=2
	s_or_b64 exec, exec, s[20:21]
	v_mul_f32_e32 v24, s60, v24
	v_and_b32_sdwa v15, v24, s69 dst_sel:DWORD dst_unused:UNUSED_PAD src0_sel:BYTE_3 src1_sel:DWORD
	v_and_b32_e32 v30, 0x7f800000, v24
	v_mov_b32_e32 v31, v17
	v_and_b32_e32 v16, 0x7fffff, v24
	v_or_b32_e32 v36, 0x7e, v15
	v_cmp_ne_u64_e32 vcc, s[38:39], v[30:31]
	s_and_saveexec_b64 s[20:21], vcc
	s_xor_b64 s[54:55], exec, s[20:21]
	s_cbranch_execz .LBB4_6680
; %bb.6667:                             ;   in Loop: Header=BB4_6347 Depth=2
	v_and_b32_e32 v30, 0x7fffffff, v24
	v_mov_b32_e32 v31, v17
	v_cmp_gt_u64_e32 vcc, s[40:41], v[30:31]
	s_and_saveexec_b64 s[20:21], vcc
	s_xor_b64 s[56:57], exec, s[20:21]
	s_cbranch_execz .LBB4_6679
; %bb.6668:                             ;   in Loop: Header=BB4_6347 Depth=2
	v_cmp_ne_u32_e32 vcc, 0, v24
	v_mov_b32_e32 v36, 0
	s_and_saveexec_b64 s[58:59], vcc
	s_cbranch_execz .LBB4_6678
; %bb.6669:                             ;   in Loop: Header=BB4_6347 Depth=2
	v_bfe_u32 v21, v24, 23, 8
	v_sub_u32_e32 v25, 0x79, v21
	v_cmp_gt_u32_e32 vcc, s70, v21
	v_cndmask_b32_e32 v25, 0, v25, vcc
	v_cmp_eq_u32_e32 vcc, 0, v21
	v_add_u32_e32 v24, 0xffffff81, v21
	v_cndmask_b32_e32 v36, v25, v37, vcc
	v_or_b32_e32 v30, 0x800000, v16
	v_cndmask_b32_e32 v21, v24, v14, vcc
	v_add_u32_e32 v24, 20, v36
	v_cndmask_b32_e32 v16, v30, v16, vcc
	v_lshlrev_b64 v[24:25], v24, -1
	v_not_b32_e32 v24, v24
	v_lshrrev_b64 v[50:51], v36, v[16:17]
	v_not_b32_e32 v25, v25
	v_and_b32_e32 v24, v16, v24
	v_add_u32_e32 v30, 19, v36
	v_lshrrev_b32_e32 v16, 23, v50
	v_and_b32_e32 v25, 0, v25
	v_lshlrev_b64 v[30:31], v30, 1
	v_add3_u32 v39, v36, v21, v16
	v_bfe_u32 v16, v50, 20, 1
	v_add_u32_e32 v16, -1, v16
	v_cmp_eq_u64_e32 vcc, v[24:25], v[30:31]
	v_cndmask_b32_e32 v16, 0, v16, vcc
	v_add_u32_e32 v16, v16, v50
	v_and_b32_e32 v16, 0xfffff, v16
	v_add_co_u32_e32 v24, vcc, v16, v50
	v_add_u32_e32 v36, 6, v39
	v_addc_co_u32_e32 v25, vcc, 0, v51, vcc
	v_cmp_ne_u32_e32 vcc, 0, v36
                                        ; implicit-def: $vgpr16
	s_and_saveexec_b64 s[20:21], vcc
	s_xor_b64 s[20:21], exec, s[20:21]
; %bb.6670:                             ;   in Loop: Header=BB4_6347 Depth=2
	v_cmp_lt_u64_e32 vcc, s[44:45], v[24:25]
	v_add_u32_e32 v16, 7, v39
	v_cndmask_b32_e64 v21, 0, 1, vcc
	v_cndmask_b32_e32 v16, v36, v16, vcc
	v_lshrrev_b64 v[24:25], v21, v[24:25]
; %bb.6671:                             ;   in Loop: Header=BB4_6347 Depth=2
	s_andn2_saveexec_b64 s[20:21], s[20:21]
; %bb.6672:                             ;   in Loop: Header=BB4_6347 Depth=2
	v_bfe_u32 v16, v24, 23, 1
; %bb.6673:                             ;   in Loop: Header=BB4_6347 Depth=2
	s_or_b64 exec, exec, s[20:21]
	v_lshrrev_b64 v[24:25], 20, v[24:25]
	v_cmp_gt_i32_e32 vcc, 16, v16
	v_cndmask_b32_e32 v25, 0, v25, vcc
	v_cndmask_b32_e32 v24, 7, v24, vcc
	v_cmp_ne_u32_e32 vcc, 0, v16
	v_cmp_ne_u64_e64 s[20:21], 0, v[24:25]
	s_or_b64 s[20:21], vcc, s[20:21]
                                        ; implicit-def: $vgpr36
	s_and_saveexec_b64 vcc, s[20:21]
	s_xor_b64 s[20:21], exec, vcc
; %bb.6674:                             ;   in Loop: Header=BB4_6347 Depth=2
	v_min_i32_e32 v16, 15, v16
	v_lshl_or_b32 v15, v16, 3, v15
	v_and_or_b32 v36, v24, 7, v15
                                        ; implicit-def: $vgpr15
; %bb.6675:                             ;   in Loop: Header=BB4_6347 Depth=2
	s_andn2_saveexec_b64 s[20:21], s[20:21]
; %bb.6676:                             ;   in Loop: Header=BB4_6347 Depth=2
	v_mov_b32_e32 v36, v15
; %bb.6677:                             ;   in Loop: Header=BB4_6347 Depth=2
	s_or_b64 exec, exec, s[20:21]
.LBB4_6678:                             ;   in Loop: Header=BB4_6347 Depth=2
	s_or_b64 exec, exec, s[58:59]
.LBB4_6679:                             ;   in Loop: Header=BB4_6347 Depth=2
	s_andn2_saveexec_b64 s[20:21], s[56:57]
	s_or_b64 exec, exec, s[20:21]
                                        ; implicit-def: $vgpr24
.LBB4_6680:                             ;   in Loop: Header=BB4_6347 Depth=2
	s_andn2_saveexec_b64 s[20:21], s[54:55]
; %bb.6681:                             ;   in Loop: Header=BB4_6347 Depth=2
	v_or_b32_sdwa v15, v24, s68 dst_sel:DWORD dst_unused:UNUSED_PAD src0_sel:BYTE_3 src1_sel:DWORD
	v_cmp_eq_u64_e32 vcc, 0, v[16:17]
	v_cndmask_b32_e32 v36, v15, v36, vcc
; %bb.6682:                             ;   in Loop: Header=BB4_6347 Depth=2
	s_or_b64 exec, exec, s[20:21]
	flat_load_ubyte v15, v[54:55] offset:960 glc slc
	v_mov_b32_e32 v24, 0
	s_waitcnt vmcnt(0) lgkmcnt(0)
	v_cmp_ne_u16_e32 vcc, 0, v15
	s_and_saveexec_b64 s[20:21], vcc
	s_cbranch_execz .LBB4_6688
; %bb.6683:                             ;   in Loop: Header=BB4_6347 Depth=2
	v_cmp_ne_u16_e32 vcc, s69, v15
	v_bfrev_b32_e32 v24, 1
	s_and_saveexec_b64 s[54:55], vcc
	s_cbranch_execz .LBB4_6687
; %bb.6684:                             ;   in Loop: Header=BB4_6347 Depth=2
	v_and_b32_e32 v16, 0xffff, v15
	v_and_b32_e32 v25, 0x7f, v16
	v_cmp_ne_u32_e32 vcc, s68, v25
	v_mov_b32_e32 v24, 0x7f800001
	s_and_saveexec_b64 s[56:57], vcc
	s_cbranch_execz .LBB4_6686
; %bb.6685:                             ;   in Loop: Header=BB4_6347 Depth=2
	v_and_b32_e32 v21, 7, v16
	v_ffbh_u32_e32 v30, v21
	v_min_u32_e32 v39, 32, v30
	v_subrev_u32_e32 v30, 28, v39
	v_lshlrev_b64 v[30:31], v30, v[16:17]
	v_lshrrev_b32_e32 v24, 3, v25
	v_sub_u32_e32 v16, 29, v39
	v_and_b32_e32 v30, 7, v30
	v_cmp_gt_u32_e32 vcc, 8, v25
	v_cndmask_b32_e32 v16, v24, v16, vcc
	v_cndmask_b32_e32 v21, v21, v30, vcc
	v_lshlrev_b32_e32 v15, 24, v15
	v_lshlrev_b32_e32 v21, 20, v21
	v_and_b32_e32 v15, 0x80000000, v15
	v_lshl_add_u32 v16, v16, 23, v47
	v_or3_b32 v24, v15, v16, v21
.LBB4_6686:                             ;   in Loop: Header=BB4_6347 Depth=2
	s_or_b64 exec, exec, s[56:57]
.LBB4_6687:                             ;   in Loop: Header=BB4_6347 Depth=2
	s_or_b64 exec, exec, s[54:55]
.LBB4_6688:                             ;   in Loop: Header=BB4_6347 Depth=2
	s_or_b64 exec, exec, s[20:21]
	v_mul_f32_e32 v24, s60, v24
	v_and_b32_sdwa v15, v24, s69 dst_sel:DWORD dst_unused:UNUSED_PAD src0_sel:BYTE_3 src1_sel:DWORD
	v_and_b32_e32 v30, 0x7f800000, v24
	v_mov_b32_e32 v31, v17
	v_and_b32_e32 v16, 0x7fffff, v24
	v_or_b32_e32 v25, 0x7e, v15
	v_cmp_ne_u64_e32 vcc, s[38:39], v[30:31]
	s_and_saveexec_b64 s[20:21], vcc
	s_xor_b64 s[54:55], exec, s[20:21]
	s_cbranch_execz .LBB4_6702
; %bb.6689:                             ;   in Loop: Header=BB4_6347 Depth=2
	v_and_b32_e32 v30, 0x7fffffff, v24
	v_mov_b32_e32 v31, v17
	v_cmp_gt_u64_e32 vcc, s[40:41], v[30:31]
	s_and_saveexec_b64 s[20:21], vcc
	s_xor_b64 s[56:57], exec, s[20:21]
	s_cbranch_execz .LBB4_6701
; %bb.6690:                             ;   in Loop: Header=BB4_6347 Depth=2
	v_cmp_ne_u32_e32 vcc, 0, v24
	v_mov_b32_e32 v25, 0
	s_and_saveexec_b64 s[58:59], vcc
	s_cbranch_execz .LBB4_6700
; %bb.6691:                             ;   in Loop: Header=BB4_6347 Depth=2
	v_bfe_u32 v21, v24, 23, 8
	v_sub_u32_e32 v25, 0x79, v21
	v_cmp_gt_u32_e32 vcc, s70, v21
	v_cndmask_b32_e32 v25, 0, v25, vcc
	v_cmp_eq_u32_e32 vcc, 0, v21
	v_add_u32_e32 v24, 0xffffff81, v21
	v_cndmask_b32_e32 v39, v25, v37, vcc
	v_or_b32_e32 v30, 0x800000, v16
	v_cndmask_b32_e32 v21, v24, v14, vcc
	v_add_u32_e32 v24, 20, v39
	v_cndmask_b32_e32 v16, v30, v16, vcc
	v_lshlrev_b64 v[24:25], v24, -1
	v_not_b32_e32 v24, v24
	v_lshrrev_b64 v[52:53], v39, v[16:17]
	v_not_b32_e32 v25, v25
	v_and_b32_e32 v24, v16, v24
	v_add_u32_e32 v30, 19, v39
	v_lshrrev_b32_e32 v16, 23, v52
	v_and_b32_e32 v25, 0, v25
	v_lshlrev_b64 v[30:31], v30, 1
	v_add3_u32 v51, v39, v21, v16
	v_bfe_u32 v16, v52, 20, 1
	v_add_u32_e32 v16, -1, v16
	v_cmp_eq_u64_e32 vcc, v[24:25], v[30:31]
	v_cndmask_b32_e32 v16, 0, v16, vcc
	v_add_u32_e32 v16, v16, v52
	v_and_b32_e32 v16, 0xfffff, v16
	v_add_co_u32_e32 v24, vcc, v16, v52
	v_add_u32_e32 v39, 6, v51
	v_addc_co_u32_e32 v25, vcc, 0, v53, vcc
	v_cmp_ne_u32_e32 vcc, 0, v39
                                        ; implicit-def: $vgpr16
	s_and_saveexec_b64 s[20:21], vcc
	s_xor_b64 s[20:21], exec, s[20:21]
; %bb.6692:                             ;   in Loop: Header=BB4_6347 Depth=2
	v_cmp_lt_u64_e32 vcc, s[44:45], v[24:25]
	v_add_u32_e32 v16, 7, v51
	v_cndmask_b32_e64 v21, 0, 1, vcc
	v_cndmask_b32_e32 v16, v39, v16, vcc
	v_lshrrev_b64 v[24:25], v21, v[24:25]
; %bb.6693:                             ;   in Loop: Header=BB4_6347 Depth=2
	s_andn2_saveexec_b64 s[20:21], s[20:21]
; %bb.6694:                             ;   in Loop: Header=BB4_6347 Depth=2
	v_bfe_u32 v16, v24, 23, 1
; %bb.6695:                             ;   in Loop: Header=BB4_6347 Depth=2
	s_or_b64 exec, exec, s[20:21]
	v_lshrrev_b64 v[24:25], 20, v[24:25]
	v_cmp_gt_i32_e32 vcc, 16, v16
	v_cndmask_b32_e32 v25, 0, v25, vcc
	v_cndmask_b32_e32 v24, 7, v24, vcc
	v_cmp_ne_u32_e32 vcc, 0, v16
	v_cmp_ne_u64_e64 s[20:21], 0, v[24:25]
	s_or_b64 s[20:21], vcc, s[20:21]
                                        ; implicit-def: $vgpr25
	s_mov_b64 vcc, exec
	s_and_b64 s[60:61], vcc, s[20:21]
	s_xor_b64 s[20:21], s[60:61], vcc
	v_accvgpr_read_b32 v52, a35
	s_mov_b64 exec, s[60:61]
; %bb.6696:                             ;   in Loop: Header=BB4_6347 Depth=2
	v_min_i32_e32 v16, 15, v16
	v_lshl_or_b32 v15, v16, 3, v15
	v_and_or_b32 v25, v24, 7, v15
                                        ; implicit-def: $vgpr15
; %bb.6697:                             ;   in Loop: Header=BB4_6347 Depth=2
	s_andn2_saveexec_b64 s[20:21], s[20:21]
; %bb.6698:                             ;   in Loop: Header=BB4_6347 Depth=2
	v_mov_b32_e32 v25, v15
; %bb.6699:                             ;   in Loop: Header=BB4_6347 Depth=2
	s_or_b64 exec, exec, s[20:21]
.LBB4_6700:                             ;   in Loop: Header=BB4_6347 Depth=2
	s_or_b64 exec, exec, s[58:59]
.LBB4_6701:                             ;   in Loop: Header=BB4_6347 Depth=2
	s_andn2_saveexec_b64 s[20:21], s[56:57]
	s_or_b64 exec, exec, s[20:21]
                                        ; implicit-def: $vgpr24
.LBB4_6702:                             ;   in Loop: Header=BB4_6347 Depth=2
	s_andn2_saveexec_b64 s[20:21], s[54:55]
	s_cbranch_execz .LBB4_6346
; %bb.6703:                             ;   in Loop: Header=BB4_6347 Depth=2
	v_or_b32_sdwa v15, v24, s68 dst_sel:DWORD dst_unused:UNUSED_PAD src0_sel:BYTE_3 src1_sel:DWORD
	v_cmp_eq_u64_e32 vcc, 0, v[16:17]
	v_cndmask_b32_e32 v25, v15, v25, vcc
	s_branch .LBB4_6346
.LBB4_6704:                             ;   in Loop: Header=BB4_5381 Depth=1
	s_or_b64 exec, exec, s[52:53]
.LBB4_6705:                             ;   in Loop: Header=BB4_5381 Depth=1
	s_or_b64 exec, exec, s[50:51]
	v_lshlrev_b32_e32 v2, 10, v7
	v_cmp_ne_u32_e32 vcc, v4, v2
	s_and_b64 exec, exec, vcc
	s_cbranch_execz .LBB4_6736
; %bb.6706:                             ;   in Loop: Header=BB4_5381 Depth=1
	v_add_u32_e32 v3, v5, v6
	v_and_b32_e32 v3, 0xffffffc0, v3
	v_sub_u32_e32 v3, v5, v3
	v_lshlrev_b32_e32 v0, 6, v0
	v_sub_u32_e32 v0, v3, v0
	v_add_u32_e32 v5, v2, v0
	v_sub_u32_e32 v0, v4, v5
	v_cmp_lt_i32_e32 vcc, 0, v0
	s_and_b64 exec, exec, vcc
	s_cbranch_execz .LBB4_6736
; %bb.6707:                             ;   in Loop: Header=BB4_5381 Depth=1
	s_trap 2
	ds_read_b64 v[2:3], v0
	v_add_u32_e32 v10, v5, v1
	v_ashrrev_i32_e32 v11, 31, v10
	s_mov_b64 s[50:51], 0
	s_branch .LBB4_6709
.LBB4_6708:                             ;   in Loop: Header=BB4_6709 Depth=2
	s_or_b64 exec, exec, s[20:21]
	flat_store_byte v[12:13], v4 glc slc
	v_accvgpr_read_b32 v4, a36
	v_sub_u32_e32 v0, v0, v4
	v_cmp_gt_i32_e32 vcc, 1, v0
	s_or_b64 s[50:51], vcc, s[50:51]
	v_add_co_u32_e32 v10, vcc, v10, v4
	v_accvgpr_read_b32 v1, a37
	v_addc_co_u32_e32 v11, vcc, v11, v1, vcc
	s_andn2_b64 exec, exec, s[50:51]
	s_cbranch_execz .LBB4_6736
.LBB4_6709:                             ;   Parent Loop BB4_5381 Depth=1
                                        ; =>  This Inner Loop Header: Depth=2
	s_trap 2
	ds_read_b64 v[12:13], v0
	s_waitcnt lgkmcnt(0)
	v_cmp_eq_u16_sdwa vcc, v12, v17 src0_sel:BYTE_0 src1_sel:DWORD
	v_readfirstlane_b32 s20, v12
	v_readfirstlane_b32 s21, v13
	s_and_b64 vcc, exec, vcc
	s_cbranch_vccnz .LBB4_6713
; %bb.6710:                             ;   in Loop: Header=BB4_6709 Depth=2
	v_cmp_eq_u32_sdwa vcc, v12, s69 src0_sel:BYTE_0 src1_sel:DWORD
	s_and_b64 vcc, exec, vcc
	s_brev_b32 s56, 1
	s_cbranch_vccnz .LBB4_6714
; %bb.6711:                             ;   in Loop: Header=BB4_6709 Depth=2
	s_and_b32 vcc_lo, s20, 0x7f
	s_cmpk_eq_i32 vcc_lo, 0x7f
	s_mov_b32 s56, 0x7f800001
	s_cbranch_scc1 .LBB4_6714
; %bb.6712:                             ;   in Loop: Header=BB4_6709 Depth=2
	s_and_b32 vcc_hi, s20, 7
	s_flbit_i32_b32 vcc_hi, vcc_hi
	s_min_u32 vcc_hi, vcc_hi, 32
	s_lshr_b32 s52, vcc_lo, 3
	s_sub_i32 s53, vcc_hi, 28
	s_sub_i32 vcc_hi, 29, vcc_hi
	s_cmp_lt_u32 vcc_lo, 8
	s_cselect_b32 vcc_lo, s53, 0
	s_cselect_b32 s52, vcc_hi, s52
	s_lshl_b64 vcc, s[20:21], vcc_lo
	s_lshl_b32 s21, vcc_lo, 20
	s_lshl_b32 s20, s20, 24
	s_lshl_b32 vcc_lo, s52, 23
	s_and_b32 s20, s20, 0x80000000
	s_add_i32 vcc_lo, vcc_lo, 0x3c000000
	s_and_b32 s21, s21, 0x700000
	s_or_b32 s20, s20, vcc_lo
	s_or_b32 s56, s20, s21
	s_branch .LBB4_6714
.LBB4_6713:                             ;   in Loop: Header=BB4_6709 Depth=2
	s_mov_b32 s56, 0
.LBB4_6714:                             ;   in Loop: Header=BB4_6709 Depth=2
	v_add_co_u32_e32 v12, vcc, v2, v10
	v_addc_co_u32_e32 v13, vcc, v3, v11, vcc
	flat_load_ubyte v1, v[12:13] glc slc
	v_mov_b32_e32 v4, 0
	s_waitcnt vmcnt(0) lgkmcnt(0)
	v_cmp_ne_u16_e32 vcc, 0, v1
	s_and_saveexec_b64 s[20:21], vcc
	s_cbranch_execz .LBB4_6720
; %bb.6715:                             ;   in Loop: Header=BB4_6709 Depth=2
	v_cmp_ne_u16_e32 vcc, s69, v1
	v_bfrev_b32_e32 v4, 1
	s_and_saveexec_b64 s[52:53], vcc
	s_cbranch_execz .LBB4_6719
; %bb.6716:                             ;   in Loop: Header=BB4_6709 Depth=2
	v_and_b32_e32 v16, 0xffff, v1
	v_and_b32_e32 v5, 0x7f, v16
	v_cmp_ne_u32_e32 vcc, s68, v5
	v_mov_b32_e32 v4, 0x7f800001
	s_and_saveexec_b64 s[54:55], vcc
	s_cbranch_execz .LBB4_6718
; %bb.6717:                             ;   in Loop: Header=BB4_6709 Depth=2
	v_and_b32_e32 v4, 7, v16
	v_ffbh_u32_e32 v6, v4
	v_min_u32_e32 v9, 32, v6
	v_subrev_u32_e32 v6, 28, v9
	v_lshlrev_b64 v[6:7], v6, v[16:17]
	v_lshrrev_b32_e32 v8, 3, v5
	v_sub_u32_e32 v7, 29, v9
	v_and_b32_e32 v6, 7, v6
	v_cmp_gt_u32_e32 vcc, 8, v5
	v_cndmask_b32_e32 v5, v8, v7, vcc
	v_cndmask_b32_e32 v4, v4, v6, vcc
	v_lshlrev_b32_e32 v1, 24, v1
	v_lshlrev_b32_e32 v4, 20, v4
	v_and_b32_e32 v1, 0x80000000, v1
	v_lshl_add_u32 v5, v5, 23, v47
	v_or3_b32 v4, v1, v5, v4
.LBB4_6718:                             ;   in Loop: Header=BB4_6709 Depth=2
	s_or_b64 exec, exec, s[54:55]
.LBB4_6719:                             ;   in Loop: Header=BB4_6709 Depth=2
	s_or_b64 exec, exec, s[52:53]
.LBB4_6720:                             ;   in Loop: Header=BB4_6709 Depth=2
	s_or_b64 exec, exec, s[20:21]
	v_mul_f32_e32 v5, s56, v4
	v_and_b32_sdwa v1, v5, s69 dst_sel:DWORD dst_unused:UNUSED_PAD src0_sel:BYTE_3 src1_sel:DWORD
	v_and_b32_e32 v6, 0x7f800000, v5
	v_mov_b32_e32 v7, v17
	v_and_b32_e32 v16, 0x7fffff, v5
	v_or_b32_e32 v4, 0x7e, v1
	v_cmp_ne_u64_e32 vcc, s[38:39], v[6:7]
	s_and_saveexec_b64 s[20:21], vcc
	s_xor_b64 s[52:53], exec, s[20:21]
	s_cbranch_execz .LBB4_6734
; %bb.6721:                             ;   in Loop: Header=BB4_6709 Depth=2
	v_and_b32_e32 v6, 0x7fffffff, v5
	v_mov_b32_e32 v7, v17
	v_cmp_gt_u64_e32 vcc, s[40:41], v[6:7]
	s_and_saveexec_b64 s[20:21], vcc
	s_xor_b64 s[54:55], exec, s[20:21]
	s_cbranch_execz .LBB4_6733
; %bb.6722:                             ;   in Loop: Header=BB4_6709 Depth=2
	v_cmp_ne_u32_e32 vcc, 0, v5
	v_mov_b32_e32 v4, 0
	s_and_saveexec_b64 s[56:57], vcc
	s_cbranch_execz .LBB4_6732
; %bb.6723:                             ;   in Loop: Header=BB4_6709 Depth=2
	v_bfe_u32 v4, v5, 23, 8
	v_sub_u32_e32 v6, 0x79, v4
	v_cmp_gt_u32_e32 vcc, s70, v4
	v_cndmask_b32_e32 v6, 0, v6, vcc
	v_cmp_eq_u32_e32 vcc, 0, v4
	v_cndmask_b32_e32 v6, v6, v37, vcc
	v_add_u32_e32 v5, 0xffffff81, v4
	v_add_u32_e32 v4, 20, v6
	v_or_b32_e32 v7, 0x800000, v16
	v_cndmask_b32_e32 v15, v5, v14, vcc
	v_lshlrev_b64 v[4:5], v4, -1
	v_cndmask_b32_e32 v16, v7, v16, vcc
	v_not_b32_e32 v4, v4
	v_not_b32_e32 v5, v5
	v_and_b32_e32 v8, v16, v4
	v_add_u32_e32 v4, 19, v6
	v_lshrrev_b64 v[20:21], v6, v[16:17]
	v_and_b32_e32 v9, 0, v5
	v_lshlrev_b64 v[18:19], v4, 1
	v_bfe_u32 v5, v20, 20, 1
	v_add_u32_e32 v5, -1, v5
	v_cmp_eq_u64_e32 vcc, v[8:9], v[18:19]
	v_cndmask_b32_e32 v5, 0, v5, vcc
	v_add_u32_e32 v5, v5, v20
	v_lshrrev_b32_e32 v4, 23, v20
	v_and_b32_e32 v5, 0xfffff, v5
	v_add3_u32 v6, v6, v15, v4
	v_add_co_u32_e32 v54, vcc, v5, v20
	v_add_u32_e32 v4, 6, v6
	v_addc_co_u32_e32 v55, vcc, 0, v21, vcc
	v_cmp_ne_u32_e32 vcc, 0, v4
                                        ; implicit-def: $vgpr5
	s_and_saveexec_b64 s[20:21], vcc
	s_xor_b64 s[20:21], exec, s[20:21]
; %bb.6724:                             ;   in Loop: Header=BB4_6709 Depth=2
	v_add_u32_e32 v5, 7, v6
	v_cmp_lt_u64_e32 vcc, s[44:45], v[54:55]
	v_cndmask_b32_e32 v5, v4, v5, vcc
	v_cndmask_b32_e64 v4, 0, 1, vcc
	v_lshrrev_b64 v[54:55], v4, v[54:55]
; %bb.6725:                             ;   in Loop: Header=BB4_6709 Depth=2
	s_andn2_saveexec_b64 s[20:21], s[20:21]
; %bb.6726:                             ;   in Loop: Header=BB4_6709 Depth=2
	v_bfe_u32 v5, v54, 23, 1
; %bb.6727:                             ;   in Loop: Header=BB4_6709 Depth=2
	s_or_b64 exec, exec, s[20:21]
	v_lshrrev_b64 v[6:7], 20, v[54:55]
	v_cmp_gt_i32_e32 vcc, 16, v5
	v_cndmask_b32_e32 v25, 0, v7, vcc
	v_cndmask_b32_e32 v24, 7, v6, vcc
	v_cmp_ne_u32_e32 vcc, 0, v5
	v_cmp_ne_u64_e64 s[20:21], 0, v[24:25]
	s_or_b64 s[20:21], vcc, s[20:21]
                                        ; implicit-def: $vgpr4
	s_and_saveexec_b64 vcc, s[20:21]
	s_xor_b64 s[20:21], exec, vcc
; %bb.6728:                             ;   in Loop: Header=BB4_6709 Depth=2
	v_min_i32_e32 v4, 15, v5
	v_lshl_or_b32 v1, v4, 3, v1
	v_and_or_b32 v4, v24, 7, v1
                                        ; implicit-def: $vgpr1
; %bb.6729:                             ;   in Loop: Header=BB4_6709 Depth=2
	s_andn2_saveexec_b64 s[20:21], s[20:21]
; %bb.6730:                             ;   in Loop: Header=BB4_6709 Depth=2
	v_mov_b32_e32 v4, v1
; %bb.6731:                             ;   in Loop: Header=BB4_6709 Depth=2
	s_or_b64 exec, exec, s[20:21]
.LBB4_6732:                             ;   in Loop: Header=BB4_6709 Depth=2
	s_or_b64 exec, exec, s[56:57]
.LBB4_6733:                             ;   in Loop: Header=BB4_6709 Depth=2
	s_andn2_saveexec_b64 s[20:21], s[54:55]
	s_or_b64 exec, exec, s[20:21]
                                        ; implicit-def: $vgpr5
.LBB4_6734:                             ;   in Loop: Header=BB4_6709 Depth=2
	s_andn2_saveexec_b64 s[20:21], s[52:53]
	s_cbranch_execz .LBB4_6708
; %bb.6735:                             ;   in Loop: Header=BB4_6709 Depth=2
	v_or_b32_sdwa v1, v5, s68 dst_sel:DWORD dst_unused:UNUSED_PAD src0_sel:BYTE_3 src1_sel:DWORD
	v_cmp_eq_u64_e32 vcc, 0, v[16:17]
	v_cndmask_b32_e32 v4, v1, v4, vcc
	s_branch .LBB4_6708
.LBB4_6736:                             ;   in Loop: Header=BB4_5381 Depth=1
	s_or_b64 exec, exec, s[22:23]
	v_accvgpr_read_b32 v0, a39
	v_cmp_ne_u32_e64 s[20:21], 0, v0
	v_accvgpr_read_b32 v6, a38
	v_accvgpr_read_b32 v8, a40
.LBB4_6737:                             ;   in Loop: Header=BB4_5381 Depth=1
	s_and_saveexec_b64 s[22:23], s[10:11]
	s_cbranch_execz .LBB4_6756
; %bb.6738:                             ;   in Loop: Header=BB4_5381 Depth=1
	s_and_saveexec_b64 vcc, s[34:35]
	s_xor_b64 s[50:51], exec, vcc
	s_cbranch_execz .LBB4_6753
; %bb.6739:                             ;   in Loop: Header=BB4_5381 Depth=1
	s_and_saveexec_b64 s[52:53], s[12:13]
	s_cbranch_execz .LBB4_6752
; %bb.6740:                             ;   in Loop: Header=BB4_5381 Depth=1
	s_mov_b64 s[56:57], exec
	v_mbcnt_lo_u32_b32 v0, s56, 0
	v_mbcnt_hi_u32_b32 v0, s57, v0
	v_cmp_eq_u32_e32 vcc, 0, v0
	s_waitcnt vmcnt(0) lgkmcnt(0)
	buffer_wbinvl1_vol
	s_and_saveexec_b64 s[54:55], vcc
	s_cbranch_execz .LBB4_6742
; %bb.6741:                             ;   in Loop: Header=BB4_5381 Depth=1
	s_bcnt1_i32_b64 vcc_lo, s[56:57]
	v_mov_b32_e32 v16, vcc_lo
	ds_add_u64 v0, v[16:17]
	s_trap 2
.LBB4_6742:                             ;   in Loop: Header=BB4_5381 Depth=1
	s_or_b64 exec, exec, s[54:55]
	s_trap 2
	ds_read_b64 v[0:1], v0
	v_accvgpr_read_b32 v2, a22
	v_accvgpr_read_b32 v3, a23
	v_add_co_u32_e32 v2, vcc, v2, v56
	v_addc_co_u32_e32 v3, vcc, 0, v3, vcc
	v_accvgpr_write_b32 a23, v3
	v_accvgpr_write_b32 a22, v2
	s_waitcnt lgkmcnt(0)
	v_cmp_lt_u64_e32 vcc, v[0:1], v[2:3]
	s_and_saveexec_b64 s[54:55], vcc
	s_cbranch_execz .LBB4_6751
; %bb.6743:                             ;   in Loop: Header=BB4_5381 Depth=1
	s_mov_b32 s73, 0
	s_mov_b64 s[56:57], 0
                                        ; implicit-def: $sgpr58_sgpr59
                                        ; implicit-def: $sgpr60_sgpr61
	s_branch .LBB4_6745
.LBB4_6744:                             ;   in Loop: Header=BB4_6745 Depth=2
	s_or_b64 exec, exec, s[64:65]
	s_and_b64 vcc, exec, vcc
	s_or_b64 s[56:57], vcc, s[56:57]
	s_andn2_b64 vcc, s[58:59], exec
	s_and_b64 s[58:59], s[60:61], exec
	s_or_b64 s[58:59], vcc, s[58:59]
	s_andn2_b64 exec, exec, s[56:57]
	s_cbranch_execz .LBB4_6749
.LBB4_6745:                             ;   Parent Loop BB4_5381 Depth=1
                                        ; =>  This Inner Loop Header: Depth=2
	s_add_i32 s73, s73, 1
	s_cmpk_lg_i32 s73, 0x2710
	s_cselect_b64 s[62:63], -1, 0
	s_and_b64 vcc, exec, s[62:63]
                                        ; implicit-def: $sgpr64_sgpr65
	s_cbranch_vccnz .LBB4_6747
; %bb.6746:                             ;   in Loop: Header=BB4_6745 Depth=2
	s_trap 2
	ds_read_b64 v[0:1], v0
	s_andn2_b64 s[62:63], s[62:63], exec
	s_mov_b32 s73, 0
	s_mov_b64 s[64:65], -1
	s_waitcnt lgkmcnt(0)
	flat_load_dword v0, v[0:1] glc
	s_waitcnt vmcnt(0) lgkmcnt(0)
	buffer_invl2
	buffer_wbinvl1_vol
	v_cmp_eq_u32_e32 vcc, 0, v0
	s_and_b64 vcc, vcc, exec
	s_or_b64 s[62:63], s[62:63], vcc
.LBB4_6747:                             ;   in Loop: Header=BB4_6745 Depth=2
	s_andn2_b64 s[60:61], s[60:61], exec
	s_and_b64 s[64:65], s[64:65], exec
	s_mov_b64 vcc, -1
	s_or_b64 s[60:61], s[60:61], s[64:65]
	s_and_saveexec_b64 s[64:65], s[62:63]
	s_cbranch_execz .LBB4_6744
; %bb.6748:                             ;   in Loop: Header=BB4_6745 Depth=2
	s_sleep 1
	s_trap 2
	ds_read_b64 v[0:1], v0
	v_accvgpr_read_b32 v2, a22
	v_accvgpr_read_b32 v3, a23
	s_andn2_b64 s[60:61], s[60:61], exec
	s_waitcnt lgkmcnt(0)
	v_cmp_ge_u64_e32 vcc, v[0:1], v[2:3]
	s_orn2_b64 vcc, vcc, exec
	s_branch .LBB4_6744
.LBB4_6749:                             ;   in Loop: Header=BB4_5381 Depth=1
	s_or_b64 exec, exec, s[56:57]
	s_and_saveexec_b64 vcc, s[58:59]
	s_xor_b64 vcc, exec, vcc
	s_cbranch_execz .LBB4_6751
; %bb.6750:                             ;   in Loop: Header=BB4_5381 Depth=1
	v_mov_b32_e32 v0, 1
	ds_write_b32 v0, v0
	s_trap 2
.LBB4_6751:                             ;   in Loop: Header=BB4_5381 Depth=1
	s_or_b64 exec, exec, s[54:55]
	;;#ASMSTART
	s_wakeup
	;;#ASMEND
.LBB4_6752:                             ;   in Loop: Header=BB4_5381 Depth=1
	s_or_b64 exec, exec, s[52:53]
.LBB4_6753:                             ;   in Loop: Header=BB4_5381 Depth=1
	s_andn2_saveexec_b64 vcc, s[50:51]
	s_cbranch_execz .LBB4_6755
; %bb.6754:                             ;   in Loop: Header=BB4_5381 Depth=1
	s_waitcnt vmcnt(0) lgkmcnt(0)
	buffer_wbinvl1_vol
	s_barrier
.LBB4_6755:                             ;   in Loop: Header=BB4_5381 Depth=1
	s_or_b64 exec, exec, vcc
.LBB4_6756:                             ;   in Loop: Header=BB4_5381 Depth=1
	s_or_b64 exec, exec, s[22:23]
	v_and_b32_e32 v0, 16, v59
	v_cmp_ne_u32_e32 vcc, 0, v0
	s_and_b64 s[22:23], vcc, s[20:21]
	s_and_saveexec_b64 s[20:21], s[22:23]
	s_cbranch_execz .LBB4_6758
; %bb.6757:                             ;   in Loop: Header=BB4_5381 Depth=1
	s_waitcnt vmcnt(0) lgkmcnt(0)
	buffer_wbinvl1_vol
.LBB4_6758:                             ;   in Loop: Header=BB4_5381 Depth=1
	s_or_b64 exec, exec, s[20:21]
	v_cmp_ne_u32_e32 vcc, 0, v0
	s_and_saveexec_b64 s[20:21], vcc
	s_cbranch_execz .LBB4_6762
; %bb.6759:                             ;   in Loop: Header=BB4_5381 Depth=1
	s_and_saveexec_b64 s[22:23], s[18:19]
	s_cbranch_execz .LBB4_6761
; %bb.6760:                             ;   in Loop: Header=BB4_5381 Depth=1
	v_accvgpr_read_b32 v0, a26
	v_accvgpr_read_b32 v1, a27
	v_mov_b32_e32 v2, 1
	flat_store_dword v[0:1], v2
.LBB4_6761:                             ;   in Loop: Header=BB4_5381 Depth=1
	s_or_b64 exec, exec, s[22:23]
	v_accvgpr_read_b32 v0, a12
	v_accvgpr_read_b32 v2, a14
	;; [unrolled: 1-line block ×3, first 2 shown]
	v_add_co_u32_e32 v2, vcc, 1, v2
	v_addc_co_u32_e32 v3, vcc, 0, v3, vcc
	v_accvgpr_read_b32 v1, a13
	v_accvgpr_write_b32 a15, v3
	v_accvgpr_write_b32 a14, v2
	;; [unrolled: 1-line block ×4, first 2 shown]
	v_accvgpr_read_b32 v0, a16
	v_accvgpr_read_b32 v1, a17
	flat_store_dwordx2 v[0:1], v[2:3]
.LBB4_6762:                             ;   in Loop: Header=BB4_5381 Depth=1
	s_or_b64 exec, exec, s[20:21]
	v_mov_b32_e32 v0, v8
.LBB4_6763:                             ;   in Loop: Header=BB4_5381 Depth=1
	s_or_b64 exec, exec, s[48:49]
	s_and_saveexec_b64 s[22:23], s[46:47]
	s_cbranch_execz .LBB4_5380
; %bb.6764:                             ;   in Loop: Header=BB4_5381 Depth=1
	v_and_b32_e32 v1, 8, v59
	v_cmp_ne_u32_e32 vcc, 0, v1
	s_mov_b64 s[46:47], -1
	s_and_saveexec_b64 s[20:21], vcc
	s_cbranch_execz .LBB4_6776
; %bb.6765:                             ;   in Loop: Header=BB4_5381 Depth=1
	v_mov_b32_e32 v12, v8
	v_mov_b32_e32 v10, v6
	v_add_co_u32_e32 v4, vcc, 8, v28
	v_accvgpr_read_b32 v6, a12
	v_addc_co_u32_e32 v5, vcc, 0, v29, vcc
	v_accvgpr_read_b32 v8, a14
	v_accvgpr_read_b32 v9, a15
	v_add_co_u32_e32 v2, vcc, 1, v8
	v_addc_co_u32_e32 v3, vcc, 0, v9, vcc
	v_cmp_lt_u64_e32 vcc, v[4:5], v[2:3]
	v_mov_b32_e32 v1, 1
	v_accvgpr_read_b32 v7, a13
	s_and_saveexec_b64 s[46:47], vcc
	s_cbranch_execz .LBB4_6775
; %bb.6766:                             ;   in Loop: Header=BB4_5381 Depth=1
	s_mov_b64 s[48:49], 0
	v_mov_b32_e32 v1, 0
                                        ; implicit-def: $sgpr50_sgpr51
	s_branch .LBB4_6770
.LBB4_6767:                             ;   in Loop: Header=BB4_6770 Depth=2
	s_or_b64 exec, exec, s[58:59]
	v_mov_b32_e32 v4, 0
	s_orn2_b64 s[56:57], s[56:57], exec
.LBB4_6768:                             ;   in Loop: Header=BB4_6770 Depth=2
	s_or_b64 exec, exec, s[54:55]
	s_andn2_b64 vcc, s[50:51], exec
	s_and_b64 s[50:51], s[56:57], exec
	s_or_b64 s[50:51], vcc, s[50:51]
	v_mov_b32_e32 v1, v4
.LBB4_6769:                             ;   in Loop: Header=BB4_6770 Depth=2
	s_or_b64 exec, exec, s[52:53]
	s_waitcnt vmcnt(0) lgkmcnt(0)
	v_add_co_u32_e32 v4, vcc, 8, v28
	v_addc_co_u32_e32 v5, vcc, 0, v29, vcc
	v_cmp_ge_u64_e32 vcc, v[4:5], v[2:3]
	s_xor_b64 s[52:53], s[50:51], -1
	s_or_b64 vcc, s[52:53], vcc
	s_and_b64 vcc, exec, vcc
	s_or_b64 s[48:49], vcc, s[48:49]
	s_andn2_b64 exec, exec, s[48:49]
	s_cbranch_execz .LBB4_6774
.LBB4_6770:                             ;   Parent Loop BB4_5381 Depth=1
                                        ; =>  This Inner Loop Header: Depth=2
	v_accvgpr_read_b32 v4, a16
	v_accvgpr_read_b32 v5, a17
	s_sleep 1
	flat_load_dwordx2 v[28:29], v[4:5] glc
	v_and_b32_e32 v4, 64, v59
	v_cmp_eq_u32_e32 vcc, 0, v4
	s_andn2_b64 s[50:51], s[50:51], exec
	s_and_saveexec_b64 s[52:53], vcc
	s_cbranch_execz .LBB4_6769
; %bb.6771:                             ;   in Loop: Header=BB4_6770 Depth=2
	v_add_u32_e32 v4, 1, v1
	v_cmp_lt_i32_e32 vcc, s67, v1
	s_mov_b64 s[56:57], -1
	s_and_saveexec_b64 s[54:55], vcc
	s_cbranch_execz .LBB4_6768
; %bb.6772:                             ;   in Loop: Header=BB4_6770 Depth=2
	s_trap 2
	ds_read_b64 v[4:5], v0
	s_waitcnt vmcnt(0) lgkmcnt(0)
	flat_load_dword v1, v[4:5] glc
	s_waitcnt vmcnt(0) lgkmcnt(0)
	buffer_invl2
	buffer_wbinvl1_vol
	v_cmp_ne_u32_e32 vcc, 0, v1
	s_and_saveexec_b64 s[58:59], vcc
	s_cbranch_execz .LBB4_6767
; %bb.6773:                             ;   in Loop: Header=BB4_6770 Depth=2
	v_or_b32_e32 v59, 64, v59
	s_xor_b64 s[56:57], exec, -1
	ds_write_b32 v0, v1
	s_trap 2
	s_branch .LBB4_6767
.LBB4_6774:                             ;   in Loop: Header=BB4_5381 Depth=1
	s_or_b64 exec, exec, s[48:49]
	v_and_b32_e32 v1, 8, v59
.LBB4_6775:                             ;   in Loop: Header=BB4_5381 Depth=1
	s_or_b64 exec, exec, s[46:47]
	v_cmp_eq_u32_e32 vcc, 0, v1
	s_orn2_b64 s[46:47], vcc, exec
	v_mov_b32_e32 v6, v10
	v_mov_b32_e32 v8, v12
	;;#ASMSTART
	s_wakeup
	;;#ASMEND
.LBB4_6776:                             ;   in Loop: Header=BB4_5381 Depth=1
	s_or_b64 exec, exec, s[20:21]
	v_sub_u32_e32 v0, v6, v0
	s_xor_b64 s[20:21], s[46:47], -1
	v_min_i32_e32 v2, v8, v0
	s_and_saveexec_b64 s[46:47], s[20:21]
	s_cbranch_execz .LBB4_6786
; %bb.6777:                             ;   in Loop: Header=BB4_5381 Depth=1
	v_accvgpr_read_b32 v4, a12
	v_and_b32_e32 v0, 0x100, v59
	v_accvgpr_read_b32 v6, a14
	v_cmp_ne_u32_e32 vcc, 0, v0
	v_and_b32_e32 v0, 7, v6
	s_mov_b64 s[20:21], -1
	v_accvgpr_read_b32 v5, a13
	v_accvgpr_read_b32 v7, a15
                                        ; implicit-def: $vgpr10_vgpr11
	s_and_saveexec_b64 s[48:49], vcc
	s_cbranch_execz .LBB4_6781
; %bb.6778:                             ;   in Loop: Header=BB4_5381 Depth=1
	v_accvgpr_read_b32 v4, a12
	v_accvgpr_read_b32 v5, a13
	v_mad_u64_u32 v[12:13], s[20:21], v0, 24, v[4:5]
	flat_load_dword v1, v[12:13]
	v_ashrrev_i32_e32 v3, 31, v2
	v_accvgpr_read_b32 v6, a14
	v_accvgpr_read_b32 v7, a15
	flat_store_dwordx2 v[12:13], v[2:3] offset:8
                                        ; implicit-def: $vgpr10_vgpr11
	s_waitcnt vmcnt(0) lgkmcnt(0)
	v_cmp_ne_u32_e32 vcc, 1, v1
	v_cmp_eq_u32_e64 s[20:21], 1, v1
	s_and_saveexec_b64 s[50:51], s[20:21]
	s_cbranch_execz .LBB4_6780
; %bb.6779:                             ;   in Loop: Header=BB4_5381 Depth=1
	flat_load_dword v10, v[12:13] offset:4 glc
	s_waitcnt vmcnt(0) lgkmcnt(0)
	v_ashrrev_i32_e32 v11, 31, v10
.LBB4_6780:                             ;   in Loop: Header=BB4_5381 Depth=1
	s_or_b64 exec, exec, s[50:51]
	s_orn2_b64 s[20:21], vcc, exec
.LBB4_6781:                             ;   in Loop: Header=BB4_5381 Depth=1
	s_or_b64 exec, exec, s[48:49]
	s_and_saveexec_b64 vcc, s[20:21]
; %bb.6782:                             ;   in Loop: Header=BB4_5381 Depth=1
	v_accvgpr_read_b32 v4, a18
	v_mad_i64_i32 v[10:11], s[20:21], v0, v4, 0
; %bb.6783:                             ;   in Loop: Header=BB4_5381 Depth=1
	s_or_b64 exec, exec, vcc
	v_accvgpr_read_b32 v0, a20
	v_accvgpr_read_b32 v1, a21
	v_add_co_u32_e32 v0, vcc, v0, v10
	v_addc_co_u32_e32 v1, vcc, v1, v11, vcc
	ds_write_b64 v0, v[0:1] offset:784
	v_and_b32_e32 v0, 0x2000, v59
	v_cmp_ne_u32_e32 vcc, 0, v0
	s_and_saveexec_b64 s[20:21], vcc
	s_cbranch_execz .LBB4_6785
; %bb.6784:                             ;   in Loop: Header=BB4_5381 Depth=1
	ds_read_b64 v[0:1], v0 offset:584
	s_waitcnt lgkmcnt(0)
	v_add_co_u32_e32 v0, vcc, 1, v0
	v_addc_co_u32_e32 v1, vcc, 0, v1, vcc
	ds_write_b64 v0, v[0:1] offset:584
.LBB4_6785:                             ;   in Loop: Header=BB4_5381 Depth=1
	s_or_b64 exec, exec, s[20:21]
	v_accvgpr_read_b32 v4, a12
	v_accvgpr_read_b32 v6, a14
	;; [unrolled: 1-line block ×3, first 2 shown]
	v_add_co_u32_e32 v6, vcc, 1, v6
	v_addc_co_u32_e32 v7, vcc, 0, v7, vcc
	v_accvgpr_read_b32 v5, a13
	v_accvgpr_write_b32 a15, v7
	v_accvgpr_write_b32 a14, v6
	v_accvgpr_write_b32 a13, v5
	v_accvgpr_write_b32 a12, v4
.LBB4_6786:                             ;   in Loop: Header=BB4_5381 Depth=1
	s_or_b64 exec, exec, s[46:47]
	s_and_saveexec_b64 s[20:21], s[10:11]
	s_cbranch_execz .LBB4_6805
; %bb.6787:                             ;   in Loop: Header=BB4_5381 Depth=1
	s_and_saveexec_b64 vcc, s[34:35]
	s_xor_b64 s[46:47], exec, vcc
	s_cbranch_execz .LBB4_6802
; %bb.6788:                             ;   in Loop: Header=BB4_5381 Depth=1
	s_and_saveexec_b64 s[48:49], s[12:13]
	s_cbranch_execz .LBB4_6801
; %bb.6789:                             ;   in Loop: Header=BB4_5381 Depth=1
	s_mov_b64 s[52:53], exec
	v_mbcnt_lo_u32_b32 v0, s52, 0
	v_mbcnt_hi_u32_b32 v0, s53, v0
	v_cmp_eq_u32_e32 vcc, 0, v0
	s_waitcnt vmcnt(0) lgkmcnt(0)
	buffer_wbinvl1_vol
	s_and_saveexec_b64 s[50:51], vcc
	s_cbranch_execz .LBB4_6791
; %bb.6790:                             ;   in Loop: Header=BB4_5381 Depth=1
	s_bcnt1_i32_b64 vcc_lo, s[52:53]
	v_mov_b32_e32 v16, vcc_lo
	ds_add_u64 v0, v[16:17]
	s_trap 2
.LBB4_6791:                             ;   in Loop: Header=BB4_5381 Depth=1
	s_or_b64 exec, exec, s[50:51]
	s_trap 2
	ds_read_b64 v[0:1], v0
	v_accvgpr_read_b32 v4, a22
	v_accvgpr_read_b32 v5, a23
	v_add_co_u32_e32 v4, vcc, v4, v56
	v_addc_co_u32_e32 v5, vcc, 0, v5, vcc
	v_accvgpr_write_b32 a23, v5
	v_accvgpr_write_b32 a22, v4
	s_waitcnt lgkmcnt(0)
	v_cmp_lt_u64_e32 vcc, v[0:1], v[4:5]
	s_and_saveexec_b64 s[50:51], vcc
	s_cbranch_execz .LBB4_6800
; %bb.6792:                             ;   in Loop: Header=BB4_5381 Depth=1
	s_mov_b32 s62, 0
	s_mov_b64 s[52:53], 0
                                        ; implicit-def: $sgpr54_sgpr55
                                        ; implicit-def: $sgpr56_sgpr57
	s_branch .LBB4_6794
.LBB4_6793:                             ;   in Loop: Header=BB4_6794 Depth=2
	s_or_b64 exec, exec, s[60:61]
	s_and_b64 vcc, exec, vcc
	s_or_b64 s[52:53], vcc, s[52:53]
	s_andn2_b64 vcc, s[54:55], exec
	s_and_b64 s[54:55], s[56:57], exec
	s_or_b64 s[54:55], vcc, s[54:55]
	s_andn2_b64 exec, exec, s[52:53]
	s_cbranch_execz .LBB4_6798
.LBB4_6794:                             ;   Parent Loop BB4_5381 Depth=1
                                        ; =>  This Inner Loop Header: Depth=2
	s_add_i32 s62, s62, 1
	s_cmpk_lg_i32 s62, 0x2710
	s_cselect_b64 s[58:59], -1, 0
	s_and_b64 vcc, exec, s[58:59]
                                        ; implicit-def: $sgpr60_sgpr61
	s_cbranch_vccnz .LBB4_6796
; %bb.6795:                             ;   in Loop: Header=BB4_6794 Depth=2
	s_trap 2
	ds_read_b64 v[0:1], v0
	s_andn2_b64 s[58:59], s[58:59], exec
	s_mov_b32 s62, 0
	s_mov_b64 s[60:61], -1
	s_waitcnt lgkmcnt(0)
	flat_load_dword v0, v[0:1] glc
	s_waitcnt vmcnt(0) lgkmcnt(0)
	buffer_invl2
	buffer_wbinvl1_vol
	v_cmp_eq_u32_e32 vcc, 0, v0
	s_and_b64 vcc, vcc, exec
	s_or_b64 s[58:59], s[58:59], vcc
.LBB4_6796:                             ;   in Loop: Header=BB4_6794 Depth=2
	s_andn2_b64 s[56:57], s[56:57], exec
	s_and_b64 s[60:61], s[60:61], exec
	s_mov_b64 vcc, -1
	s_or_b64 s[56:57], s[56:57], s[60:61]
	s_and_saveexec_b64 s[60:61], s[58:59]
	s_cbranch_execz .LBB4_6793
; %bb.6797:                             ;   in Loop: Header=BB4_6794 Depth=2
	s_sleep 1
	s_trap 2
	ds_read_b64 v[0:1], v0
	v_accvgpr_read_b32 v4, a22
	v_accvgpr_read_b32 v5, a23
	s_andn2_b64 s[56:57], s[56:57], exec
	s_waitcnt lgkmcnt(0)
	v_cmp_ge_u64_e32 vcc, v[0:1], v[4:5]
	s_orn2_b64 vcc, vcc, exec
	s_branch .LBB4_6793
.LBB4_6798:                             ;   in Loop: Header=BB4_5381 Depth=1
	s_or_b64 exec, exec, s[52:53]
	s_and_saveexec_b64 vcc, s[54:55]
	s_xor_b64 vcc, exec, vcc
	s_cbranch_execz .LBB4_6800
; %bb.6799:                             ;   in Loop: Header=BB4_5381 Depth=1
	v_mov_b32_e32 v0, 1
	ds_write_b32 v0, v0
	s_trap 2
.LBB4_6800:                             ;   in Loop: Header=BB4_5381 Depth=1
	s_or_b64 exec, exec, s[50:51]
	;;#ASMSTART
	s_wakeup
	;;#ASMEND
.LBB4_6801:                             ;   in Loop: Header=BB4_5381 Depth=1
	s_or_b64 exec, exec, s[48:49]
.LBB4_6802:                             ;   in Loop: Header=BB4_5381 Depth=1
	s_andn2_saveexec_b64 vcc, s[46:47]
	s_cbranch_execz .LBB4_6804
; %bb.6803:                             ;   in Loop: Header=BB4_5381 Depth=1
	s_waitcnt vmcnt(0) lgkmcnt(0)
	buffer_wbinvl1_vol
	s_barrier
.LBB4_6804:                             ;   in Loop: Header=BB4_5381 Depth=1
	s_or_b64 exec, exec, vcc
.LBB4_6805:                             ;   in Loop: Header=BB4_5381 Depth=1
	s_or_b64 exec, exec, s[20:21]
	s_trap 2
	ds_read_b32 v1, v0
	v_cmp_lt_i32_e32 vcc, 0, v2
	v_and_b32_e32 v0, 16, v59
	s_waitcnt lgkmcnt(0)
	v_readfirstlane_b32 s20, v1
	s_cmp_eq_u32 s20, 0
	s_cselect_b64 s[20:21], -1, 0
	s_and_b64 s[20:21], vcc, s[20:21]
	v_cmp_ne_u32_e32 vcc, 0, v0
	s_and_b64 vcc, vcc, s[20:21]
	s_and_saveexec_b64 s[20:21], vcc
	s_cbranch_execz .LBB4_6807
; %bb.6806:                             ;   in Loop: Header=BB4_5381 Depth=1
	s_waitcnt vmcnt(0)
	buffer_wbinvl1_vol
.LBB4_6807:                             ;   in Loop: Header=BB4_5381 Depth=1
	s_or_b64 exec, exec, s[20:21]
	v_cmp_ne_u32_e32 vcc, 0, v0
	s_and_saveexec_b64 s[20:21], vcc
	s_cbranch_execz .LBB4_5379
; %bb.6808:                             ;   in Loop: Header=BB4_5381 Depth=1
	s_and_saveexec_b64 vcc, s[18:19]
	s_cbranch_execz .LBB4_5378
; %bb.6809:                             ;   in Loop: Header=BB4_5381 Depth=1
	v_accvgpr_read_b32 v0, a26
	v_accvgpr_read_b32 v1, a27
	v_mov_b32_e32 v2, 1
	flat_store_dword v[0:1], v2
	s_branch .LBB4_5378
.LBB4_6810:
	s_or_b64 exec, exec, s[30:31]
	v_accvgpr_read_b32 v23, a15
	v_accvgpr_read_b32 v22, a14
	;; [unrolled: 1-line block ×4, first 2 shown]
.LBB4_6811:
	s_or_b64 exec, exec, s[28:29]
.LBB4_6812:
	s_or_b64 exec, exec, s[24:25]
	v_and_b32_e32 v0, 0x800, v59
	v_cmp_eq_u32_e32 vcc, 0, v0
	s_and_saveexec_b64 s[4:5], vcc
	s_cbranch_execz .LBB4_6847
; %bb.6813:
	v_and_b32_e32 v0, 48, v59
	v_cmp_ne_u32_e32 vcc, 0, v0
	s_and_saveexec_b64 s[6:7], vcc
	s_cbranch_execz .LBB4_6815
; %bb.6814:
	v_accvgpr_read_b32 v0, a10
	v_accvgpr_read_b32 v1, a11
	s_waitcnt vmcnt(0) lgkmcnt(0)
	flat_store_dwordx2 v[0:1], v[22:23] offset:104
.LBB4_6815:
	s_or_b64 exec, exec, s[6:7]
	s_movk_i32 s6, 0x88
	v_and_b32_e32 v0, 0x88, v59
	v_cmp_eq_u32_e32 vcc, s6, v0
	s_and_saveexec_b64 s[6:7], vcc
	s_cbranch_execz .LBB4_6827
; %bb.6816:
	s_waitcnt vmcnt(0) lgkmcnt(0)
	v_add_u32_e32 v0, -1, v22
	v_and_b32_e32 v0, 7, v0
	v_mad_u64_u32 v[0:1], s[10:11], v0, 24, v[20:21]
	v_add_co_u32_e32 v2, vcc, 8, v0
	v_addc_co_u32_e32 v3, vcc, 0, v1, vcc
	s_mov_b64 s[10:11], 0
	v_mov_b32_e32 v0, 0
	s_movk_i32 s24, 0x270e
                                        ; implicit-def: $sgpr12_sgpr13
	s_branch .LBB4_6821
.LBB4_6817:                             ;   in Loop: Header=BB4_6821 Depth=1
	s_or_b64 exec, exec, s[22:23]
	v_mov_b32_e32 v1, 0
	s_orn2_b64 s[20:21], s[20:21], exec
.LBB4_6818:                             ;   in Loop: Header=BB4_6821 Depth=1
	s_or_b64 exec, exec, s[18:19]
	s_and_b64 s[18:19], s[20:21], exec
	v_mov_b32_e32 v0, v1
.LBB4_6819:                             ;   in Loop: Header=BB4_6821 Depth=1
	s_or_b64 exec, exec, s[16:17]
	s_xor_b64 s[16:17], s[18:19], -1
	s_andn2_b64 s[12:13], s[12:13], exec
	s_and_b64 s[16:17], s[16:17], exec
	s_or_b64 s[12:13], s[12:13], s[16:17]
.LBB4_6820:                             ;   in Loop: Header=BB4_6821 Depth=1
	s_or_b64 exec, exec, s[14:15]
	s_and_b64 s[14:15], exec, s[12:13]
	s_or_b64 s[10:11], s[14:15], s[10:11]
	s_andn2_b64 exec, exec, s[10:11]
	s_cbranch_execz .LBB4_6826
.LBB4_6821:                             ; =>This Inner Loop Header: Depth=1
	flat_load_dwordx2 v[4:5], v[2:3] glc
	s_waitcnt vmcnt(0)
	s_or_b64 s[12:13], s[12:13], exec
	s_waitcnt lgkmcnt(0)
	v_cmp_ne_u64_e32 vcc, -1, v[4:5]
	s_and_saveexec_b64 s[14:15], vcc
	s_cbranch_execz .LBB4_6820
; %bb.6822:                             ;   in Loop: Header=BB4_6821 Depth=1
	v_and_b32_e32 v1, 64, v59
	v_cmp_eq_u32_e32 vcc, 0, v1
	s_mov_b64 s[18:19], 0
	s_and_saveexec_b64 s[16:17], vcc
	s_cbranch_execz .LBB4_6819
; %bb.6823:                             ;   in Loop: Header=BB4_6821 Depth=1
	v_add_u32_e32 v1, 1, v0
	v_cmp_lt_i32_e32 vcc, s24, v0
	s_mov_b64 s[20:21], -1
	s_and_saveexec_b64 s[18:19], vcc
	s_cbranch_execz .LBB4_6818
; %bb.6824:                             ;   in Loop: Header=BB4_6821 Depth=1
	s_trap 2
	ds_read_b64 v[0:1], v0
	s_waitcnt lgkmcnt(0)
	flat_load_dword v0, v[0:1] glc
	s_waitcnt vmcnt(0) lgkmcnt(0)
	buffer_invl2
	buffer_wbinvl1_vol
	v_cmp_ne_u32_e32 vcc, 0, v0
	s_and_saveexec_b64 s[22:23], vcc
	s_cbranch_execz .LBB4_6817
; %bb.6825:                             ;   in Loop: Header=BB4_6821 Depth=1
	v_or_b32_e32 v59, 64, v59
	s_xor_b64 s[20:21], exec, -1
	ds_write_b32 v0, v0
	s_trap 2
	s_branch .LBB4_6817
.LBB4_6826:
	s_or_b64 exec, exec, s[10:11]
.LBB4_6827:
	s_or_b64 exec, exec, s[6:7]
	v_and_b32_e32 v0, 0x2000, v59
	v_cmp_ne_u32_e32 vcc, 0, v0
	s_and_saveexec_b64 s[6:7], vcc
	s_cbranch_execz .LBB4_6829
; %bb.6828:
	s_trap 2
	ds_read_b64 v[0:1], v0
	v_accvgpr_read_b32 v2, a8
	v_accvgpr_read_b32 v3, a9
	s_waitcnt lgkmcnt(0)
	flat_store_dwordx2 v[2:3], v[0:1] offset:16
.LBB4_6829:
	s_or_b64 exec, exec, s[6:7]
	v_accvgpr_read_b32 v0, a0
	v_cmp_ne_u32_e32 vcc, 64, v0
	s_and_b64 exec, exec, vcc
	s_cbranch_execz .LBB4_6847
; %bb.6830:
	v_accvgpr_read_b32 v0, a0
	s_waitcnt vmcnt(0)
	v_accvgpr_read_b32 v1, a2
	v_cmp_ne_u32_sdwa s[6:7], v1, v0 src0_sel:WORD_0 src1_sel:DWORD
	s_and_saveexec_b64 s[10:11], s[6:7]
	s_xor_b64 s[6:7], exec, s[10:11]
	s_cbranch_execz .LBB4_6845
; %bb.6831:
	v_accvgpr_read_b32 v0, a1
	v_and_b32_e32 v0, 63, v0
	v_cmp_eq_u32_e32 vcc, 0, v0
	s_and_saveexec_b64 s[10:11], vcc
	s_cbranch_execz .LBB4_6844
; %bb.6832:
	s_mov_b64 s[14:15], exec
	v_mbcnt_lo_u32_b32 v0, s14, 0
	v_mbcnt_hi_u32_b32 v0, s15, v0
	v_cmp_eq_u32_e32 vcc, 0, v0
	s_waitcnt lgkmcnt(0)
	buffer_wbinvl1_vol
	s_and_saveexec_b64 s[12:13], vcc
	s_cbranch_execz .LBB4_6834
; %bb.6833:
	s_bcnt1_i32_b64 s14, s[14:15]
	v_mov_b32_e32 v0, s14
	v_mov_b32_e32 v1, 0
	ds_add_u64 v0, v[0:1]
	s_trap 2
.LBB4_6834:
	s_or_b64 exec, exec, s[12:13]
	v_accvgpr_read_b32 v1, a0
	v_ashrrev_i32_e32 v0, 31, v1
	v_lshrrev_b32_e32 v0, 26, v0
	v_add_u32_e32 v0, v1, v0
	v_ashrrev_i32_e32 v0, 6, v0
	s_trap 2
	ds_read_b64 v[2:3], v0
	v_accvgpr_read_b32 v4, a22
	v_ashrrev_i32_e32 v1, 31, v0
	v_accvgpr_read_b32 v5, a23
	v_add_co_u32_e32 v0, vcc, v4, v0
	v_addc_co_u32_e32 v1, vcc, v5, v1, vcc
	s_waitcnt lgkmcnt(0)
	v_cmp_lt_u64_e32 vcc, v[2:3], v[0:1]
	s_and_saveexec_b64 s[12:13], vcc
	s_cbranch_execz .LBB4_6843
; %bb.6835:
	s_mov_b32 s28, 0
	s_mov_b64 s[14:15], 0
                                        ; implicit-def: $sgpr16_sgpr17
                                        ; implicit-def: $sgpr18_sgpr19
	s_branch .LBB4_6837
.LBB4_6836:                             ;   in Loop: Header=BB4_6837 Depth=1
	s_or_b64 exec, exec, s[24:25]
	s_and_b64 s[20:21], exec, s[22:23]
	s_or_b64 s[14:15], s[20:21], s[14:15]
	s_andn2_b64 s[16:17], s[16:17], exec
	s_and_b64 s[20:21], s[18:19], exec
	s_or_b64 s[16:17], s[16:17], s[20:21]
	s_andn2_b64 exec, exec, s[14:15]
	s_cbranch_execz .LBB4_6841
.LBB4_6837:                             ; =>This Inner Loop Header: Depth=1
	s_add_i32 s28, s28, 1
	s_cmpk_lg_i32 s28, 0x2710
	s_cselect_b64 s[20:21], -1, 0
	s_and_b64 vcc, exec, s[20:21]
                                        ; implicit-def: $sgpr24_sgpr25
	s_cbranch_vccnz .LBB4_6839
; %bb.6838:                             ;   in Loop: Header=BB4_6837 Depth=1
	s_trap 2
	ds_read_b64 v[2:3], v0
	s_andn2_b64 s[20:21], s[20:21], exec
	s_mov_b32 s28, 0
	s_mov_b64 s[24:25], -1
	s_waitcnt lgkmcnt(0)
	flat_load_dword v2, v[2:3] glc
	s_waitcnt vmcnt(0) lgkmcnt(0)
	buffer_invl2
	buffer_wbinvl1_vol
	v_cmp_eq_u32_e32 vcc, 0, v2
	s_and_b64 s[22:23], vcc, exec
	s_or_b64 s[20:21], s[20:21], s[22:23]
.LBB4_6839:                             ;   in Loop: Header=BB4_6837 Depth=1
	s_andn2_b64 s[18:19], s[18:19], exec
	s_and_b64 s[24:25], s[24:25], exec
	s_mov_b64 s[22:23], -1
	s_or_b64 s[18:19], s[18:19], s[24:25]
	s_and_saveexec_b64 s[24:25], s[20:21]
	s_cbranch_execz .LBB4_6836
; %bb.6840:                             ;   in Loop: Header=BB4_6837 Depth=1
	s_sleep 1
	s_trap 2
	ds_read_b64 v[2:3], v0
	s_andn2_b64 s[18:19], s[18:19], exec
	s_waitcnt lgkmcnt(0)
	v_cmp_ge_u64_e32 vcc, v[2:3], v[0:1]
	s_orn2_b64 s[22:23], vcc, exec
	s_branch .LBB4_6836
.LBB4_6841:
	s_or_b64 exec, exec, s[14:15]
	s_and_saveexec_b64 s[14:15], s[16:17]
	s_xor_b64 s[14:15], exec, s[14:15]
	s_cbranch_execz .LBB4_6843
; %bb.6842:
	v_mov_b32_e32 v0, 1
	ds_write_b32 v0, v0
	s_trap 2
.LBB4_6843:
	s_or_b64 exec, exec, s[12:13]
	;;#ASMSTART
	s_wakeup
	;;#ASMEND
.LBB4_6844:
	s_or_b64 exec, exec, s[10:11]
.LBB4_6845:
	s_andn2_saveexec_b64 s[6:7], s[6:7]
	s_cbranch_execz .LBB4_6847
; %bb.6846:
	s_waitcnt lgkmcnt(0)
	buffer_wbinvl1_vol
	s_barrier
.LBB4_6847:
	s_or_b64 exec, exec, s[4:5]
.LBB4_6848:
	s_andn2_saveexec_b64 s[26:27], s[26:27]
	s_cbranch_execz .LBB4_6850
; %bb.6849:
	s_getpc_b64 s[4:5]
	s_add_u32 s4, s4, __PRETTY_FUNCTION__._ZN10PrimitivesI14__hip_fp8_e4m313FuncPreMulSumIS0_E12FanSymmetricILi1EELi0E11ProtoSimpleILi1ELi1ELi0ELi2ELi0ELi0EELi0ELb0ELi0ELi0ELi0EEC2EiiPKiS9_PKvPvmhhhP15ncclDevWorkCollP14ncclDevWorkP2pii@rel32@lo+4
	s_addc_u32 s5, s5, __PRETTY_FUNCTION__._ZN10PrimitivesI14__hip_fp8_e4m313FuncPreMulSumIS0_E12FanSymmetricILi1EELi0E11ProtoSimpleILi1ELi1ELi0ELi2ELi0ELi0EELi0ELb0ELi0ELi0ELi0EEC2EiiPKiS9_PKvPvmhhhP15ncclDevWorkCollP14ncclDevWorkP2pii@rel32@hi+12
	v_mov_b32_e32 v0, s4
	v_mov_b32_e32 v1, s5
	s_getpc_b64 s[6:7]
	s_add_u32 s6, s6, __assert_fail@rel32@lo+4
	s_addc_u32 s7, s7, __assert_fail@rel32@hi+12
	s_swappc_b64 s[30:31], s[6:7]
	; divergent unreachable
.LBB4_6850:
	s_or_b64 exec, exec, s[26:27]
	buffer_load_dword a48, off, s[0:3], s33 ; 4-byte Folded Reload
	buffer_load_dword a47, off, s[0:3], s33 offset:4 ; 4-byte Folded Reload
	buffer_load_dword a46, off, s[0:3], s33 offset:8 ; 4-byte Folded Reload
	;; [unrolled: 1-line block ×31, first 2 shown]
	v_readlane_b32 s30, v63, 48
	v_readlane_b32 s31, v63, 49
	v_readlane_b32 s81, v63, 47
	v_readlane_b32 s80, v63, 46
	v_readlane_b32 s79, v63, 45
	v_readlane_b32 s78, v63, 44
	v_readlane_b32 s77, v63, 43
	v_readlane_b32 s76, v63, 42
	v_readlane_b32 s75, v63, 41
	v_readlane_b32 s74, v63, 40
	v_readlane_b32 s73, v63, 39
	v_readlane_b32 s72, v63, 38
	v_readlane_b32 s71, v63, 37
	v_readlane_b32 s70, v63, 36
	v_readlane_b32 s69, v63, 35
	v_readlane_b32 s68, v63, 34
	v_readlane_b32 s67, v63, 33
	v_readlane_b32 s66, v63, 32
	v_readlane_b32 s65, v63, 31
	v_readlane_b32 s64, v63, 30
	v_readlane_b32 s63, v63, 29
	v_readlane_b32 s62, v63, 28
	v_readlane_b32 s61, v63, 27
	v_readlane_b32 s60, v63, 26
	v_readlane_b32 s59, v63, 25
	v_readlane_b32 s58, v63, 24
	v_readlane_b32 s57, v63, 23
	v_readlane_b32 s56, v63, 22
	v_readlane_b32 s55, v63, 21
	v_readlane_b32 s54, v63, 20
	v_readlane_b32 s53, v63, 19
	v_readlane_b32 s52, v63, 18
	v_readlane_b32 s51, v63, 17
	v_readlane_b32 s50, v63, 16
	v_readlane_b32 s49, v63, 15
	v_readlane_b32 s48, v63, 14
	v_readlane_b32 s47, v63, 13
	v_readlane_b32 s46, v63, 12
	v_readlane_b32 s45, v63, 11
	v_readlane_b32 s44, v63, 10
	v_readlane_b32 s43, v63, 9
	v_readlane_b32 s42, v63, 8
	v_readlane_b32 s41, v63, 7
	v_readlane_b32 s40, v63, 6
	v_readlane_b32 s39, v63, 5
	v_readlane_b32 s38, v63, 4
	v_readlane_b32 s37, v63, 3
	v_readlane_b32 s36, v63, 2
	v_readlane_b32 s35, v63, 1
	v_readlane_b32 s34, v63, 0
	v_readlane_b32 s4, v63, 50
	s_or_saveexec_b64 s[6:7], -1
	buffer_load_dword v63, off, s[0:3], s33 offset:132 ; 4-byte Folded Reload
	s_mov_b64 exec, s[6:7]
	s_addk_i32 s32, 0xdc00
	s_mov_b32 s33, s4
	s_waitcnt vmcnt(0) lgkmcnt(0)
	s_setpc_b64 s[30:31]
.Lfunc_end4:
	.size	_ZN12_GLOBAL__N_17runRingI14__hip_fp8_e4m313FuncPreMulSumIS1_E11ProtoSimpleILi1ELi1ELi0ELi2ELi0ELi0EELi0ELi2ELi0EEEviiP15ncclDevWorkColl, .Lfunc_end4-_ZN12_GLOBAL__N_17runRingI14__hip_fp8_e4m313FuncPreMulSumIS1_E11ProtoSimpleILi1ELi1ELi0ELi2ELi0ELi0EELi0ELi2ELi0EEEviiP15ncclDevWorkColl
                                        ; -- End function
	.section	.AMDGPU.csdata,"",@progbits
; Function info:
; codeLenInByte = 219160
; NumSgprs: 88
; NumVgprs: 64
; NumAgprs: 49
; TotalNumVgprs: 113
; ScratchSize: 208
; MemoryBound: 1
	.text
	.p2align	2                               ; -- Begin function _Z53ncclDevFunc_Reduce_RING_SIMPLE_PreMulSum_f8e4m3_0_0_2v
	.type	_Z53ncclDevFunc_Reduce_RING_SIMPLE_PreMulSum_f8e4m3_0_0_2v,@function
_Z53ncclDevFunc_Reduce_RING_SIMPLE_PreMulSum_f8e4m3_0_0_2v: ; @_Z53ncclDevFunc_Reduce_RING_SIMPLE_PreMulSum_f8e4m3_0_0_2v
; %bb.0:
	s_waitcnt vmcnt(0) expcnt(0) lgkmcnt(0)
	s_mov_b32 s4, s33
	s_mov_b32 s33, s32
	s_or_saveexec_b64 s[6:7], -1
	buffer_store_dword v43, off, s[0:3], s33 offset:16 ; 4-byte Folded Spill
	s_mov_b64 exec, s[6:7]
	v_writelane_b32 v43, s4, 60
	s_addk_i32 s32, 0x800
	buffer_store_dword v40, off, s[0:3], s33 offset:12 ; 4-byte Folded Spill
	buffer_store_dword v41, off, s[0:3], s33 offset:8 ; 4-byte Folded Spill
	;; [unrolled: 1-line block ×3, first 2 shown]
	buffer_store_dword v63, off, s[0:3], s33 ; 4-byte Folded Spill
	v_writelane_b32 v43, s34, 0
	v_writelane_b32 v43, s35, 1
	;; [unrolled: 1-line block ×60, first 2 shown]
	s_trap 2
	ds_read_b32 v0, v0
	v_mov_b32_e32 v40, v31
	v_and_b32_e32 v41, 0x3ff, v40
	s_mov_b32 s86, s12
	s_mov_b64 s[84:85], s[8:9]
	s_waitcnt lgkmcnt(0)
	v_cmp_lt_i32_e32 vcc, v41, v0
	s_and_saveexec_b64 s[4:5], vcc
	s_cbranch_execz .LBB5_5
; %bb.1:
	s_load_dword s6, s[84:85], 0x0
	v_mov_b32_e32 v1, 0
	s_mov_b32 s10, 0
	v_mov_b32_e32 v4, v41
                                        ; implicit-def: $vgpr2
	s_waitcnt lgkmcnt(0)
	s_cmp_lt_u32 s86, s6
	s_cselect_b32 s6, 12, 18
	s_add_u32 s6, s84, s6
	s_addc_u32 s7, s85, 0
	global_load_ushort v1, v1, s[6:7]
	s_trap 2
	ds_read_b32 v3, v0
	s_mov_b64 s[6:7], 0
	s_waitcnt vmcnt(0) lgkmcnt(0)
	v_mul_lo_u32 v3, v3, v1
	s_branch .LBB5_3
.LBB5_2:                                ;   in Loop: Header=BB5_3 Depth=1
	s_or_b64 exec, exec, s[8:9]
	v_add_u32_e32 v4, v4, v1
	v_cmp_ge_i32_e32 vcc, v4, v0
	s_or_b64 s[6:7], vcc, s[6:7]
	v_add_u32_e32 v2, v2, v3
	s_andn2_b64 exec, exec, s[6:7]
	s_cbranch_execz .LBB5_5
.LBB5_3:                                ; =>This Inner Loop Header: Depth=1
	ds_read_b32 v5, v2
	s_waitcnt lgkmcnt(0)
	v_and_b32_e32 v5, 0x1000000, v5
	v_cmp_ne_u32_e32 vcc, 0, v5
	s_and_saveexec_b64 s[8:9], vcc
	s_cbranch_execz .LBB5_2
; %bb.4:                                ;   in Loop: Header=BB5_3 Depth=1
	ds_read_b64 v[6:7], v2 offset:104
	s_waitcnt lgkmcnt(0)
	flat_load_ubyte v5, v[6:7]
	v_mov_b32_e32 v7, s10
	s_waitcnt vmcnt(0) lgkmcnt(0)
	v_and_b32_e32 v6, 0xffff, v5
	ds_write_b64 v2, v[6:7] offset:104
	s_branch .LBB5_2
.LBB5_5:
	s_or_b64 exec, exec, s[4:5]
	s_waitcnt lgkmcnt(0)
	s_barrier
	s_trap 2
	ds_read_b32 v0, v0
	s_waitcnt lgkmcnt(0)
	v_cmp_gt_i32_e32 vcc, 1, v0
	s_cbranch_vccnz .LBB5_13
; %bb.6:
	s_mov_b32 s87, 0
	s_mov_b64 s[88:89], src_shared_base
	v_mov_b32_e32 v42, 6
	s_branch .LBB5_8
.LBB5_7:                                ;   in Loop: Header=BB5_8 Depth=1
	s_or_b64 exec, exec, s[90:91]
	s_trap 2
	ds_read_b32 v0, v0
	s_add_i32 s87, s87, 1
	s_waitcnt lgkmcnt(0)
	v_cmp_lt_i32_e32 vcc, s87, v0
	s_cbranch_vccz .LBB5_13
.LBB5_8:                                ; =>This Inner Loop Header: Depth=1
	s_trap 2
	ds_read_b32 v0, v0
	s_cmp_eq_u32 s87, 0
	s_cbranch_scc1 .LBB5_11
; %bb.9:                                ;   in Loop: Header=BB5_8 Depth=1
	s_trap 2
	s_waitcnt lgkmcnt(0)
	ds_read_b32 v1, v0
	s_waitcnt lgkmcnt(0)
	v_xor_b32_e32 v1, v1, v0
	v_and_b32_e32 v1, 0xff0000, v1
	v_cmp_eq_u32_e32 vcc, 0, v1
	s_cbranch_vccnz .LBB5_11
; %bb.10:                               ;   in Loop: Header=BB5_8 Depth=1
	s_barrier
	ds_read_b32 v0, v0
.LBB5_11:                               ;   in Loop: Header=BB5_8 Depth=1
	s_waitcnt lgkmcnt(0)
	v_lshlrev_b32_sdwa v1, v42, v0 dst_sel:DWORD dst_unused:UNUSED_PAD src0_sel:DWORD src1_sel:BYTE_2
	v_cmp_lt_u32_e32 vcc, v41, v1
	s_and_saveexec_b64 s[90:91], vcc
	s_cbranch_execz .LBB5_7
; %bb.12:                               ;   in Loop: Header=BB5_8 Depth=1
	s_mov_b64 s[8:9], s[84:85]
	s_mov_b32 s12, s86
	v_mov_b32_e32 v31, v40
	v_mov_b32_e32 v0, v41
	;; [unrolled: 1-line block ×3, first 2 shown]
	s_getpc_b64 s[4:5]
	s_add_u32 s4, s4, _ZN12_GLOBAL__N_17runRingI14__hip_fp8_e4m313FuncPreMulSumIS1_E11ProtoSimpleILi1ELi1ELi0ELi2ELi0ELi0EELi0ELi2ELi0EEEviiP15ncclDevWorkColl@rel32@lo+4
	s_addc_u32 s5, s5, _ZN12_GLOBAL__N_17runRingI14__hip_fp8_e4m313FuncPreMulSumIS1_E11ProtoSimpleILi1ELi1ELi0ELi2ELi0ELi0EELi0ELi2ELi0EEEviiP15ncclDevWorkColl@rel32@hi+12
	s_swappc_b64 s[30:31], s[4:5]
	s_branch .LBB5_7
.LBB5_13:
	buffer_load_dword v63, off, s[0:3], s33 ; 4-byte Folded Reload
	buffer_load_dword v42, off, s[0:3], s33 offset:4 ; 4-byte Folded Reload
	buffer_load_dword v41, off, s[0:3], s33 offset:8 ; 4-byte Folded Reload
	;; [unrolled: 1-line block ×3, first 2 shown]
	v_readlane_b32 s30, v43, 58
	v_readlane_b32 s31, v43, 59
	;; [unrolled: 1-line block ×61, first 2 shown]
	s_or_saveexec_b64 s[6:7], -1
	buffer_load_dword v43, off, s[0:3], s33 offset:16 ; 4-byte Folded Reload
	s_mov_b64 exec, s[6:7]
	s_addk_i32 s32, 0xf800
	s_mov_b32 s33, s4
	s_waitcnt vmcnt(0)
	s_setpc_b64 s[30:31]
.Lfunc_end5:
	.size	_Z53ncclDevFunc_Reduce_RING_SIMPLE_PreMulSum_f8e4m3_0_0_2v, .Lfunc_end5-_Z53ncclDevFunc_Reduce_RING_SIMPLE_PreMulSum_f8e4m3_0_0_2v
                                        ; -- End function
	.section	.AMDGPU.csdata,"",@progbits
; Function info:
; codeLenInByte = 1568
; NumSgprs: 96
; NumVgprs: 64
; NumAgprs: 49
; TotalNumVgprs: 113
; ScratchSize: 240
; MemoryBound: 0
	.text
	.p2align	2                               ; -- Begin function _ZN12_GLOBAL__N_17runRingI14__hip_fp8_e4m313FuncPreMulSumIS1_E11ProtoSimpleILi1ELi1ELi0ELi4ELi0ELi0EELi0ELi4ELi0EEEviiP15ncclDevWorkColl
	.type	_ZN12_GLOBAL__N_17runRingI14__hip_fp8_e4m313FuncPreMulSumIS1_E11ProtoSimpleILi1ELi1ELi0ELi4ELi0ELi0EELi0ELi4ELi0EEEviiP15ncclDevWorkColl,@function
_ZN12_GLOBAL__N_17runRingI14__hip_fp8_e4m313FuncPreMulSumIS1_E11ProtoSimpleILi1ELi1ELi0ELi4ELi0ELi0EELi0ELi4ELi0EEEviiP15ncclDevWorkColl: ; @_ZN12_GLOBAL__N_17runRingI14__hip_fp8_e4m313FuncPreMulSumIS1_E11ProtoSimpleILi1ELi1ELi0ELi4ELi0ELi0EELi0ELi4ELi0EEEviiP15ncclDevWorkColl
; %bb.0:
	s_waitcnt vmcnt(0) expcnt(0) lgkmcnt(0)
	s_mov_b32 s4, s33
	s_mov_b32 s33, s32
	s_or_saveexec_b64 s[6:7], -1
	buffer_store_dword v63, off, s[0:3], s33 offset:212 ; 4-byte Folded Spill
	s_mov_b64 exec, s[6:7]
	v_writelane_b32 v63, s4, 50
	s_addk_i32 s32, 0x3800
	buffer_store_dword v40, off, s[0:3], s33 offset:132 ; 4-byte Folded Spill
	buffer_store_dword v41, off, s[0:3], s33 offset:128 ; 4-byte Folded Spill
	;; [unrolled: 1-line block ×33, first 2 shown]
	buffer_store_dword a50, off, s[0:3], s33 ; 4-byte Folded Spill
	v_writelane_b32 v63, s34, 0
	v_writelane_b32 v63, s35, 1
	;; [unrolled: 1-line block ×50, first 2 shown]
	s_trap 2
	ds_read_b64 v[14:15], v0
	ds_read_b32 v4, v0
	v_accvgpr_write_b32 a0, v1
	v_accvgpr_write_b32 a3, v0
	flat_load_ushort v17, v[2:3] offset:8
	flat_load_dwordx2 v[8:9], v[2:3]
	s_waitcnt lgkmcnt(0)
	v_ashrrev_i32_e32 v1, 31, v15
	v_mov_b32_e32 v0, v15
	v_lshlrev_b64 v[0:1], 2, v[0:1]
	v_add_co_u32_e32 v0, vcc, v14, v0
	v_addc_co_u32_e32 v1, vcc, v15, v1, vcc
	v_add_co_u32_e32 v0, vcc, -4, v0
	v_addc_co_u32_e32 v1, vcc, -1, v1, vcc
	flat_load_dword v1, v[0:1]
	v_accvgpr_write_b32 a1, v31
                                        ; implicit-def: $vgpr32_vgpr33
                                        ; implicit-def: $vgpr18_vgpr19
                                        ; implicit-def: $agpr8_agpr9
	s_waitcnt vmcnt(0)
	v_mov_b32_e32 v16, v9
	v_cmp_ne_u32_sdwa s[4:5], v8, v4 src0_sel:BYTE_0 src1_sel:DWORD
	s_and_saveexec_b64 s[6:7], s[4:5]
	s_xor_b64 s[4:5], exec, s[6:7]
	s_cbranch_execz .LBB6_6
; %bb.1:
	v_not_b32_sdwa v0, v8 dst_sel:DWORD dst_unused:UNUSED_PAD src0_sel:BYTE_0
	v_cmp_ne_u32_sdwa s[6:7], v8, v4 src0_sel:BYTE_1 src1_sel:DWORD
                                        ; implicit-def: $vgpr32_vgpr33
                                        ; implicit-def: $vgpr18_vgpr19
                                        ; implicit-def: $agpr8_agpr9
	s_and_saveexec_b64 s[10:11], s[6:7]
	s_xor_b64 s[6:7], exec, s[10:11]
	s_cbranch_execz .LBB6_3
; %bb.2:
	flat_load_dwordx4 v[6:9], v[2:3] offset:72
	flat_load_dwordx2 v[10:11], v[2:3] offset:96
	v_add_u32_e32 v0, v4, v0
	v_ashrrev_i32_e32 v4, 31, v0
	s_waitcnt vmcnt(0) lgkmcnt(0)
	v_mul_lo_u32 v4, v8, v4
	v_mad_u64_u32 v[6:7], s[10:11], v8, v0, v[6:7]
	v_mul_lo_u32 v0, v9, v0
	v_add3_u32 v7, v0, v7, v4
	v_accvgpr_write_b32 a9, v7
	v_lshrrev_b64 v[32:33], 12, v[10:11]
	v_accvgpr_write_b32 a8, v6
	v_pk_mov_b32 v[18:19], v[8:9], v[8:9] op_sel:[0,1]
                                        ; implicit-def: $vgpr8
                                        ; implicit-def: $vgpr0
.LBB6_3:
	s_andn2_saveexec_b64 s[6:7], s[6:7]
	s_cbranch_execz .LBB6_5
; %bb.4:
	flat_load_dwordx4 v[4:7], v[2:3] offset:72
	flat_load_dwordx4 v[18:21], v[2:3] offset:88
	v_add_u32_sdwa v0, v8, v0 dst_sel:DWORD dst_unused:UNUSED_PAD src0_sel:BYTE_1 src1_sel:DWORD
	v_ashrrev_i32_e32 v8, 31, v0
	s_waitcnt vmcnt(0) lgkmcnt(0)
	v_mul_lo_u32 v8, v6, v8
	v_mad_u64_u32 v[4:5], s[10:11], v6, v0, v[4:5]
	v_mul_lo_u32 v0, v7, v0
	v_add3_u32 v5, v0, v5, v8
	v_accvgpr_write_b32 a9, v5
	v_accvgpr_write_b32 a8, v4
	v_lshrrev_b32_e32 v32, 1, v21
.LBB6_5:
	s_or_b64 exec, exec, s[6:7]
.LBB6_6:
	s_andn2_saveexec_b64 s[4:5], s[4:5]
	s_cbranch_execz .LBB6_8
; %bb.7:
	flat_load_dwordx2 v[4:5], v[2:3] offset:96
	flat_load_dwordx2 v[18:19], v[2:3] offset:72
	s_waitcnt vmcnt(0) lgkmcnt(0)
	v_lshlrev_b64 v[32:33], 9, v[4:5]
	v_pk_mov_b32 v[4:5], 0, 0
	v_accvgpr_write_b32 a9, v5
	v_accvgpr_write_b32 a8, v4
.LBB6_8:
	s_or_b64 exec, exec, s[4:5]
	s_trap 2
	ds_read_b64 v[4:5], v0
	v_accvgpr_read_b32 v6, a0
	s_waitcnt lgkmcnt(0)
	v_cmp_ne_u32_e32 vcc, -1, v4
	v_cndmask_b32_e64 v0, 0, 1, vcc
	v_cmp_ne_u32_e32 vcc, -1, v5
	v_addc_co_u32_e64 v4, s[4:5], 0, v0, vcc
	v_lshlrev_b32_e32 v5, 1, v4
	v_cmp_le_i32_e64 s[4:5], v5, v6
	s_and_saveexec_b64 s[6:7], s[4:5]
	s_xor_b64 s[26:27], exec, s[6:7]
	s_cbranch_execnz .LBB6_9
; %bb.8579:
	s_getpc_b64 s[82:83]
.Lpost_getpc4:
	s_add_u32 s82, s82, (.LBB6_8576-.Lpost_getpc4)&4294967295
	s_addc_u32 s83, s83, (.LBB6_8576-.Lpost_getpc4)>>32
	s_setpc_b64 s[82:83]
.LBB6_9:
	flat_load_dwordx4 v[10:13], v[2:3] offset:16
	flat_load_dwordx2 v[34:35], v[2:3] offset:104
	s_trap 2
	s_load_dword s4, s[8:9], 0x0
	v_mov_b32_e32 v2, 0
	s_waitcnt lgkmcnt(0)
	s_cmp_lt_u32 s12, s4
	s_cselect_b32 s4, 12, 18
	s_add_u32 s4, s8, s4
	s_addc_u32 s5, s9, 0
	global_load_ushort a2, v2, s[4:5]
	ds_read_b32 v2, v0
	s_waitcnt lgkmcnt(0)
	v_readfirstlane_b32 s70, v2
	v_accvgpr_read_b32 v2, a3
	v_cmp_ge_i32_e64 s[4:5], v2, v0
	v_mov_b32_e32 v2, 4
	s_and_saveexec_b64 s[6:7], s[4:5]
	s_cbranch_execz .LBB6_19
; %bb.10:
	v_accvgpr_read_b32 v2, a3
	v_cmp_le_u32_e64 s[4:5], v4, v2
                                        ; implicit-def: $vgpr2
	s_and_saveexec_b64 s[10:11], s[4:5]
	s_xor_b64 s[4:5], exec, s[10:11]
	s_cbranch_execz .LBB6_16
; %bb.11:
	v_cndmask_b32_e64 v2, 0, 1, vcc
	v_accvgpr_read_b32 v3, a0
	v_sub_u32_e32 v2, v3, v2
	v_accvgpr_read_b32 v3, a3
	v_cmp_ge_u32_e32 vcc, v3, v2
                                        ; implicit-def: $sgpr12
	s_and_saveexec_b64 s[10:11], vcc
	s_xor_b64 s[10:11], exec, s[10:11]
; %bb.12:
	s_mov_b32 s12, 16
                                        ; implicit-def: $vgpr4
; %bb.13:
	s_or_saveexec_b64 s[10:11], s[10:11]
	v_mov_b32_e32 v2, s12
	s_xor_b64 exec, exec, s[10:11]
; %bb.14:
	v_accvgpr_read_b32 v2, a0
	v_sub_u32_e32 v2, v2, v4
	v_accvgpr_read_b32 v3, a3
	v_cmp_ge_i32_e32 vcc, v3, v2
	v_cndmask_b32_e64 v2, 0, 1, vcc
	v_lshlrev_b32_e32 v2, 5, v2
; %bb.15:
	s_or_b64 exec, exec, s[10:11]
.LBB6_16:
	s_andn2_saveexec_b64 s[4:5], s[4:5]
; %bb.17:
	v_mov_b32_e32 v2, 8
; %bb.18:
	s_or_b64 exec, exec, s[4:5]
.LBB6_19:
	s_or_b64 exec, exec, s[6:7]
	v_accvgpr_write_b32 a4, v2
	v_and_b32_e32 v2, 36, v2
	v_cmp_ne_u32_e32 vcc, 0, v2
	v_mov_b32_e32 v2, -1
	s_and_saveexec_b64 s[4:5], vcc
	s_cbranch_execz .LBB6_21
; %bb.20:
	s_trap 2
	ds_read_b32 v2, v0
.LBB6_21:
	s_or_b64 exec, exec, s[4:5]
	v_accvgpr_read_b32 v3, a4
	v_and_b32_e32 v3, 24, v3
	v_cmp_ne_u32_e64 s[4:5], 0, v3
	s_and_saveexec_b64 s[6:7], s[4:5]
	s_cbranch_execz .LBB6_23
; %bb.22:
	s_trap 2
	s_waitcnt lgkmcnt(0)
	ds_read_b32 v2, v0
.LBB6_23:
	s_or_b64 exec, exec, s[6:7]
	v_pk_mov_b32 v[6:7], 0, 0
	v_lshrrev_b64 v[4:5], 31, v[16:17]
	v_accvgpr_write_b32 a13, v7
	v_and_b32_e32 v4, 3, v4
	s_waitcnt lgkmcnt(0)
	v_ashrrev_i32_e32 v3, 31, v2
	v_accvgpr_write_b32 a12, v6
	v_pk_mov_b32 v[20:21], v[6:7], v[6:7] op_sel:[0,1]
                                        ; implicit-def: $agpr10_agpr11
                                        ; implicit-def: $agpr20
                                        ; implicit-def: $agpr24_agpr25
                                        ; implicit-def: $agpr22_agpr23
                                        ; implicit-def: $agpr18_agpr19
	s_and_saveexec_b64 s[4:5], vcc
	s_cbranch_execz .LBB6_33
; %bb.24:
	s_trap 2
	ds_read_b64 v[6:7], v0
	v_lshlrev_b64 v[8:9], 3, v[2:3]
	v_and_b32_e32 v5, 0xffff, v4
	s_movk_i32 s6, 0xa8
                                        ; implicit-def: $agpr10_agpr11
	s_waitcnt lgkmcnt(0)
	v_add_co_u32_e32 v6, vcc, v6, v8
	v_addc_co_u32_e32 v7, vcc, v7, v9, vcc
	flat_load_dwordx2 v[6:7], v[6:7]
	s_waitcnt vmcnt(0) lgkmcnt(0)
	v_mad_u64_u32 v[6:7], s[6:7], v5, s6, v[6:7]
	flat_load_dword v5, v[6:7] offset:640
	v_add_co_u32_e32 v20, vcc, 0x1f8, v6
	v_addc_co_u32_e32 v21, vcc, 0, v7, vcc
	s_waitcnt vmcnt(0) lgkmcnt(0)
	v_cmp_eq_u32_e32 vcc, 1, v5
	s_and_saveexec_b64 s[6:7], vcc
	s_cbranch_execz .LBB6_26
; %bb.25:
	flat_load_dwordx2 v[8:9], v[20:21] offset:144
	v_accvgpr_read_b32 v5, a4
	v_or_b32_e32 v5, 0x2000, v5
	v_accvgpr_write_b32 a4, v5
	s_waitcnt vmcnt(0) lgkmcnt(0)
	flat_load_dwordx2 v[6:7], v[8:9]
	s_trap 2
	v_accvgpr_write_b32 a11, v9
	v_accvgpr_write_b32 a10, v8
	s_waitcnt vmcnt(0) lgkmcnt(0)
	ds_write_b64 v0, v[6:7]
	flat_load_dwordx2 v[6:7], v[8:9] offset:8
	s_waitcnt vmcnt(0) lgkmcnt(0)
	ds_write_b64 v0, v[6:7]
	flat_load_dwordx2 v[6:7], v[8:9] offset:16
	s_waitcnt vmcnt(0) lgkmcnt(0)
	ds_write_b64 v0, v[6:7]
.LBB6_26:
	s_or_b64 exec, exec, s[6:7]
	flat_load_dwordx2 v[22:23], v[20:21] offset:104
	v_accvgpr_read_b32 v5, a4
	v_accvgpr_write_b32 a12, v20
	v_and_b32_e32 v5, 32, v5
	v_accvgpr_write_b32 a13, v21
	v_cmp_ne_u32_e32 vcc, 0, v5
                                        ; implicit-def: $agpr18_agpr19
	s_and_saveexec_b64 s[6:7], vcc
	s_cbranch_execz .LBB6_28
; %bb.27:
	v_accvgpr_read_b32 v6, a12
	v_accvgpr_read_b32 v7, a13
	flat_load_dwordx2 v[6:7], v[6:7] offset:56
	s_waitcnt vmcnt(0) lgkmcnt(0)
	v_accvgpr_write_b32 a19, v7
	v_accvgpr_write_b32 a18, v6
	flat_store_dwordx2 v[6:7], v[22:23]
.LBB6_28:
	s_or_b64 exec, exec, s[6:7]
	v_accvgpr_read_b32 v5, a4
	v_and_b32_e32 v5, 4, v5
	v_cmp_ne_u32_e32 vcc, 0, v5
	v_pk_mov_b32 v[20:21], 0, 0
                                        ; implicit-def: $agpr20
                                        ; implicit-def: $agpr24_agpr25
                                        ; implicit-def: $agpr22_agpr23
	s_and_saveexec_b64 s[6:7], vcc
	s_cbranch_execz .LBB6_32
; %bb.29:
	v_accvgpr_read_b32 v5, a4
	v_and_b32_e32 v5, 0x800, v5
	v_cmp_eq_u32_e32 vcc, 0, v5
	s_and_saveexec_b64 s[10:11], vcc
	s_cbranch_execz .LBB6_31
; %bb.30:
	s_trap 2
	ds_write_b64 v0, a[12:13]
.LBB6_31:
	s_or_b64 exec, exec, s[10:11]
	v_accvgpr_read_b32 v6, a12
	v_accvgpr_read_b32 v7, a13
	flat_load_dwordx2 v[8:9], v[6:7] offset:48
	s_waitcnt vmcnt(0) lgkmcnt(0)
	flat_load_dwordx2 a[24:25], v[8:9] glc
	flat_load_dwordx2 v[20:21], v[6:7] offset:96
	flat_load_dword a20, v[6:7] offset:72
	flat_load_dwordx2 a[22:23], v[6:7] offset:16
	v_accvgpr_read_b32 v6, a4
	v_or_b32_e32 v5, 0x100, v6
	v_accvgpr_write_b32 a19, v9
	v_accvgpr_write_b32 a18, v8
	s_waitcnt vmcnt(0) lgkmcnt(0)
	v_cmp_eq_u64_e32 vcc, 0, v[20:21]
	v_cndmask_b32_e32 v6, v5, v6, vcc
	v_accvgpr_write_b32 a4, v6
.LBB6_32:
	s_or_b64 exec, exec, s[6:7]
.LBB6_33:
	s_or_b64 exec, exec, s[4:5]
	v_accvgpr_read_b32 v5, a4
	v_and_b32_e32 v5, 24, v5
	v_cmp_ne_u32_e32 vcc, 0, v5
                                        ; implicit-def: $agpr30_agpr31
	s_and_saveexec_b64 s[4:5], vcc
	s_cbranch_execz .LBB6_41
; %bb.34:
	s_trap 2
	ds_read_b64 v[6:7], v0
	v_lshlrev_b64 v[2:3], 3, v[2:3]
	v_and_b32_e32 v4, 0xffff, v4
	s_movk_i32 s6, 0xa8
                                        ; implicit-def: $agpr30_agpr31
	s_waitcnt lgkmcnt(0)
	v_add_co_u32_e32 v2, vcc, v6, v2
	v_addc_co_u32_e32 v3, vcc, v7, v3, vcc
	flat_load_dwordx2 v[2:3], v[2:3]
	s_waitcnt vmcnt(0) lgkmcnt(0)
	v_mad_u64_u32 v[2:3], s[6:7], v4, s6, v[2:3]
	flat_load_dwordx4 v[20:23], v[2:3] offset:96
	v_accvgpr_write_b32 a13, v3
	v_accvgpr_write_b32 a12, v2
	v_accvgpr_read_b32 v3, a4
	v_or_b32_e32 v2, 0x100, v3
	s_waitcnt vmcnt(0) lgkmcnt(0)
	v_cmp_eq_u64_e32 vcc, 0, v[20:21]
	v_cndmask_b32_e32 v3, v2, v3, vcc
	v_and_b32_e32 v2, 16, v3
	v_accvgpr_write_b32 a4, v3
	v_cmp_ne_u32_e32 vcc, 0, v2
	s_and_saveexec_b64 s[6:7], vcc
	s_cbranch_execz .LBB6_36
; %bb.35:
	v_accvgpr_read_b32 v2, a12
	v_accvgpr_read_b32 v3, a13
	flat_load_dwordx2 a[30:31], v[2:3] offset:120
	flat_load_dwordx2 a[18:19], v[2:3] offset:48
	;; [unrolled: 1-line block ×3, first 2 shown]
.LBB6_36:
	s_or_b64 exec, exec, s[6:7]
	v_accvgpr_read_b32 v2, a4
	v_and_b32_e32 v2, 8, v2
	v_cmp_ne_u32_e32 vcc, 0, v2
	s_and_saveexec_b64 s[6:7], vcc
	s_cbranch_execz .LBB6_40
; %bb.37:
	v_accvgpr_read_b32 v2, a4
	v_and_b32_e32 v2, 0x800, v2
	v_cmp_eq_u32_e32 vcc, 0, v2
	s_and_saveexec_b64 s[10:11], vcc
	s_cbranch_execz .LBB6_39
; %bb.38:
	s_trap 2
	ds_write_b64 v0, a[12:13]
.LBB6_39:
	s_or_b64 exec, exec, s[10:11]
	v_accvgpr_read_b32 v2, a12
	v_accvgpr_read_b32 v3, a13
	flat_load_dwordx2 v[4:5], v[2:3] offset:56
	s_waitcnt vmcnt(0) lgkmcnt(0)
	flat_load_dwordx2 a[24:25], v[4:5] glc
	flat_load_dword a20, v[2:3] offset:72
	flat_load_dwordx2 a[22:23], v[2:3] offset:16
	v_accvgpr_write_b32 a19, v5
	v_accvgpr_write_b32 a18, v4
.LBB6_40:
	s_or_b64 exec, exec, s[6:7]
.LBB6_41:
	s_or_b64 exec, exec, s[4:5]
	v_accvgpr_read_b32 v2, a3
	v_cmp_eq_u32_e64 s[4:5], 0, v2
	s_and_saveexec_b64 s[6:7], s[4:5]
	s_cbranch_execz .LBB6_43
; %bb.42:
	s_waitcnt vmcnt(0)
	v_mov_b32_e32 v2, v12
	v_mov_b32_e32 v3, v13
	;; [unrolled: 1-line block ×4, first 2 shown]
	ds_write2_b64 v0, v[2:3], v[4:5] offset1:1
	v_mov_b32_e32 v2, 0
	v_mov_b32_e32 v3, v2
	s_trap 2
	ds_write_b64 v0, v[2:3]
	ds_write_b64 v0, v[34:35]
.LBB6_43:
	s_or_b64 exec, exec, s[6:7]
	v_mov_b32_e32 v3, 0
	v_and_b32_e32 v2, 0x3ffffe00, v32
	v_accvgpr_write_b32 a29, v3
	v_accvgpr_write_b32 a28, v2
	v_bfe_u32 v2, v16, 1, 30
	v_cmp_ne_u32_e32 vcc, v1, v2
                                        ; implicit-def: $agpr26_agpr27
	s_and_saveexec_b64 s[6:7], vcc
	s_xor_b64 s[28:29], exec, s[6:7]
	s_cbranch_execnz .LBB6_44
; %bb.8581:
	s_getpc_b64 s[82:83]
.Lpost_getpc5:
	s_add_u32 s82, s82, (.LBB6_6175-.Lpost_getpc5)&4294967295
	s_addc_u32 s83, s83, (.LBB6_6175-.Lpost_getpc5)>>32
	s_setpc_b64 s[82:83]
.LBB6_44:
	v_cmp_ne_u32_e32 vcc, v14, v2
	v_cmp_ne_u64_e64 s[6:7], 0, v[18:19]
                                        ; implicit-def: $agpr26_agpr27
	s_and_saveexec_b64 s[10:11], vcc
	s_xor_b64 s[30:31], exec, s[10:11]
	s_cbranch_execz .LBB6_3113
; %bb.45:
	v_pk_mov_b32 v[2:3], 0, 0
	v_accvgpr_write_b32 a27, v3
	v_accvgpr_write_b32 a26, v2
	s_and_saveexec_b64 s[34:35], s[6:7]
	s_cbranch_execz .LBB6_3112
; %bb.46:
	v_accvgpr_read_b32 v3, a0
	s_waitcnt vmcnt(0)
	v_accvgpr_read_b32 v1, a2
	v_cmp_ne_u32_sdwa s[36:37], v1, v3 src0_sel:WORD_0 src1_sel:DWORD
	v_accvgpr_read_b32 v1, a1
	v_accvgpr_read_b32 v4, a3
	v_and_b32_e32 v1, 63, v1
	v_cmp_eq_u32_e64 s[14:15], 0, v1
	v_ashrrev_i32_e32 v1, 31, v4
	v_lshrrev_b32_e32 v1, 26, v1
	s_waitcnt lgkmcnt(0)
	v_accvgpr_read_b32 v2, a20
	v_add_u32_e32 v1, v4, v1
	v_ashrrev_i32_e32 v57, 31, v2
	v_and_b32_e32 v2, 0xffffffc0, v1
	v_sub_u32_e32 v2, v4, v2
	v_ashrrev_i32_e32 v56, 6, v1
	v_cmp_le_i32_e64 s[16:17], v2, v0
	v_cmp_lt_i32_e64 s[18:19], v2, v0
	v_lshlrev_b32_e32 v0, 11, v56
	v_lshl_add_u32 v0, v2, 4, v0
	v_lshrrev_b32_e32 v6, 6, v3
	v_accvgpr_write_b32 a34, v0
	v_ashrrev_i32_e32 v1, 31, v0
	v_mov_b32_e32 v0, 0xfffff800
	v_lshl_add_u32 v0, v6, 11, v0
	s_movk_i32 s20, 0x800
	v_accvgpr_write_b32 a35, v1
	v_ashrrev_i32_e32 v1, 31, v0
	v_add_co_u32_e64 v0, s[20:21], s20, v0
	v_accvgpr_write_b32 a36, v0
	v_addc_co_u32_e64 v0, s[20:21], 0, v1, s[20:21]
	v_accvgpr_write_b32 a37, v0
	v_lshlrev_b32_e32 v0, 10, v6
	v_accvgpr_write_b32 a38, v0
	v_add_u32_e32 v0, 0xfffffc00, v0
	s_movk_i32 s20, 0x400
	v_ashrrev_i32_e32 v1, 31, v0
	v_add_co_u32_e64 v0, s[20:21], s20, v0
	v_accvgpr_write_b32 a39, v0
	v_addc_co_u32_e64 v0, s[20:21], 0, v1, s[20:21]
	s_ashr_i32 s10, s70, 31
	v_accvgpr_write_b32 a40, v0
	v_and_b32_e32 v0, 0xffffffc0, v3
	s_lshr_b32 s10, s10, 24
	v_ashrrev_i32_e32 v1, 31, v0
	s_add_i32 s10, s70, s10
	v_accvgpr_write_b32 a42, v0
	v_accvgpr_write_b32 a41, v1
	v_accvgpr_read_b32 v0, a30
	v_pk_mov_b32 v[52:53], 0, 0
	v_accvgpr_write_b32 a14, v20
	s_ashr_i32 s71, s10, 8
	v_cmp_ge_i32_e64 s[10:11], v4, v3
	v_cmp_eq_u32_e32 vcc, 64, v3
	v_cmp_ne_u32_e64 s[12:13], 64, v3
	v_accvgpr_write_b32 a21, v2
	v_accvgpr_read_b32 v1, a31
	s_mov_b32 s46, -1
	v_accvgpr_write_b32 a26, v52
	v_accvgpr_read_b32 v2, a28
	v_accvgpr_write_b32 a15, v21
	v_accvgpr_write_b32 a16, v22
	;; [unrolled: 1-line block ×3, first 2 shown]
	v_mov_b32_e32 v39, 0
	s_movk_i32 s72, 0xffc0
	v_accvgpr_write_b32 a32, v6
	s_mov_b64 s[38:39], 0
	v_cmp_eq_u64_e64 s[20:21], 0, v[0:1]
	s_movk_i32 s73, 0x270e
	s_movk_i32 s74, 0x108
	s_xor_b64 s[40:41], vcc, -1
	s_movk_i32 s75, 0x7f
	s_movk_i32 s76, 0x80
	s_mov_b64 s[42:43], 0x7f800000
	s_mov_b64 s[44:45], 0x43e00001
	s_movk_i32 s77, 0x7a
	s_mov_b32 s47, 0xffffff
	s_mov_b64 s[48:49], 0xffffff
	s_mov_b32 s78, 0xc0c0500
	s_mov_b32 s79, 0x8000
	s_mov_b32 s80, 0x5040c00
	v_bfrev_b32_e32 v31, 60
	v_mov_b32_e32 v20, 0x78
	v_accvgpr_write_b32 a27, v53
	v_accvgpr_read_b32 v3, a29
	s_trap 2
	s_branch .LBB6_49
.LBB6_47:                               ;   in Loop: Header=BB6_49 Depth=1
	s_or_b64 exec, exec, s[22:23]
.LBB6_48:                               ;   in Loop: Header=BB6_49 Depth=1
	s_or_b64 exec, exec, s[24:25]
	v_accvgpr_read_b32 v2, a28
	v_add_co_u32_e32 v52, vcc, v52, v2
	v_accvgpr_read_b32 v19, a7
	v_addc_co_u32_e32 v53, vcc, 0, v53, vcc
	v_accvgpr_read_b32 v18, a6
	v_cmp_ge_u64_e32 vcc, v[52:53], v[18:19]
	v_accvgpr_read_b32 v3, a29
	s_or_b64 s[38:39], vcc, s[38:39]
	s_andn2_b64 exec, exec, s[38:39]
	s_cbranch_execz .LBB6_3111
.LBB6_49:                               ; =>This Loop Header: Depth=1
                                        ;     Child Loop BB6_58 Depth 2
                                        ;     Child Loop BB6_84 Depth 2
	;; [unrolled: 1-line block ×10, first 2 shown]
	v_sub_co_u32_e32 v0, vcc, v18, v52
	v_subb_co_u32_e32 v1, vcc, v19, v53, vcc
	v_cmp_lt_u64_e32 vcc, v[2:3], v[0:1]
	v_cndmask_b32_e64 v3, v1, 0, vcc
	v_cndmask_b32_e32 v2, v0, v2, vcc
	v_add_u32_e32 v0, 15, v2
	v_cmp_eq_u64_e32 vcc, 0, v[2:3]
	v_accvgpr_write_b32 a6, v18
	v_and_b32_e32 v0, 0x7ffffff0, v0
	s_or_b64 s[50:51], s[10:11], vcc
	v_accvgpr_write_b32 a7, v19
	v_max_i32_e32 v14, s71, v0
	v_accvgpr_write_b32 a46, v2
	s_xor_b64 s[22:23], s[50:51], -1
	v_mov_b32_e32 v0, v39
	s_and_saveexec_b64 s[52:53], s[22:23]
	s_cbranch_execz .LBB6_3061
; %bb.50:                               ;   in Loop: Header=BB6_49 Depth=1
	s_and_saveexec_b64 s[22:23], s[4:5]
	s_cbranch_execz .LBB6_52
; %bb.51:                               ;   in Loop: Header=BB6_49 Depth=1
	s_trap 2
	ds_read_b64 v[0:1], v0
	v_accvgpr_read_b32 v2, a8
	v_accvgpr_read_b32 v3, a9
	v_mov_b32_e32 v38, v39
	s_waitcnt lgkmcnt(0)
	v_add_co_u32_e32 v0, vcc, v0, v2
	v_addc_co_u32_e32 v1, vcc, v1, v3, vcc
	v_add_co_u32_e32 v0, vcc, v0, v52
	v_addc_co_u32_e32 v1, vcc, v1, v53, vcc
	ds_write_b64 v0, v[0:1]
	ds_write_b64 v0, v[38:39]
.LBB6_52:                               ;   in Loop: Header=BB6_49 Depth=1
	s_or_b64 exec, exec, s[22:23]
	v_accvgpr_read_b32 v0, a4
	v_and_b32_e32 v0, 12, v0
	v_cmp_ne_u32_e32 vcc, 0, v0
	s_mov_b64 s[24:25], -1
	s_and_saveexec_b64 s[22:23], vcc
	s_cbranch_execz .LBB6_64
; %bb.53:                               ;   in Loop: Header=BB6_49 Depth=1
	v_accvgpr_read_b32 v0, a4
	v_and_b32_e32 v2, 8, v0
	v_accvgpr_read_b32 v0, a24
	v_accvgpr_read_b32 v1, a25
	v_add_co_u32_e32 v0, vcc, v0, v2
	v_accvgpr_read_b32 v4, a14
	v_addc_co_u32_e32 v1, vcc, 0, v1, vcc
	v_accvgpr_read_b32 v6, a16
	v_accvgpr_read_b32 v7, a17
	v_add_co_u32_e32 v10, vcc, 1, v6
	v_addc_co_u32_e32 v11, vcc, 0, v7, vcc
	v_cmp_lt_u64_e32 vcc, v[0:1], v[10:11]
	v_mov_b32_e32 v0, 1
	v_accvgpr_read_b32 v5, a15
	s_and_saveexec_b64 s[24:25], vcc
	s_cbranch_execz .LBB6_63
; %bb.54:                               ;   in Loop: Header=BB6_49 Depth=1
	s_mov_b64 s[54:55], 0
	v_mov_b32_e32 v0, 0
                                        ; implicit-def: $sgpr56_sgpr57
	s_branch .LBB6_58
.LBB6_55:                               ;   in Loop: Header=BB6_58 Depth=2
	s_or_b64 exec, exec, s[64:65]
	v_mov_b32_e32 v1, 0
	s_orn2_b64 s[62:63], s[62:63], exec
.LBB6_56:                               ;   in Loop: Header=BB6_58 Depth=2
	s_or_b64 exec, exec, s[60:61]
	s_andn2_b64 vcc, s[56:57], exec
	s_and_b64 s[56:57], s[62:63], exec
	s_or_b64 s[56:57], vcc, s[56:57]
	v_mov_b32_e32 v0, v1
.LBB6_57:                               ;   in Loop: Header=BB6_58 Depth=2
	s_or_b64 exec, exec, s[58:59]
	s_waitcnt vmcnt(0) lgkmcnt(0)
	v_accvgpr_read_b32 v4, a24
	v_accvgpr_read_b32 v5, a25
	v_add_co_u32_e32 v4, vcc, v4, v2
	v_addc_co_u32_e32 v5, vcc, 0, v5, vcc
	v_cmp_ge_u64_e32 vcc, v[4:5], v[10:11]
	s_xor_b64 s[58:59], s[56:57], -1
	s_or_b64 vcc, s[58:59], vcc
	s_and_b64 vcc, exec, vcc
	s_or_b64 s[54:55], vcc, s[54:55]
	s_andn2_b64 exec, exec, s[54:55]
	s_cbranch_execz .LBB6_62
.LBB6_58:                               ;   Parent Loop BB6_49 Depth=1
                                        ; =>  This Inner Loop Header: Depth=2
	v_accvgpr_read_b32 v4, a18
	v_accvgpr_read_b32 v5, a19
	s_sleep 1
	flat_load_dwordx2 a[24:25], v[4:5] glc
	v_accvgpr_read_b32 v1, a4
	v_and_b32_e32 v1, 64, v1
	v_cmp_eq_u32_e32 vcc, 0, v1
	s_andn2_b64 s[56:57], s[56:57], exec
	s_and_saveexec_b64 s[58:59], vcc
	s_cbranch_execz .LBB6_57
; %bb.59:                               ;   in Loop: Header=BB6_58 Depth=2
	v_add_u32_e32 v1, 1, v0
	v_cmp_lt_i32_e32 vcc, s73, v0
	s_mov_b64 s[62:63], -1
	s_and_saveexec_b64 s[60:61], vcc
	s_cbranch_execz .LBB6_56
; %bb.60:                               ;   in Loop: Header=BB6_58 Depth=2
	s_trap 2
	ds_read_b64 v[0:1], v0
	s_waitcnt vmcnt(0) lgkmcnt(0)
	flat_load_dword v0, v[0:1] glc
	s_waitcnt vmcnt(0) lgkmcnt(0)
	buffer_invl2
	buffer_wbinvl1_vol
	v_cmp_ne_u32_e32 vcc, 0, v0
	s_and_saveexec_b64 s[64:65], vcc
	s_cbranch_execz .LBB6_55
; %bb.61:                               ;   in Loop: Header=BB6_58 Depth=2
	v_accvgpr_read_b32 v1, a4
	v_or_b32_e32 v1, 64, v1
	v_accvgpr_write_b32 a4, v1
	s_xor_b64 s[62:63], exec, -1
	ds_write_b32 v0, v0
	s_trap 2
	s_branch .LBB6_55
.LBB6_62:                               ;   in Loop: Header=BB6_49 Depth=1
	s_or_b64 exec, exec, s[54:55]
	v_accvgpr_read_b32 v0, a4
	v_and_b32_e32 v0, 12, v0
.LBB6_63:                               ;   in Loop: Header=BB6_49 Depth=1
	s_or_b64 exec, exec, s[24:25]
	v_cmp_eq_u32_e32 vcc, 0, v0
	s_orn2_b64 s[24:25], vcc, exec
	;;#ASMSTART
	s_wakeup
	;;#ASMEND
.LBB6_64:                               ;   in Loop: Header=BB6_49 Depth=1
	s_or_b64 exec, exec, s[22:23]
	v_accvgpr_read_b32 v0, a46
	s_xor_b64 s[22:23], s[24:25], -1
	v_min_u32_e32 v14, v14, v0
	s_and_saveexec_b64 s[24:25], s[22:23]
	s_cbranch_execz .LBB6_76
; %bb.65:                               ;   in Loop: Header=BB6_49 Depth=1
	v_accvgpr_read_b32 v0, a4
	v_and_b32_e32 v0, 0x108, v0
	v_cmp_ne_u32_e32 vcc, s74, v0
	v_accvgpr_read_b32 v0, a14
	v_accvgpr_read_b32 v2, a16
	v_and_b32_e32 v2, 7, v2
	v_accvgpr_read_b32 v1, a15
	v_accvgpr_read_b32 v3, a17
	s_and_saveexec_b64 s[22:23], vcc
	s_xor_b64 s[22:23], exec, s[22:23]
	s_andn2_saveexec_b64 s[22:23], s[22:23]
	s_cbranch_execz .LBB6_67
; %bb.66:                               ;   in Loop: Header=BB6_49 Depth=1
	v_accvgpr_read_b32 v4, a14
	v_accvgpr_read_b32 v5, a15
	v_mad_u64_u32 v[0:1], vcc, v2, 24, v[4:5]
	v_mov_b32_e32 v15, v39
	v_accvgpr_read_b32 v6, a16
	v_accvgpr_read_b32 v7, a17
	flat_store_dwordx2 v[0:1], v[14:15] offset:8
.LBB6_67:                               ;   in Loop: Header=BB6_49 Depth=1
	s_or_b64 exec, exec, s[22:23]
	v_accvgpr_read_b32 v0, a4
	v_and_b32_e32 v0, 0x100, v0
	v_cmp_ne_u32_e32 vcc, 0, v0
	s_mov_b64 s[22:23], -1
                                        ; implicit-def: $vgpr10_vgpr11
	s_and_saveexec_b64 s[54:55], vcc
	s_cbranch_execz .LBB6_71
; %bb.68:                               ;   in Loop: Header=BB6_49 Depth=1
	v_accvgpr_read_b32 v4, a14
	v_accvgpr_read_b32 v5, a15
	v_mad_u64_u32 v[12:13], s[22:23], v2, 24, v[4:5]
	v_mov_b32_e32 v0, v13
	v_mad_u64_u32 v[0:1], s[22:23], v39, 24, v[0:1]
	v_mov_b32_e32 v13, v0
	flat_load_dword v0, v[12:13]
	v_accvgpr_read_b32 v6, a16
	v_accvgpr_read_b32 v7, a17
                                        ; implicit-def: $vgpr10_vgpr11
	s_waitcnt vmcnt(0) lgkmcnt(0)
	v_cmp_ne_u32_e32 vcc, 1, v0
	v_cmp_eq_u32_e64 s[22:23], 1, v0
	s_and_saveexec_b64 s[56:57], s[22:23]
	s_cbranch_execz .LBB6_70
; %bb.69:                               ;   in Loop: Header=BB6_49 Depth=1
	flat_load_dword v10, v[12:13] offset:4 glc
	s_waitcnt vmcnt(0) lgkmcnt(0)
	v_ashrrev_i32_e32 v11, 31, v10
.LBB6_70:                               ;   in Loop: Header=BB6_49 Depth=1
	s_or_b64 exec, exec, s[56:57]
	s_orn2_b64 s[22:23], vcc, exec
.LBB6_71:                               ;   in Loop: Header=BB6_49 Depth=1
	s_or_b64 exec, exec, s[54:55]
	s_and_saveexec_b64 vcc, s[22:23]
; %bb.72:                               ;   in Loop: Header=BB6_49 Depth=1
	v_accvgpr_read_b32 v4, a20
	v_mul_lo_u32 v0, v39, v4
	v_mul_lo_u32 v1, v2, v57
	v_mad_u64_u32 v[10:11], s[22:23], v2, v4, 0
	v_add3_u32 v11, v11, v1, v0
; %bb.73:                               ;   in Loop: Header=BB6_49 Depth=1
	s_or_b64 exec, exec, vcc
	v_accvgpr_read_b32 v0, a22
	v_accvgpr_read_b32 v1, a23
	v_add_co_u32_e32 v0, vcc, v0, v10
	v_addc_co_u32_e32 v1, vcc, v1, v11, vcc
	s_trap 2
	ds_write_b64 v0, v[0:1]
	v_accvgpr_read_b32 v0, a4
	v_and_b32_e32 v0, 0x2000, v0
	v_cmp_ne_u32_e32 vcc, 0, v0
	s_and_saveexec_b64 s[22:23], vcc
	s_cbranch_execz .LBB6_75
; %bb.74:                               ;   in Loop: Header=BB6_49 Depth=1
	ds_read_b64 v[0:1], v0 offset:584
	s_waitcnt lgkmcnt(0)
	v_add_co_u32_e32 v0, vcc, 1, v0
	v_addc_co_u32_e32 v1, vcc, 0, v1, vcc
	ds_write_b64 v0, v[0:1] offset:584
.LBB6_75:                               ;   in Loop: Header=BB6_49 Depth=1
	s_or_b64 exec, exec, s[22:23]
	v_accvgpr_read_b32 v0, a14
	v_accvgpr_read_b32 v2, a16
	;; [unrolled: 1-line block ×3, first 2 shown]
	v_add_co_u32_e32 v2, vcc, 1, v2
	v_addc_co_u32_e32 v3, vcc, 0, v3, vcc
	v_accvgpr_read_b32 v1, a15
	v_accvgpr_write_b32 a17, v3
	v_accvgpr_write_b32 a16, v2
	;; [unrolled: 1-line block ×4, first 2 shown]
.LBB6_76:                               ;   in Loop: Header=BB6_49 Depth=1
	s_or_b64 exec, exec, s[24:25]
	s_and_saveexec_b64 s[22:23], s[12:13]
	s_cbranch_execz .LBB6_95
; %bb.77:                               ;   in Loop: Header=BB6_49 Depth=1
	s_and_saveexec_b64 s[24:25], s[36:37]
	s_xor_b64 s[24:25], exec, s[24:25]
	s_cbranch_execz .LBB6_92
; %bb.78:                               ;   in Loop: Header=BB6_49 Depth=1
	s_and_saveexec_b64 s[54:55], s[14:15]
	s_cbranch_execz .LBB6_91
; %bb.79:                               ;   in Loop: Header=BB6_49 Depth=1
	s_mov_b64 s[58:59], exec
	v_mbcnt_lo_u32_b32 v0, s58, 0
	v_mbcnt_hi_u32_b32 v0, s59, v0
	v_cmp_eq_u32_e32 vcc, 0, v0
	s_waitcnt vmcnt(0) lgkmcnt(0)
	buffer_wbinvl1_vol
	s_and_saveexec_b64 s[56:57], vcc
	s_cbranch_execz .LBB6_81
; %bb.80:                               ;   in Loop: Header=BB6_49 Depth=1
	s_bcnt1_i32_b64 vcc_lo, s[58:59]
	v_mov_b32_e32 v38, vcc_lo
	ds_add_u64 v0, v[38:39]
	s_trap 2
.LBB6_81:                               ;   in Loop: Header=BB6_49 Depth=1
	s_or_b64 exec, exec, s[56:57]
	s_trap 2
	ds_read_b64 v[0:1], v0
	v_accvgpr_read_b32 v2, a26
	v_accvgpr_read_b32 v4, a32
	;; [unrolled: 1-line block ×3, first 2 shown]
	v_add_co_u32_e32 v2, vcc, v2, v4
	v_addc_co_u32_e32 v3, vcc, 0, v3, vcc
	v_accvgpr_write_b32 a27, v3
	v_accvgpr_write_b32 a26, v2
	s_waitcnt lgkmcnt(0)
	v_cmp_lt_u64_e32 vcc, v[0:1], v[2:3]
	s_and_saveexec_b64 s[56:57], vcc
	s_cbranch_execz .LBB6_90
; %bb.82:                               ;   in Loop: Header=BB6_49 Depth=1
	s_mov_b32 s68, 0
	s_mov_b64 s[58:59], 0
                                        ; implicit-def: $sgpr60_sgpr61
                                        ; implicit-def: $sgpr62_sgpr63
	s_branch .LBB6_84
.LBB6_83:                               ;   in Loop: Header=BB6_84 Depth=2
	s_or_b64 exec, exec, s[66:67]
	s_and_b64 vcc, exec, vcc
	s_or_b64 s[58:59], vcc, s[58:59]
	s_andn2_b64 vcc, s[60:61], exec
	s_and_b64 s[60:61], s[62:63], exec
	s_or_b64 s[60:61], vcc, s[60:61]
	s_andn2_b64 exec, exec, s[58:59]
	s_cbranch_execz .LBB6_88
.LBB6_84:                               ;   Parent Loop BB6_49 Depth=1
                                        ; =>  This Inner Loop Header: Depth=2
	s_add_i32 s68, s68, 1
	s_cmpk_lg_i32 s68, 0x2710
	s_cselect_b64 s[64:65], -1, 0
	s_and_b64 vcc, exec, s[64:65]
                                        ; implicit-def: $sgpr66_sgpr67
	s_cbranch_vccnz .LBB6_86
; %bb.85:                               ;   in Loop: Header=BB6_84 Depth=2
	s_trap 2
	ds_read_b64 v[0:1], v0
	s_andn2_b64 s[64:65], s[64:65], exec
	s_mov_b32 s68, 0
	s_mov_b64 s[66:67], -1
	s_waitcnt lgkmcnt(0)
	flat_load_dword v0, v[0:1] glc
	s_waitcnt vmcnt(0) lgkmcnt(0)
	buffer_invl2
	buffer_wbinvl1_vol
	v_cmp_eq_u32_e32 vcc, 0, v0
	s_and_b64 vcc, vcc, exec
	s_or_b64 s[64:65], s[64:65], vcc
.LBB6_86:                               ;   in Loop: Header=BB6_84 Depth=2
	s_andn2_b64 s[62:63], s[62:63], exec
	s_and_b64 s[66:67], s[66:67], exec
	s_mov_b64 vcc, -1
	s_or_b64 s[62:63], s[62:63], s[66:67]
	s_and_saveexec_b64 s[66:67], s[64:65]
	s_cbranch_execz .LBB6_83
; %bb.87:                               ;   in Loop: Header=BB6_84 Depth=2
	s_sleep 1
	s_trap 2
	ds_read_b64 v[0:1], v0
	v_accvgpr_read_b32 v2, a26
	v_accvgpr_read_b32 v3, a27
	s_andn2_b64 s[62:63], s[62:63], exec
	s_waitcnt lgkmcnt(0)
	v_cmp_ge_u64_e32 vcc, v[0:1], v[2:3]
	s_orn2_b64 vcc, vcc, exec
	s_branch .LBB6_83
.LBB6_88:                               ;   in Loop: Header=BB6_49 Depth=1
	s_or_b64 exec, exec, s[58:59]
	s_and_saveexec_b64 vcc, s[60:61]
	s_xor_b64 vcc, exec, vcc
	s_cbranch_execz .LBB6_90
; %bb.89:                               ;   in Loop: Header=BB6_49 Depth=1
	v_mov_b32_e32 v0, 1
	ds_write_b32 v0, v0
	s_trap 2
.LBB6_90:                               ;   in Loop: Header=BB6_49 Depth=1
	s_or_b64 exec, exec, s[56:57]
	;;#ASMSTART
	s_wakeup
	;;#ASMEND
.LBB6_91:                               ;   in Loop: Header=BB6_49 Depth=1
	s_or_b64 exec, exec, s[54:55]
.LBB6_92:                               ;   in Loop: Header=BB6_49 Depth=1
	s_andn2_saveexec_b64 s[24:25], s[24:25]
	s_cbranch_execz .LBB6_94
; %bb.93:                               ;   in Loop: Header=BB6_49 Depth=1
	s_waitcnt vmcnt(0) lgkmcnt(0)
	buffer_wbinvl1_vol
	s_barrier
.LBB6_94:                               ;   in Loop: Header=BB6_49 Depth=1
	s_or_b64 exec, exec, s[24:25]
.LBB6_95:                               ;   in Loop: Header=BB6_49 Depth=1
	s_or_b64 exec, exec, s[22:23]
	s_trap 2
	ds_read_b32 v1, v0
	v_accvgpr_read_b32 v0, a4
	v_and_b32_e32 v0, 0x4000, v0
	v_cmp_ne_u32_e32 vcc, 0, v0
	s_and_b64 s[24:25], s[40:41], vcc
	s_and_saveexec_b64 s[22:23], s[24:25]
	s_cbranch_execz .LBB6_114
; %bb.96:                               ;   in Loop: Header=BB6_49 Depth=1
	s_and_saveexec_b64 s[24:25], s[36:37]
	s_xor_b64 s[24:25], exec, s[24:25]
	s_cbranch_execz .LBB6_111
; %bb.97:                               ;   in Loop: Header=BB6_49 Depth=1
	s_and_saveexec_b64 s[54:55], s[14:15]
	s_cbranch_execz .LBB6_110
; %bb.98:                               ;   in Loop: Header=BB6_49 Depth=1
	s_mov_b64 s[58:59], exec
	v_mbcnt_lo_u32_b32 v0, s58, 0
	v_mbcnt_hi_u32_b32 v0, s59, v0
	v_cmp_eq_u32_e32 vcc, 0, v0
	s_waitcnt vmcnt(0) lgkmcnt(0)
	buffer_wbinvl1_vol
	s_and_saveexec_b64 s[56:57], vcc
	s_cbranch_execz .LBB6_100
; %bb.99:                               ;   in Loop: Header=BB6_49 Depth=1
	s_bcnt1_i32_b64 vcc_lo, s[58:59]
	v_mov_b32_e32 v38, vcc_lo
	ds_add_u64 v0, v[38:39]
	s_trap 2
.LBB6_100:                              ;   in Loop: Header=BB6_49 Depth=1
	s_or_b64 exec, exec, s[56:57]
	s_trap 2
	ds_read_b64 v[2:3], v0
	v_accvgpr_read_b32 v4, a26
	v_accvgpr_read_b32 v0, a32
	;; [unrolled: 1-line block ×3, first 2 shown]
	v_add_co_u32_e32 v4, vcc, v4, v0
	v_addc_co_u32_e32 v5, vcc, 0, v5, vcc
	v_accvgpr_write_b32 a27, v5
	v_accvgpr_write_b32 a26, v4
	s_waitcnt lgkmcnt(0)
	v_cmp_lt_u64_e32 vcc, v[2:3], v[4:5]
	s_and_saveexec_b64 s[56:57], vcc
	s_cbranch_execz .LBB6_109
; %bb.101:                              ;   in Loop: Header=BB6_49 Depth=1
	s_mov_b32 s68, 0
	s_mov_b64 s[58:59], 0
                                        ; implicit-def: $sgpr60_sgpr61
                                        ; implicit-def: $sgpr62_sgpr63
	s_branch .LBB6_103
.LBB6_102:                              ;   in Loop: Header=BB6_103 Depth=2
	s_or_b64 exec, exec, s[66:67]
	s_and_b64 vcc, exec, vcc
	s_or_b64 s[58:59], vcc, s[58:59]
	s_andn2_b64 vcc, s[60:61], exec
	s_and_b64 s[60:61], s[62:63], exec
	s_or_b64 s[60:61], vcc, s[60:61]
	s_andn2_b64 exec, exec, s[58:59]
	s_cbranch_execz .LBB6_107
.LBB6_103:                              ;   Parent Loop BB6_49 Depth=1
                                        ; =>  This Inner Loop Header: Depth=2
	s_add_i32 s68, s68, 1
	s_cmpk_lg_i32 s68, 0x2710
	s_cselect_b64 s[64:65], -1, 0
	s_and_b64 vcc, exec, s[64:65]
                                        ; implicit-def: $sgpr66_sgpr67
	s_cbranch_vccnz .LBB6_105
; %bb.104:                              ;   in Loop: Header=BB6_103 Depth=2
	s_trap 2
	ds_read_b64 v[2:3], v0
	s_andn2_b64 s[64:65], s[64:65], exec
	s_mov_b32 s68, 0
	s_mov_b64 s[66:67], -1
	s_waitcnt lgkmcnt(0)
	flat_load_dword v0, v[2:3] glc
	s_waitcnt vmcnt(0) lgkmcnt(0)
	buffer_invl2
	buffer_wbinvl1_vol
	v_cmp_eq_u32_e32 vcc, 0, v0
	s_and_b64 vcc, vcc, exec
	s_or_b64 s[64:65], s[64:65], vcc
.LBB6_105:                              ;   in Loop: Header=BB6_103 Depth=2
	s_andn2_b64 s[62:63], s[62:63], exec
	s_and_b64 s[66:67], s[66:67], exec
	s_mov_b64 vcc, -1
	s_or_b64 s[62:63], s[62:63], s[66:67]
	s_and_saveexec_b64 s[66:67], s[64:65]
	s_cbranch_execz .LBB6_102
; %bb.106:                              ;   in Loop: Header=BB6_103 Depth=2
	s_sleep 1
	s_trap 2
	ds_read_b64 v[2:3], v0
	v_accvgpr_read_b32 v4, a26
	v_accvgpr_read_b32 v5, a27
	s_andn2_b64 s[62:63], s[62:63], exec
	s_waitcnt lgkmcnt(0)
	v_cmp_ge_u64_e32 vcc, v[2:3], v[4:5]
	s_orn2_b64 vcc, vcc, exec
	s_branch .LBB6_102
.LBB6_107:                              ;   in Loop: Header=BB6_49 Depth=1
	s_or_b64 exec, exec, s[58:59]
	s_and_saveexec_b64 vcc, s[60:61]
	s_xor_b64 vcc, exec, vcc
	s_cbranch_execz .LBB6_109
; %bb.108:                              ;   in Loop: Header=BB6_49 Depth=1
	v_mov_b32_e32 v0, 1
	ds_write_b32 v0, v0
	s_trap 2
.LBB6_109:                              ;   in Loop: Header=BB6_49 Depth=1
	s_or_b64 exec, exec, s[56:57]
	;;#ASMSTART
	s_wakeup
	;;#ASMEND
.LBB6_110:                              ;   in Loop: Header=BB6_49 Depth=1
	s_or_b64 exec, exec, s[54:55]
.LBB6_111:                              ;   in Loop: Header=BB6_49 Depth=1
	s_andn2_saveexec_b64 s[24:25], s[24:25]
	s_cbranch_execz .LBB6_113
; %bb.112:                              ;   in Loop: Header=BB6_49 Depth=1
	s_waitcnt vmcnt(0) lgkmcnt(0)
	buffer_wbinvl1_vol
	s_barrier
.LBB6_113:                              ;   in Loop: Header=BB6_49 Depth=1
	s_or_b64 exec, exec, s[24:25]
.LBB6_114:                              ;   in Loop: Header=BB6_49 Depth=1
	s_or_b64 exec, exec, s[22:23]
	s_trap 2
	ds_read_b64 v[2:3], v0
	s_waitcnt lgkmcnt(0)
	v_readfirstlane_b32 s22, v2
	v_readfirstlane_b32 s23, v3
	s_cmp_eq_u64 s[22:23], 0
	s_cselect_b64 s[22:23], -1, 0
	s_or_b64 s[24:25], s[22:23], s[22:23]
	s_mov_b64 s[22:23], 0
	s_and_b64 vcc, exec, s[24:25]
	s_cbranch_vccnz .LBB6_3035
; %bb.115:                              ;   in Loop: Header=BB6_49 Depth=1
	s_mov_b64 s[24:25], -1
	s_and_saveexec_b64 s[22:23], s[16:17]
	s_cbranch_execz .LBB6_117
; %bb.116:                              ;   in Loop: Header=BB6_49 Depth=1
	ds_read_b32 v0, v0 offset:720
	s_waitcnt lgkmcnt(0)
	v_and_b32_e32 v0, 15, v0
	v_cmp_eq_u32_e32 vcc, 0, v0
	s_orn2_b64 s[24:25], vcc, exec
.LBB6_117:                              ;   in Loop: Header=BB6_49 Depth=1
	s_or_b64 exec, exec, s[22:23]
	s_and_saveexec_b64 s[22:23], s[18:19]
	s_cbranch_execz .LBB6_119
; %bb.118:                              ;   in Loop: Header=BB6_49 Depth=1
	ds_read_b32 v0, v0 offset:784
	s_waitcnt lgkmcnt(0)
	v_and_b32_e32 v0, 15, v0
	v_cmp_eq_u32_e32 vcc, 0, v0
	s_and_b64 vcc, s[24:25], vcc
	s_andn2_b64 s[24:25], s[24:25], exec
	s_and_b64 vcc, vcc, exec
	s_or_b64 s[24:25], s[24:25], vcc
.LBB6_119:                              ;   in Loop: Header=BB6_49 Depth=1
	s_or_b64 exec, exec, s[22:23]
	s_xor_b64 s[24:25], s[24:25], -1
	v_cmp_eq_u32_e32 vcc, 0, v1
	v_cndmask_b32_e64 v1, 0, 1, s[24:25]
	v_cndmask_b32_e32 v2, 0, v14, vcc
	;;#ASMSTART
	;;#ASMEND
	v_accvgpr_write_b32 a44, v52
	v_mov_b32_e32 v0, 0
	v_accvgpr_write_b32 a48, v14
	s_mov_b64 s[22:23], -1
	v_cmp_ne_u32_e32 vcc, 0, v1
	v_accvgpr_write_b32 a43, v2
	v_mov_b32_e32 v1, v2
	v_accvgpr_read_b32 v16, a3
	v_mov_b32_e32 v2, v56
	v_accvgpr_write_b32 a45, v53
	s_cbranch_vccz .LBB6_121
; %bb.120:                              ;   in Loop: Header=BB6_49 Depth=1
	s_and_saveexec_b64 s[24:25], s[22:23]
	s_cbranch_execnz .LBB6_2166
	s_branch .LBB6_3034
.LBB6_121:                              ;   in Loop: Header=BB6_49 Depth=1
	v_accvgpr_read_b32 v0, a43
	v_lshrrev_b32_e32 v0, 11, v0
	v_sub_u32_e32 v41, v0, v56
	v_cmp_lt_i32_e32 vcc, 0, v41
	s_and_saveexec_b64 s[24:25], vcc
	s_cbranch_execz .LBB6_1477
; %bb.122:                              ;   in Loop: Header=BB6_49 Depth=1
	s_trap 2
	ds_read_b128 v[0:3], v0
	v_accvgpr_read_b32 v4, a34
	v_accvgpr_read_b32 v5, a35
	v_accvgpr_write_b32 a33, v56
	v_accvgpr_write_b32 a5, v57
	s_waitcnt lgkmcnt(0)
	ds_read_b64 v[6:7], v0
	v_add_co_u32_e32 v44, vcc, v0, v4
	v_addc_co_u32_e32 v45, vcc, v1, v5, vcc
	v_add_co_u32_e32 v46, vcc, v2, v4
	s_waitcnt lgkmcnt(0)
	v_readfirstlane_b32 s22, v6
	v_addc_co_u32_e32 v47, vcc, v3, v5, vcc
	s_and_b32 s23, s22, 7
	v_add_co_u32_e32 v56, vcc, v6, v4
	s_flbit_i32_b32 s23, s23
	v_addc_co_u32_e32 v57, vcc, v7, v5, vcc
	s_min_u32 s23, s23, 32
	s_and_b32 vcc_lo, s22, 0x7f
	s_bfe_u32 vcc_hi, s22, 0x40003
	s_sub_i32 s54, s23, 28
	s_sub_i32 s23, 29, s23
	s_cmp_lt_u32 vcc_lo, 8
	s_cselect_b32 s23, s23, vcc_hi
	s_cselect_b32 vcc_hi, s54, 0
	s_lshl_b32 s22, s22, 24
	s_lshl_b32 s23, s23, 23
	v_lshlrev_b64 v[0:1], vcc_hi, v[6:7]
	s_and_b32 s22, s22, 0x80000000
	s_add_i32 s23, s23, 0x3c000000
	v_lshlrev_b32_e32 v0, 20, v0
	s_or_b32 s22, s22, s23
	v_and_b32_e32 v0, 0x700000, v0
	s_cmpk_lg_i32 vcc_lo, 0x7f
	v_or_b32_e32 v0, s22, v0
	s_cselect_b64 vcc, -1, 0
	v_mov_b32_e32 v1, 0x7f800001
	v_cndmask_b32_e32 v0, v1, v0, vcc
	v_accvgpr_write_b32 a50, v6
	v_accvgpr_write_b32 a47, v0
	s_mov_b64 s[54:55], 0
	s_branch .LBB6_124
.LBB6_123:                              ;   in Loop: Header=BB6_124 Depth=2
	s_or_b64 exec, exec, s[22:23]
	v_lshlrev_b32_e32 v3, 8, v24
	v_perm_b32 v3, v3, v6, s78
	v_lshl_or_b32 v3, v61, 16, v3
	v_lshl_or_b32 v59, v15, 24, v3
	v_and_b32_e32 v3, 0xff, v25
	v_lshlrev_b32_e32 v5, 8, v5
	v_lshlrev_b32_e32 v6, 24, v35
	;; [unrolled: 1-line block ×3, first 2 shown]
	v_perm_b32 v0, v5, v0, s78
	v_or3_b32 v58, v6, v3, v0
	v_and_b32_e32 v0, 0xff, v23
	v_lshlrev_b32_e32 v5, 8, v22
	v_lshlrev_b32_e32 v3, 24, v7
	;; [unrolled: 1-line block ×3, first 2 shown]
	v_perm_b32 v5, v5, v8, s78
	v_or3_b32 v60, v3, v0, v5
	v_lshlrev_b32_e32 v0, 8, v48
	v_perm_b32 v0, v0, v30, s78
	v_lshl_or_b32 v0, v49, 16, v0
	v_lshl_or_b32 v61, v16, 24, v0
	v_lshlrev_b32_e32 v0, 8, v14
	v_perm_b32 v0, v0, v9, s78
	v_lshl_or_b32 v0, v26, 16, v0
	v_lshl_or_b32 v7, v11, 24, v0
	v_and_b32_e32 v0, 0xff, v50
	v_lshlrev_b32_e32 v5, 8, v34
	v_lshlrev_b32_e32 v3, 24, v33
	v_lshlrev_b32_e32 v0, 16, v0
	v_perm_b32 v5, v5, v17, s78
	v_or3_b32 v6, v3, v0, v5
	v_and_b32_e32 v0, 0xff, v28
	v_lshlrev_b32_e32 v3, 24, v4
	v_lshlrev_b32_e32 v4, 8, v32
	v_lshlrev_b32_e32 v0, 16, v0
	v_perm_b32 v4, v4, v18, s78
	v_or3_b32 v8, v3, v0, v4
	v_lshlrev_b32_e32 v0, 8, v10
	v_perm_b32 v0, v0, v1, s78
	v_lshl_or_b32 v0, v19, 16, v0
	v_accvgpr_read_b32 v1, a36
	v_lshl_or_b32 v9, v2, 24, v0
	v_add_co_u32_e32 v44, vcc, v44, v1
	v_accvgpr_read_b32 v2, a37
	v_addc_co_u32_e32 v45, vcc, v45, v2, vcc
	v_add_co_u32_e32 v46, vcc, v46, v1
	v_accvgpr_read_b32 v0, a32
	v_addc_co_u32_e32 v47, vcc, v47, v2, vcc
	v_sub_u32_e32 v41, v41, v0
	v_cmp_gt_i32_e32 vcc, 1, v41
	global_store_dwordx4 v[56:57], v[58:61], off glc slc
	global_store_dwordx4 v[56:57], v[6:9], off offset:1024 glc slc
	s_or_b64 s[54:55], vcc, s[54:55]
	v_add_co_u32_e32 v56, vcc, v56, v1
	v_addc_co_u32_e32 v57, vcc, v57, v2, vcc
	s_andn2_b64 exec, exec, s[54:55]
	s_cbranch_execz .LBB6_1476
.LBB6_124:                              ;   Parent Loop BB6_49 Depth=1
                                        ; =>  This Inner Loop Header: Depth=2
	v_accvgpr_read_b32 v0, a50
	v_cmp_lt_i16_sdwa s[22:23], v0, s76 src0_sel:BYTE_0 src1_sel:DWORD
	s_and_b64 vcc, exec, s[22:23]
	s_cbranch_vccnz .LBB6_128
; %bb.125:                              ;   in Loop: Header=BB6_124 Depth=2
	v_cmp_eq_u16_sdwa vcc, v0, s76 src0_sel:BYTE_0 src1_sel:DWORD
	s_mov_b64 s[22:23], -1
	s_and_b64 vcc, exec, vcc
                                        ; implicit-def: $sgpr56
	s_cbranch_vccz .LBB6_127
; %bb.126:                              ;   in Loop: Header=BB6_124 Depth=2
	s_mov_b64 s[22:23], 0
	s_brev_b32 s56, 1
.LBB6_127:                              ;   in Loop: Header=BB6_124 Depth=2
	s_branch .LBB6_130
.LBB6_128:                              ;   in Loop: Header=BB6_124 Depth=2
	s_mov_b64 s[22:23], 0
                                        ; implicit-def: $sgpr56
	s_cbranch_execz .LBB6_130
; %bb.129:                              ;   in Loop: Header=BB6_124 Depth=2
	v_cmp_ne_u16_sdwa s[22:23], v0, v39 src0_sel:BYTE_0 src1_sel:DWORD
	s_mov_b32 s56, 0
.LBB6_130:                              ;   in Loop: Header=BB6_124 Depth=2
	s_andn2_b64 vcc, exec, s[22:23]
	v_mov_b32_e32 v5, s56
	s_cbranch_vccnz .LBB6_132
; %bb.131:                              ;   in Loop: Header=BB6_124 Depth=2
	v_accvgpr_read_b32 v5, a47
.LBB6_132:                              ;   in Loop: Header=BB6_124 Depth=2
	global_load_dwordx4 v[10:13], v[44:45], off glc slc
	v_mov_b32_e32 v0, 0
	s_waitcnt vmcnt(0)
	v_cmp_ne_u16_sdwa vcc, v10, v39 src0_sel:BYTE_0 src1_sel:DWORD
	s_and_saveexec_b64 s[22:23], vcc
	s_cbranch_execz .LBB6_138
; %bb.133:                              ;   in Loop: Header=BB6_124 Depth=2
	v_cmp_ne_u16_sdwa vcc, v10, s76 src0_sel:BYTE_0 src1_sel:DWORD
	v_bfrev_b32_e32 v0, 1
	s_and_saveexec_b64 s[56:57], vcc
	s_cbranch_execz .LBB6_137
; %bb.134:                              ;   in Loop: Header=BB6_124 Depth=2
	v_and_b32_e32 v1, 0x7f, v10
	v_cmp_ne_u32_e32 vcc, s75, v1
	v_mov_b32_e32 v0, 0x7f800001
	s_and_saveexec_b64 s[58:59], vcc
	s_cbranch_execz .LBB6_136
; %bb.135:                              ;   in Loop: Header=BB6_124 Depth=2
	v_and_b32_e32 v0, 7, v10
	v_ffbh_u32_e32 v0, v0
	v_min_u32_e32 v0, 32, v0
	v_lshrrev_b32_e32 v2, 3, v1
	v_subrev_u32_e32 v3, 28, v0
	v_sub_u32_e32 v0, 29, v0
	v_cmp_gt_u32_e32 vcc, 8, v1
	v_cndmask_b32_e32 v2, v2, v0, vcc
	v_cndmask_b32_e32 v0, 0, v3, vcc
	v_lshlrev_b64 v[0:1], v0, v[10:11]
	v_lshlrev_b32_e32 v0, 20, v0
	v_lshlrev_b32_e32 v1, 24, v10
	v_and_b32_e32 v0, 0x700000, v0
	v_and_b32_e32 v1, 0x80000000, v1
	v_lshl_add_u32 v2, v2, 23, v31
	v_or3_b32 v0, v1, v2, v0
.LBB6_136:                              ;   in Loop: Header=BB6_124 Depth=2
	s_or_b64 exec, exec, s[58:59]
.LBB6_137:                              ;   in Loop: Header=BB6_124 Depth=2
	s_or_b64 exec, exec, s[56:57]
.LBB6_138:                              ;   in Loop: Header=BB6_124 Depth=2
	s_or_b64 exec, exec, s[22:23]
	v_mul_f32_e32 v2, v5, v0
	v_and_b32_sdwa v1, v2, s76 dst_sel:DWORD dst_unused:UNUSED_PAD src0_sel:BYTE_3 src1_sel:DWORD
	v_and_b32_e32 v6, 0x7f800000, v2
	v_mov_b32_e32 v7, v39
	v_and_b32_e32 v38, 0x7fffff, v2
	v_or_b32_e32 v0, 0x7e, v1
	v_cmp_ne_u64_e32 vcc, s[42:43], v[6:7]
	s_and_saveexec_b64 s[22:23], vcc
	s_xor_b64 s[56:57], exec, s[22:23]
	s_cbranch_execz .LBB6_148
; %bb.139:                              ;   in Loop: Header=BB6_124 Depth=2
	v_and_b32_e32 v6, 0x7fffffff, v2
	v_mov_b32_e32 v7, v39
	v_cmp_gt_u64_e32 vcc, s[44:45], v[6:7]
	s_and_saveexec_b64 s[58:59], vcc
	s_cbranch_execz .LBB6_147
; %bb.140:                              ;   in Loop: Header=BB6_124 Depth=2
	v_cmp_ne_u32_e32 vcc, 0, v2
	v_mov_b32_e32 v0, 0
	s_and_saveexec_b64 s[60:61], vcc
	s_cbranch_execz .LBB6_146
; %bb.141:                              ;   in Loop: Header=BB6_124 Depth=2
	v_bfe_u32 v0, v2, 23, 8
	v_sub_u32_e32 v3, 0x79, v0
	v_cmp_gt_u32_e32 vcc, s77, v0
	v_cndmask_b32_e32 v3, 0, v3, vcc
	v_cmp_eq_u32_e32 vcc, 0, v0
	v_add_u32_e32 v2, 0xffffff81, v0
	v_or_b32_e32 v4, 0x800000, v38
	v_mov_b32_e32 v0, 0xffffff82
	v_cndmask_b32_e32 v6, v3, v20, vcc
	v_cndmask_b32_e32 v0, v2, v0, vcc
	v_cndmask_b32_e32 v38, v4, v38, vcc
	v_add_u32_e32 v2, 20, v6
	v_lshlrev_b64 v[2:3], v2, -1
	v_add_u32_e32 v4, 19, v6
	v_lshrrev_b64 v[14:15], v6, v[38:39]
	v_not_b32_e32 v3, v3
	v_not_b32_e32 v2, v2
	v_lshlrev_b64 v[8:9], v4, 1
	v_lshrrev_b32_e32 v4, 23, v14
	v_and_b32_e32 v3, 0, v3
	v_and_b32_e32 v2, v38, v2
	v_add3_u32 v6, v6, v0, v4
	v_bfe_u32 v0, v14, 20, 1
	v_add_u32_e32 v0, -1, v0
	v_cmp_eq_u64_e32 vcc, v[2:3], v[8:9]
	v_cndmask_b32_e32 v0, 0, v0, vcc
	v_add_u32_e32 v0, v0, v14
	v_and_b32_e32 v0, 0xfffff, v0
	v_add_co_u32_e32 v2, vcc, v0, v14
	v_add_u32_e32 v4, 6, v6
	v_addc_co_u32_e32 v3, vcc, 0, v15, vcc
	v_cmp_ne_u32_e32 vcc, 0, v4
                                        ; implicit-def: $vgpr0
	s_and_saveexec_b64 s[22:23], vcc
	s_xor_b64 s[22:23], exec, s[22:23]
; %bb.142:                              ;   in Loop: Header=BB6_124 Depth=2
	v_add_u32_e32 v0, 7, v6
	v_cmp_lt_u64_e32 vcc, s[48:49], v[2:3]
	v_cndmask_b32_e32 v0, v4, v0, vcc
	v_cndmask_b32_e64 v4, 0, 1, vcc
	v_lshrrev_b64 v[2:3], v4, v[2:3]
; %bb.143:                              ;   in Loop: Header=BB6_124 Depth=2
	s_andn2_saveexec_b64 s[22:23], s[22:23]
; %bb.144:                              ;   in Loop: Header=BB6_124 Depth=2
	v_bfe_u32 v0, v2, 23, 1
; %bb.145:                              ;   in Loop: Header=BB6_124 Depth=2
	s_or_b64 exec, exec, s[22:23]
	v_lshrrev_b64 v[2:3], 20, v[2:3]
	v_cmp_gt_i32_e32 vcc, 16, v0
	v_cndmask_b32_e32 v3, 0, v3, vcc
	v_cndmask_b32_e32 v2, 7, v2, vcc
	v_cmp_eq_u32_e32 vcc, 0, v0
	v_min_i32_e32 v0, 15, v0
	v_cmp_eq_u64_e64 s[22:23], 0, v[2:3]
	v_lshlrev_b32_e32 v0, 3, v0
	v_and_or_b32 v0, v2, 7, v0
	s_and_b64 s[22:23], vcc, s[22:23]
	v_cndmask_b32_e64 v0, v0, 0, s[22:23]
	v_or_b32_e32 v0, v0, v1
.LBB6_146:                              ;   in Loop: Header=BB6_124 Depth=2
	s_or_b64 exec, exec, s[60:61]
.LBB6_147:                              ;   in Loop: Header=BB6_124 Depth=2
	s_or_b64 exec, exec, s[58:59]
                                        ; implicit-def: $vgpr2
.LBB6_148:                              ;   in Loop: Header=BB6_124 Depth=2
	s_andn2_saveexec_b64 s[22:23], s[56:57]
; %bb.149:                              ;   in Loop: Header=BB6_124 Depth=2
	v_or_b32_sdwa v1, v2, s75 dst_sel:DWORD dst_unused:UNUSED_PAD src0_sel:BYTE_3 src1_sel:DWORD
	v_cmp_eq_u64_e32 vcc, 0, v[38:39]
	v_cndmask_b32_e32 v0, v1, v0, vcc
; %bb.150:                              ;   in Loop: Header=BB6_124 Depth=2
	s_or_b64 exec, exec, s[22:23]
	v_lshrrev_b16_e32 v2, 8, v10
	v_cmp_ne_u16_e32 vcc, 0, v2
	v_mov_b32_e32 v1, 0
	s_and_saveexec_b64 s[22:23], vcc
	s_cbranch_execz .LBB6_156
; %bb.151:                              ;   in Loop: Header=BB6_124 Depth=2
	v_cmp_ne_u16_e32 vcc, s76, v2
	v_bfrev_b32_e32 v1, 1
	s_and_saveexec_b64 s[56:57], vcc
	s_cbranch_execz .LBB6_155
; %bb.152:                              ;   in Loop: Header=BB6_124 Depth=2
	v_and_b32_e32 v3, 0x7f, v2
	v_cmp_ne_u32_e32 vcc, s75, v3
	v_mov_b32_e32 v1, 0x7f800001
	s_and_saveexec_b64 s[58:59], vcc
	s_cbranch_execz .LBB6_154
; %bb.153:                              ;   in Loop: Header=BB6_124 Depth=2
	v_and_b32_e32 v1, 7, v2
	v_ffbh_u32_e32 v6, v1
	v_min_u32_e32 v8, 32, v6
	v_subrev_u32_e32 v6, 28, v8
	v_lshlrev_b64 v[6:7], v6, v[2:3]
	v_lshrrev_b32_e32 v4, 3, v3
	v_sub_u32_e32 v2, 29, v8
	v_and_b32_e32 v6, 7, v6
	v_cmp_gt_u32_e32 vcc, 8, v3
	v_cndmask_b32_e32 v2, v4, v2, vcc
	v_cndmask_b32_e32 v1, v1, v6, vcc
	v_lshlrev_b32_e32 v3, 16, v10
	v_lshlrev_b32_e32 v1, 20, v1
	v_and_b32_e32 v3, 0x80000000, v3
	v_lshl_add_u32 v2, v2, 23, v31
	v_or3_b32 v1, v3, v2, v1
.LBB6_154:                              ;   in Loop: Header=BB6_124 Depth=2
	s_or_b64 exec, exec, s[58:59]
.LBB6_155:                              ;   in Loop: Header=BB6_124 Depth=2
	s_or_b64 exec, exec, s[56:57]
.LBB6_156:                              ;   in Loop: Header=BB6_124 Depth=2
	s_or_b64 exec, exec, s[22:23]
	v_mul_f32_e32 v2, v5, v1
	v_and_b32_sdwa v1, v2, s76 dst_sel:DWORD dst_unused:UNUSED_PAD src0_sel:BYTE_3 src1_sel:DWORD
	v_and_b32_e32 v6, 0x7f800000, v2
	v_mov_b32_e32 v7, v39
	v_and_b32_e32 v38, 0x7fffff, v2
	v_or_b32_e32 v24, 0x7e, v1
	v_cmp_ne_u64_e32 vcc, s[42:43], v[6:7]
	s_and_saveexec_b64 s[22:23], vcc
	s_xor_b64 s[56:57], exec, s[22:23]
	s_cbranch_execz .LBB6_166
; %bb.157:                              ;   in Loop: Header=BB6_124 Depth=2
	v_and_b32_e32 v6, 0x7fffffff, v2
	v_mov_b32_e32 v7, v39
	v_cmp_gt_u64_e32 vcc, s[44:45], v[6:7]
	s_and_saveexec_b64 s[58:59], vcc
	s_cbranch_execz .LBB6_165
; %bb.158:                              ;   in Loop: Header=BB6_124 Depth=2
	v_cmp_ne_u32_e32 vcc, 0, v2
	v_mov_b32_e32 v24, 0
	s_and_saveexec_b64 s[60:61], vcc
	s_cbranch_execz .LBB6_164
; %bb.159:                              ;   in Loop: Header=BB6_124 Depth=2
	v_bfe_u32 v2, v2, 23, 8
	v_sub_u32_e32 v4, 0x79, v2
	v_cmp_gt_u32_e32 vcc, s77, v2
	v_cndmask_b32_e32 v4, 0, v4, vcc
	v_cmp_eq_u32_e32 vcc, 0, v2
	v_add_u32_e32 v3, 0xffffff81, v2
	v_or_b32_e32 v6, 0x800000, v38
	v_mov_b32_e32 v2, 0xffffff82
	v_cndmask_b32_e32 v4, v4, v20, vcc
	v_cndmask_b32_e32 v7, v3, v2, vcc
	;; [unrolled: 1-line block ×3, first 2 shown]
	v_add_u32_e32 v2, 20, v4
	v_lshlrev_b64 v[2:3], v2, -1
	v_add_u32_e32 v6, 19, v4
	v_lshrrev_b64 v[14:15], v4, v[38:39]
	v_not_b32_e32 v3, v3
	v_not_b32_e32 v2, v2
	v_lshlrev_b64 v[8:9], v6, 1
	v_lshrrev_b32_e32 v6, 23, v14
	v_and_b32_e32 v3, 0, v3
	v_and_b32_e32 v2, v38, v2
	v_add3_u32 v7, v4, v7, v6
	v_bfe_u32 v4, v14, 20, 1
	v_add_u32_e32 v4, -1, v4
	v_cmp_eq_u64_e32 vcc, v[2:3], v[8:9]
	v_cndmask_b32_e32 v2, 0, v4, vcc
	v_add_u32_e32 v2, v2, v14
	v_and_b32_e32 v2, 0xfffff, v2
	v_add_co_u32_e32 v2, vcc, v2, v14
	v_add_u32_e32 v6, 6, v7
	v_addc_co_u32_e32 v3, vcc, 0, v15, vcc
	v_cmp_ne_u32_e32 vcc, 0, v6
                                        ; implicit-def: $vgpr4
	s_and_saveexec_b64 s[22:23], vcc
	s_xor_b64 s[22:23], exec, s[22:23]
; %bb.160:                              ;   in Loop: Header=BB6_124 Depth=2
	v_add_u32_e32 v4, 7, v7
	v_cmp_lt_u64_e32 vcc, s[48:49], v[2:3]
	v_cndmask_b32_e32 v4, v6, v4, vcc
	v_cndmask_b32_e64 v6, 0, 1, vcc
	v_lshrrev_b64 v[2:3], v6, v[2:3]
; %bb.161:                              ;   in Loop: Header=BB6_124 Depth=2
	s_andn2_saveexec_b64 s[22:23], s[22:23]
; %bb.162:                              ;   in Loop: Header=BB6_124 Depth=2
	v_bfe_u32 v4, v2, 23, 1
; %bb.163:                              ;   in Loop: Header=BB6_124 Depth=2
	s_or_b64 exec, exec, s[22:23]
	v_lshrrev_b64 v[2:3], 20, v[2:3]
	v_cmp_gt_i32_e32 vcc, 16, v4
	v_cndmask_b32_e32 v3, 0, v3, vcc
	v_cndmask_b32_e32 v2, 7, v2, vcc
	v_cmp_eq_u64_e64 s[22:23], 0, v[2:3]
	v_min_i32_e32 v3, 15, v4
	v_cmp_eq_u32_e32 vcc, 0, v4
	v_lshlrev_b32_e32 v3, 3, v3
	v_and_or_b32 v2, v2, 7, v3
	s_and_b64 s[22:23], vcc, s[22:23]
	v_cndmask_b32_e64 v2, v2, 0, s[22:23]
	v_or_b32_e32 v24, v2, v1
.LBB6_164:                              ;   in Loop: Header=BB6_124 Depth=2
	s_or_b64 exec, exec, s[60:61]
.LBB6_165:                              ;   in Loop: Header=BB6_124 Depth=2
	s_or_b64 exec, exec, s[58:59]
                                        ; implicit-def: $vgpr2
.LBB6_166:                              ;   in Loop: Header=BB6_124 Depth=2
	s_andn2_saveexec_b64 s[22:23], s[56:57]
; %bb.167:                              ;   in Loop: Header=BB6_124 Depth=2
	v_or_b32_sdwa v1, v2, s75 dst_sel:DWORD dst_unused:UNUSED_PAD src0_sel:BYTE_3 src1_sel:DWORD
	v_cmp_eq_u64_e32 vcc, 0, v[38:39]
	v_cndmask_b32_e32 v24, v1, v24, vcc
; %bb.168:                              ;   in Loop: Header=BB6_124 Depth=2
	s_or_b64 exec, exec, s[22:23]
	v_lshrrev_b32_e32 v2, 16, v10
	v_cmp_ne_u16_sdwa vcc, v2, v39 src0_sel:BYTE_0 src1_sel:DWORD
	v_mov_b32_e32 v1, 0
	s_and_saveexec_b64 s[22:23], vcc
	s_cbranch_execz .LBB6_174
; %bb.169:                              ;   in Loop: Header=BB6_124 Depth=2
	v_cmp_ne_u16_sdwa vcc, v2, s76 src0_sel:BYTE_0 src1_sel:DWORD
	v_bfrev_b32_e32 v1, 1
	s_and_saveexec_b64 s[56:57], vcc
	s_cbranch_execz .LBB6_173
; %bb.170:                              ;   in Loop: Header=BB6_124 Depth=2
	v_bfe_u32 v3, v10, 16, 7
	v_cmp_ne_u32_e32 vcc, s75, v3
	v_mov_b32_e32 v1, 0x7f800001
	s_and_saveexec_b64 s[58:59], vcc
	s_cbranch_execz .LBB6_172
; %bb.171:                              ;   in Loop: Header=BB6_124 Depth=2
	v_and_b32_e32 v1, 7, v2
	v_ffbh_u32_e32 v6, v1
	v_min_u32_e32 v8, 32, v6
	v_subrev_u32_e32 v6, 28, v8
	v_lshlrev_b64 v[6:7], v6, v[2:3]
	v_lshrrev_b32_e32 v4, 3, v3
	v_sub_u32_e32 v7, 29, v8
	v_and_b32_e32 v6, 7, v6
	v_cmp_gt_u32_e32 vcc, 8, v3
	v_cndmask_b32_e32 v3, v4, v7, vcc
	v_cndmask_b32_e32 v1, v1, v6, vcc
	v_lshlrev_b32_e32 v2, 24, v2
	v_lshlrev_b32_e32 v1, 20, v1
	v_and_b32_e32 v2, 0x80000000, v2
	v_lshl_add_u32 v3, v3, 23, v31
	v_or3_b32 v1, v2, v3, v1
.LBB6_172:                              ;   in Loop: Header=BB6_124 Depth=2
	s_or_b64 exec, exec, s[58:59]
.LBB6_173:                              ;   in Loop: Header=BB6_124 Depth=2
	s_or_b64 exec, exec, s[56:57]
.LBB6_174:                              ;   in Loop: Header=BB6_124 Depth=2
	s_or_b64 exec, exec, s[22:23]
	v_mul_f32_e32 v3, v5, v1
	v_and_b32_sdwa v1, v3, s76 dst_sel:DWORD dst_unused:UNUSED_PAD src0_sel:BYTE_3 src1_sel:DWORD
	v_and_b32_e32 v6, 0x7f800000, v3
	v_mov_b32_e32 v7, v39
	v_and_b32_e32 v38, 0x7fffff, v3
	v_or_b32_e32 v2, 0x7e, v1
	v_cmp_ne_u64_e32 vcc, s[42:43], v[6:7]
	s_and_saveexec_b64 s[22:23], vcc
	s_xor_b64 s[56:57], exec, s[22:23]
	s_cbranch_execz .LBB6_184
; %bb.175:                              ;   in Loop: Header=BB6_124 Depth=2
	v_and_b32_e32 v6, 0x7fffffff, v3
	v_mov_b32_e32 v7, v39
	v_cmp_gt_u64_e32 vcc, s[44:45], v[6:7]
	s_and_saveexec_b64 s[58:59], vcc
	s_cbranch_execz .LBB6_183
; %bb.176:                              ;   in Loop: Header=BB6_124 Depth=2
	v_cmp_ne_u32_e32 vcc, 0, v3
	v_mov_b32_e32 v2, 0
	s_and_saveexec_b64 s[60:61], vcc
	s_cbranch_execz .LBB6_182
; %bb.177:                              ;   in Loop: Header=BB6_124 Depth=2
	v_bfe_u32 v2, v3, 23, 8
	v_sub_u32_e32 v4, 0x79, v2
	v_cmp_gt_u32_e32 vcc, s77, v2
	v_cndmask_b32_e32 v4, 0, v4, vcc
	v_cmp_eq_u32_e32 vcc, 0, v2
	v_add_u32_e32 v3, 0xffffff81, v2
	v_or_b32_e32 v6, 0x800000, v38
	v_mov_b32_e32 v2, 0xffffff82
	v_cndmask_b32_e32 v4, v4, v20, vcc
	v_cndmask_b32_e32 v7, v3, v2, vcc
	;; [unrolled: 1-line block ×3, first 2 shown]
	v_add_u32_e32 v2, 20, v4
	v_lshlrev_b64 v[2:3], v2, -1
	v_add_u32_e32 v6, 19, v4
	v_lshrrev_b64 v[14:15], v4, v[38:39]
	v_not_b32_e32 v3, v3
	v_not_b32_e32 v2, v2
	v_lshlrev_b64 v[8:9], v6, 1
	v_lshrrev_b32_e32 v6, 23, v14
	v_and_b32_e32 v3, 0, v3
	v_and_b32_e32 v2, v38, v2
	v_add3_u32 v7, v4, v7, v6
	v_bfe_u32 v4, v14, 20, 1
	v_add_u32_e32 v4, -1, v4
	v_cmp_eq_u64_e32 vcc, v[2:3], v[8:9]
	v_cndmask_b32_e32 v2, 0, v4, vcc
	v_add_u32_e32 v2, v2, v14
	v_and_b32_e32 v2, 0xfffff, v2
	v_add_co_u32_e32 v2, vcc, v2, v14
	v_add_u32_e32 v6, 6, v7
	v_addc_co_u32_e32 v3, vcc, 0, v15, vcc
	v_cmp_ne_u32_e32 vcc, 0, v6
                                        ; implicit-def: $vgpr4
	s_and_saveexec_b64 s[22:23], vcc
	s_xor_b64 s[22:23], exec, s[22:23]
; %bb.178:                              ;   in Loop: Header=BB6_124 Depth=2
	v_add_u32_e32 v4, 7, v7
	v_cmp_lt_u64_e32 vcc, s[48:49], v[2:3]
	v_cndmask_b32_e32 v4, v6, v4, vcc
	v_cndmask_b32_e64 v6, 0, 1, vcc
	v_lshrrev_b64 v[2:3], v6, v[2:3]
; %bb.179:                              ;   in Loop: Header=BB6_124 Depth=2
	s_andn2_saveexec_b64 s[22:23], s[22:23]
; %bb.180:                              ;   in Loop: Header=BB6_124 Depth=2
	v_bfe_u32 v4, v2, 23, 1
; %bb.181:                              ;   in Loop: Header=BB6_124 Depth=2
	s_or_b64 exec, exec, s[22:23]
	v_lshrrev_b64 v[2:3], 20, v[2:3]
	v_cmp_gt_i32_e32 vcc, 16, v4
	v_cndmask_b32_e32 v3, 0, v3, vcc
	v_cndmask_b32_e32 v2, 7, v2, vcc
	v_cmp_eq_u64_e64 s[22:23], 0, v[2:3]
	v_min_i32_e32 v3, 15, v4
	v_cmp_eq_u32_e32 vcc, 0, v4
	v_lshlrev_b32_e32 v3, 3, v3
	v_and_or_b32 v2, v2, 7, v3
	s_and_b64 s[22:23], vcc, s[22:23]
	v_cndmask_b32_e64 v2, v2, 0, s[22:23]
	v_or_b32_e32 v2, v2, v1
.LBB6_182:                              ;   in Loop: Header=BB6_124 Depth=2
	s_or_b64 exec, exec, s[60:61]
.LBB6_183:                              ;   in Loop: Header=BB6_124 Depth=2
	s_or_b64 exec, exec, s[58:59]
                                        ; implicit-def: $vgpr3
.LBB6_184:                              ;   in Loop: Header=BB6_124 Depth=2
	s_andn2_saveexec_b64 s[22:23], s[56:57]
; %bb.185:                              ;   in Loop: Header=BB6_124 Depth=2
	v_or_b32_sdwa v1, v3, s75 dst_sel:DWORD dst_unused:UNUSED_PAD src0_sel:BYTE_3 src1_sel:DWORD
	v_cmp_eq_u64_e32 vcc, 0, v[38:39]
	v_cndmask_b32_e32 v2, v1, v2, vcc
; %bb.186:                              ;   in Loop: Header=BB6_124 Depth=2
	s_or_b64 exec, exec, s[22:23]
	v_cmp_lt_u32_e32 vcc, s47, v10
	v_mov_b32_e32 v1, 0
	s_and_saveexec_b64 s[22:23], vcc
	s_cbranch_execz .LBB6_192
; %bb.187:                              ;   in Loop: Header=BB6_124 Depth=2
	v_lshrrev_b32_e32 v14, 24, v10
	v_cmp_ne_u32_e32 vcc, s76, v14
	v_bfrev_b32_e32 v1, 1
	s_and_saveexec_b64 s[56:57], vcc
	s_cbranch_execz .LBB6_191
; %bb.188:                              ;   in Loop: Header=BB6_124 Depth=2
	v_bfe_u32 v3, v10, 24, 7
	v_cmp_ne_u32_e32 vcc, s75, v3
	v_mov_b32_e32 v1, 0x7f800001
	s_and_saveexec_b64 s[58:59], vcc
	s_cbranch_execz .LBB6_190
; %bb.189:                              ;   in Loop: Header=BB6_124 Depth=2
	v_and_b32_e32 v1, 7, v14
	v_ffbh_u32_e32 v6, v1
	v_min_u32_e32 v8, 32, v6
	v_subrev_u32_e32 v6, 28, v8
	v_lshlrev_b64 v[6:7], v6, v[14:15]
	v_lshrrev_b32_e32 v4, 3, v3
	v_sub_u32_e32 v7, 29, v8
	v_and_b32_e32 v6, 7, v6
	v_cmp_gt_u32_e32 vcc, 8, v3
	v_cndmask_b32_e32 v3, v4, v7, vcc
	v_cndmask_b32_e32 v1, v1, v6, vcc
	v_lshlrev_b32_e32 v4, 24, v14
	v_lshlrev_b32_e32 v1, 20, v1
	v_and_b32_e32 v4, 0x80000000, v4
	v_lshl_add_u32 v3, v3, 23, v31
	v_or3_b32 v1, v4, v3, v1
.LBB6_190:                              ;   in Loop: Header=BB6_124 Depth=2
	s_or_b64 exec, exec, s[58:59]
.LBB6_191:                              ;   in Loop: Header=BB6_124 Depth=2
	s_or_b64 exec, exec, s[56:57]
.LBB6_192:                              ;   in Loop: Header=BB6_124 Depth=2
	s_or_b64 exec, exec, s[22:23]
	v_mul_f32_e32 v3, v5, v1
	v_and_b32_sdwa v1, v3, s76 dst_sel:DWORD dst_unused:UNUSED_PAD src0_sel:BYTE_3 src1_sel:DWORD
	v_and_b32_e32 v6, 0x7f800000, v3
	v_mov_b32_e32 v7, v39
	v_and_b32_e32 v38, 0x7fffff, v3
	v_or_b32_e32 v35, 0x7e, v1
	v_cmp_ne_u64_e32 vcc, s[42:43], v[6:7]
	s_and_saveexec_b64 s[22:23], vcc
	s_xor_b64 s[56:57], exec, s[22:23]
	s_cbranch_execz .LBB6_202
; %bb.193:                              ;   in Loop: Header=BB6_124 Depth=2
	v_and_b32_e32 v6, 0x7fffffff, v3
	v_mov_b32_e32 v7, v39
	v_cmp_gt_u64_e32 vcc, s[44:45], v[6:7]
	s_and_saveexec_b64 s[58:59], vcc
	s_cbranch_execz .LBB6_201
; %bb.194:                              ;   in Loop: Header=BB6_124 Depth=2
	v_cmp_ne_u32_e32 vcc, 0, v3
	v_mov_b32_e32 v35, 0
	s_and_saveexec_b64 s[60:61], vcc
	s_cbranch_execz .LBB6_200
; %bb.195:                              ;   in Loop: Header=BB6_124 Depth=2
	v_bfe_u32 v3, v3, 23, 8
	v_sub_u32_e32 v6, 0x79, v3
	v_cmp_gt_u32_e32 vcc, s77, v3
	v_add_u32_e32 v4, 0xffffff81, v3
	v_cndmask_b32_e32 v6, 0, v6, vcc
	v_cmp_eq_u32_e32 vcc, 0, v3
	v_mov_b32_e32 v3, 0xffffff82
	v_cndmask_b32_e32 v3, v4, v3, vcc
	v_cndmask_b32_e32 v4, v6, v20, vcc
	v_or_b32_e32 v7, 0x800000, v38
	v_add_u32_e32 v6, 20, v4
	v_cndmask_b32_e32 v38, v7, v38, vcc
	v_lshlrev_b64 v[6:7], v6, -1
	v_not_b32_e32 v6, v6
	v_and_b32_e32 v8, v38, v6
	v_add_u32_e32 v6, 19, v4
	v_lshrrev_b64 v[16:17], v4, v[38:39]
	v_not_b32_e32 v7, v7
	v_lshlrev_b64 v[14:15], v6, 1
	v_lshrrev_b32_e32 v6, 23, v16
	v_and_b32_e32 v9, 0, v7
	v_add3_u32 v6, v4, v3, v6
	v_bfe_u32 v3, v16, 20, 1
	v_add_u32_e32 v3, -1, v3
	v_cmp_eq_u64_e32 vcc, v[8:9], v[14:15]
	v_cndmask_b32_e32 v3, 0, v3, vcc
	v_add_u32_e32 v3, v3, v16
	v_and_b32_e32 v3, 0xfffff, v3
	v_add_co_u32_e32 v14, vcc, v3, v16
	v_add_u32_e32 v4, 6, v6
	v_addc_co_u32_e32 v15, vcc, 0, v17, vcc
	v_cmp_ne_u32_e32 vcc, 0, v4
                                        ; implicit-def: $vgpr3
	s_and_saveexec_b64 s[22:23], vcc
	s_xor_b64 s[22:23], exec, s[22:23]
; %bb.196:                              ;   in Loop: Header=BB6_124 Depth=2
	v_add_u32_e32 v3, 7, v6
	v_cmp_lt_u64_e32 vcc, s[48:49], v[14:15]
	v_cndmask_b32_e32 v3, v4, v3, vcc
	v_cndmask_b32_e64 v4, 0, 1, vcc
	v_lshrrev_b64 v[14:15], v4, v[14:15]
; %bb.197:                              ;   in Loop: Header=BB6_124 Depth=2
	s_andn2_saveexec_b64 s[22:23], s[22:23]
; %bb.198:                              ;   in Loop: Header=BB6_124 Depth=2
	v_bfe_u32 v3, v14, 23, 1
; %bb.199:                              ;   in Loop: Header=BB6_124 Depth=2
	s_or_b64 exec, exec, s[22:23]
	v_lshrrev_b64 v[6:7], 20, v[14:15]
	v_cmp_gt_i32_e32 vcc, 16, v3
	v_cndmask_b32_e32 v7, 0, v7, vcc
	v_cndmask_b32_e32 v6, 7, v6, vcc
	v_cmp_eq_u32_e32 vcc, 0, v3
	v_min_i32_e32 v3, 15, v3
	v_cmp_eq_u64_e64 s[22:23], 0, v[6:7]
	v_lshlrev_b32_e32 v3, 3, v3
	v_and_or_b32 v3, v6, 7, v3
	s_and_b64 s[22:23], vcc, s[22:23]
	v_cndmask_b32_e64 v3, v3, 0, s[22:23]
	v_or_b32_e32 v35, v3, v1
.LBB6_200:                              ;   in Loop: Header=BB6_124 Depth=2
	s_or_b64 exec, exec, s[60:61]
.LBB6_201:                              ;   in Loop: Header=BB6_124 Depth=2
	s_or_b64 exec, exec, s[58:59]
                                        ; implicit-def: $vgpr3
.LBB6_202:                              ;   in Loop: Header=BB6_124 Depth=2
	s_andn2_saveexec_b64 s[22:23], s[56:57]
; %bb.203:                              ;   in Loop: Header=BB6_124 Depth=2
	v_or_b32_sdwa v1, v3, s75 dst_sel:DWORD dst_unused:UNUSED_PAD src0_sel:BYTE_3 src1_sel:DWORD
	v_cmp_eq_u64_e32 vcc, 0, v[38:39]
	v_cndmask_b32_e32 v35, v1, v35, vcc
; %bb.204:                              ;   in Loop: Header=BB6_124 Depth=2
	s_or_b64 exec, exec, s[22:23]
	v_mov_b32_e32 v38, v11
	v_cmp_ne_u16_sdwa vcc, v11, v39 src0_sel:BYTE_0 src1_sel:DWORD
	v_mov_b32_e32 v1, 0
	s_and_saveexec_b64 s[22:23], vcc
	s_cbranch_execz .LBB6_210
; %bb.205:                              ;   in Loop: Header=BB6_124 Depth=2
	v_cmp_ne_u16_sdwa vcc, v11, s76 src0_sel:BYTE_0 src1_sel:DWORD
	v_bfrev_b32_e32 v1, 1
	s_and_saveexec_b64 s[56:57], vcc
	s_cbranch_execz .LBB6_209
; %bb.206:                              ;   in Loop: Header=BB6_124 Depth=2
	v_and_b32_e32 v3, 0x7f, v11
	v_cmp_ne_u32_e32 vcc, s75, v3
	v_mov_b32_e32 v1, 0x7f800001
	s_and_saveexec_b64 s[58:59], vcc
	s_cbranch_execz .LBB6_208
; %bb.207:                              ;   in Loop: Header=BB6_124 Depth=2
	v_and_b32_e32 v1, 7, v11
	v_ffbh_u32_e32 v1, v1
	v_min_u32_e32 v1, 32, v1
	v_subrev_u32_e32 v6, 28, v1
	v_cmp_gt_u32_e32 vcc, 8, v3
	v_lshrrev_b32_e32 v4, 3, v3
	v_cndmask_b32_e32 v3, 0, v6, vcc
	v_sub_u32_e32 v1, 29, v1
	v_lshlrev_b64 v[6:7], v3, v[38:39]
	v_cndmask_b32_e32 v1, v4, v1, vcc
	v_lshlrev_b32_e32 v3, 20, v6
	v_lshlrev_b32_e32 v4, 24, v38
	v_and_b32_e32 v3, 0x700000, v3
	v_and_b32_e32 v4, 0x80000000, v4
	v_lshl_add_u32 v1, v1, 23, v31
	v_or3_b32 v1, v4, v1, v3
.LBB6_208:                              ;   in Loop: Header=BB6_124 Depth=2
	s_or_b64 exec, exec, s[58:59]
.LBB6_209:                              ;   in Loop: Header=BB6_124 Depth=2
	s_or_b64 exec, exec, s[56:57]
.LBB6_210:                              ;   in Loop: Header=BB6_124 Depth=2
	s_or_b64 exec, exec, s[22:23]
	v_mul_f32_e32 v3, v5, v1
	v_and_b32_sdwa v1, v3, s76 dst_sel:DWORD dst_unused:UNUSED_PAD src0_sel:BYTE_3 src1_sel:DWORD
	v_and_b32_e32 v8, 0x7f800000, v3
	v_mov_b32_e32 v9, v39
	v_and_b32_e32 v14, 0x7fffff, v3
	v_mov_b32_e32 v15, v39
	v_or_b32_e32 v6, 0x7e, v1
	v_cmp_ne_u64_e32 vcc, s[42:43], v[8:9]
	s_and_saveexec_b64 s[22:23], vcc
	s_xor_b64 s[56:57], exec, s[22:23]
	s_cbranch_execz .LBB6_220
; %bb.211:                              ;   in Loop: Header=BB6_124 Depth=2
	v_and_b32_e32 v8, 0x7fffffff, v3
	v_mov_b32_e32 v9, v39
	v_cmp_gt_u64_e32 vcc, s[44:45], v[8:9]
	s_and_saveexec_b64 s[58:59], vcc
	s_cbranch_execz .LBB6_219
; %bb.212:                              ;   in Loop: Header=BB6_124 Depth=2
	v_cmp_ne_u32_e32 vcc, 0, v3
	v_mov_b32_e32 v6, 0
	s_and_saveexec_b64 s[60:61], vcc
	s_cbranch_execz .LBB6_218
; %bb.213:                              ;   in Loop: Header=BB6_124 Depth=2
	v_bfe_u32 v3, v3, 23, 8
	v_sub_u32_e32 v6, 0x79, v3
	v_cmp_gt_u32_e32 vcc, s77, v3
	v_add_u32_e32 v4, 0xffffff81, v3
	v_cndmask_b32_e32 v6, 0, v6, vcc
	v_cmp_eq_u32_e32 vcc, 0, v3
	v_mov_b32_e32 v3, 0xffffff82
	v_cndmask_b32_e32 v3, v4, v3, vcc
	v_cndmask_b32_e32 v4, v6, v20, vcc
	v_or_b32_e32 v7, 0x800000, v14
	v_add_u32_e32 v6, 20, v4
	v_cndmask_b32_e32 v14, v7, v14, vcc
	v_lshlrev_b64 v[6:7], v6, -1
	v_not_b32_e32 v6, v6
	v_and_b32_e32 v8, v14, v6
	v_add_u32_e32 v6, 19, v4
	v_lshrrev_b64 v[14:15], v4, v[14:15]
	v_not_b32_e32 v7, v7
	v_lshlrev_b64 v[16:17], v6, 1
	v_lshrrev_b32_e32 v6, 23, v14
	v_and_b32_e32 v9, 0, v7
	v_add3_u32 v6, v4, v3, v6
	v_bfe_u32 v3, v14, 20, 1
	v_add_u32_e32 v3, -1, v3
	v_cmp_eq_u64_e32 vcc, v[8:9], v[16:17]
	v_cndmask_b32_e32 v3, 0, v3, vcc
	v_add_u32_e32 v3, v3, v14
	v_and_b32_e32 v3, 0xfffff, v3
	v_add_co_u32_e32 v14, vcc, v3, v14
	v_add_u32_e32 v4, 6, v6
	v_addc_co_u32_e32 v15, vcc, 0, v15, vcc
	v_cmp_ne_u32_e32 vcc, 0, v4
                                        ; implicit-def: $vgpr3
	s_and_saveexec_b64 s[22:23], vcc
	s_xor_b64 s[22:23], exec, s[22:23]
; %bb.214:                              ;   in Loop: Header=BB6_124 Depth=2
	v_add_u32_e32 v3, 7, v6
	v_cmp_lt_u64_e32 vcc, s[48:49], v[14:15]
	v_cndmask_b32_e32 v3, v4, v3, vcc
	v_cndmask_b32_e64 v4, 0, 1, vcc
	v_lshrrev_b64 v[14:15], v4, v[14:15]
; %bb.215:                              ;   in Loop: Header=BB6_124 Depth=2
	s_andn2_saveexec_b64 s[22:23], s[22:23]
; %bb.216:                              ;   in Loop: Header=BB6_124 Depth=2
	v_bfe_u32 v3, v14, 23, 1
; %bb.217:                              ;   in Loop: Header=BB6_124 Depth=2
	s_or_b64 exec, exec, s[22:23]
	v_lshrrev_b64 v[6:7], 20, v[14:15]
	v_cmp_gt_i32_e32 vcc, 16, v3
	v_cndmask_b32_e32 v7, 0, v7, vcc
	v_cndmask_b32_e32 v6, 7, v6, vcc
	v_cmp_eq_u32_e32 vcc, 0, v3
	v_min_i32_e32 v3, 15, v3
	v_cmp_eq_u64_e64 s[22:23], 0, v[6:7]
	v_lshlrev_b32_e32 v3, 3, v3
	v_and_or_b32 v3, v6, 7, v3
	s_and_b64 s[22:23], vcc, s[22:23]
	v_cndmask_b32_e64 v3, v3, 0, s[22:23]
	v_or_b32_e32 v6, v3, v1
.LBB6_218:                              ;   in Loop: Header=BB6_124 Depth=2
	s_or_b64 exec, exec, s[60:61]
.LBB6_219:                              ;   in Loop: Header=BB6_124 Depth=2
	s_or_b64 exec, exec, s[58:59]
                                        ; implicit-def: $vgpr3
                                        ; implicit-def: $vgpr14_vgpr15
.LBB6_220:                              ;   in Loop: Header=BB6_124 Depth=2
	s_andn2_saveexec_b64 s[22:23], s[56:57]
; %bb.221:                              ;   in Loop: Header=BB6_124 Depth=2
	v_or_b32_sdwa v1, v3, s75 dst_sel:DWORD dst_unused:UNUSED_PAD src0_sel:BYTE_3 src1_sel:DWORD
	v_cmp_eq_u64_e32 vcc, 0, v[14:15]
	v_cndmask_b32_e32 v6, v1, v6, vcc
; %bb.222:                              ;   in Loop: Header=BB6_124 Depth=2
	s_or_b64 exec, exec, s[22:23]
	v_lshrrev_b16_e32 v14, 8, v38
	v_cmp_ne_u16_e32 vcc, 0, v14
	v_mov_b32_e32 v1, 0
	s_and_saveexec_b64 s[22:23], vcc
	s_cbranch_execz .LBB6_228
; %bb.223:                              ;   in Loop: Header=BB6_124 Depth=2
	v_cmp_ne_u16_e32 vcc, s76, v14
	v_bfrev_b32_e32 v1, 1
	s_and_saveexec_b64 s[56:57], vcc
	s_cbranch_execz .LBB6_227
; %bb.224:                              ;   in Loop: Header=BB6_124 Depth=2
	v_and_b32_e32 v3, 0x7f, v14
	v_cmp_ne_u32_e32 vcc, s75, v3
	v_mov_b32_e32 v1, 0x7f800001
	s_and_saveexec_b64 s[58:59], vcc
	s_cbranch_execz .LBB6_226
; %bb.225:                              ;   in Loop: Header=BB6_124 Depth=2
	v_and_b32_e32 v1, 7, v14
	v_ffbh_u32_e32 v7, v1
	v_min_u32_e32 v7, 32, v7
	v_subrev_u32_e32 v8, 28, v7
	v_lshlrev_b64 v[8:9], v8, v[14:15]
	v_lshrrev_b32_e32 v4, 3, v3
	v_sub_u32_e32 v7, 29, v7
	v_and_b32_e32 v8, 7, v8
	v_cmp_gt_u32_e32 vcc, 8, v3
	v_cndmask_b32_e32 v3, v4, v7, vcc
	v_cndmask_b32_e32 v1, v1, v8, vcc
	v_lshlrev_b32_e32 v4, 16, v38
	v_lshlrev_b32_e32 v1, 20, v1
	v_and_b32_e32 v4, 0x80000000, v4
	v_lshl_add_u32 v3, v3, 23, v31
	v_or3_b32 v1, v4, v3, v1
.LBB6_226:                              ;   in Loop: Header=BB6_124 Depth=2
	s_or_b64 exec, exec, s[58:59]
.LBB6_227:                              ;   in Loop: Header=BB6_124 Depth=2
	s_or_b64 exec, exec, s[56:57]
.LBB6_228:                              ;   in Loop: Header=BB6_124 Depth=2
	s_or_b64 exec, exec, s[22:23]
	v_mul_f32_e32 v3, v5, v1
	v_and_b32_sdwa v1, v3, s76 dst_sel:DWORD dst_unused:UNUSED_PAD src0_sel:BYTE_3 src1_sel:DWORD
	v_and_b32_e32 v8, 0x7f800000, v3
	v_mov_b32_e32 v9, v39
	v_and_b32_e32 v38, 0x7fffff, v3
	v_or_b32_e32 v61, 0x7e, v1
	v_cmp_ne_u64_e32 vcc, s[42:43], v[8:9]
	s_and_saveexec_b64 s[22:23], vcc
	s_xor_b64 s[56:57], exec, s[22:23]
	s_cbranch_execz .LBB6_238
; %bb.229:                              ;   in Loop: Header=BB6_124 Depth=2
	v_and_b32_e32 v8, 0x7fffffff, v3
	v_mov_b32_e32 v9, v39
	v_cmp_gt_u64_e32 vcc, s[44:45], v[8:9]
	s_and_saveexec_b64 s[58:59], vcc
	s_cbranch_execz .LBB6_237
; %bb.230:                              ;   in Loop: Header=BB6_124 Depth=2
	v_cmp_ne_u32_e32 vcc, 0, v3
	v_mov_b32_e32 v61, 0
	s_and_saveexec_b64 s[60:61], vcc
	s_cbranch_execz .LBB6_236
; %bb.231:                              ;   in Loop: Header=BB6_124 Depth=2
	v_bfe_u32 v3, v3, 23, 8
	v_sub_u32_e32 v7, 0x79, v3
	v_cmp_gt_u32_e32 vcc, s77, v3
	v_add_u32_e32 v4, 0xffffff81, v3
	v_cndmask_b32_e32 v7, 0, v7, vcc
	v_cmp_eq_u32_e32 vcc, 0, v3
	v_mov_b32_e32 v3, 0xffffff82
	v_cndmask_b32_e32 v3, v4, v3, vcc
	v_cndmask_b32_e32 v4, v7, v20, vcc
	v_or_b32_e32 v8, 0x800000, v38
	v_add_u32_e32 v7, 20, v4
	v_cndmask_b32_e32 v38, v8, v38, vcc
	v_lshlrev_b64 v[8:9], v7, -1
	v_not_b32_e32 v7, v9
	v_and_b32_e32 v9, 0, v7
	v_add_u32_e32 v7, 19, v4
	v_lshrrev_b64 v[16:17], v4, v[38:39]
	v_not_b32_e32 v8, v8
	v_lshlrev_b64 v[14:15], v7, 1
	v_lshrrev_b32_e32 v7, 23, v16
	v_and_b32_e32 v8, v38, v8
	v_add3_u32 v7, v4, v3, v7
	v_bfe_u32 v3, v16, 20, 1
	v_add_u32_e32 v3, -1, v3
	v_cmp_eq_u64_e32 vcc, v[8:9], v[14:15]
	v_cndmask_b32_e32 v3, 0, v3, vcc
	v_add_u32_e32 v3, v3, v16
	v_and_b32_e32 v3, 0xfffff, v3
	v_add_co_u32_e32 v14, vcc, v3, v16
	v_add_u32_e32 v4, 6, v7
	v_addc_co_u32_e32 v15, vcc, 0, v17, vcc
	v_cmp_ne_u32_e32 vcc, 0, v4
                                        ; implicit-def: $vgpr3
	s_and_saveexec_b64 s[22:23], vcc
	s_xor_b64 s[22:23], exec, s[22:23]
; %bb.232:                              ;   in Loop: Header=BB6_124 Depth=2
	v_add_u32_e32 v3, 7, v7
	v_cmp_lt_u64_e32 vcc, s[48:49], v[14:15]
	v_cndmask_b32_e32 v3, v4, v3, vcc
	v_cndmask_b32_e64 v4, 0, 1, vcc
	v_lshrrev_b64 v[14:15], v4, v[14:15]
; %bb.233:                              ;   in Loop: Header=BB6_124 Depth=2
	s_andn2_saveexec_b64 s[22:23], s[22:23]
; %bb.234:                              ;   in Loop: Header=BB6_124 Depth=2
	v_bfe_u32 v3, v14, 23, 1
; %bb.235:                              ;   in Loop: Header=BB6_124 Depth=2
	s_or_b64 exec, exec, s[22:23]
	v_lshrrev_b64 v[8:9], 20, v[14:15]
	v_cmp_gt_i32_e32 vcc, 16, v3
	v_cndmask_b32_e32 v9, 0, v9, vcc
	v_cndmask_b32_e32 v8, 7, v8, vcc
	v_cmp_eq_u32_e32 vcc, 0, v3
	v_min_i32_e32 v3, 15, v3
	v_lshlrev_b32_e32 v3, 3, v3
	v_cmp_eq_u64_e64 s[22:23], 0, v[8:9]
	v_and_b32_e32 v3, 0xf8, v3
	v_and_or_b32 v3, v8, 7, v3
	s_and_b64 s[22:23], vcc, s[22:23]
	v_cndmask_b32_e64 v3, v3, 0, s[22:23]
	v_or_b32_e32 v61, v3, v1
.LBB6_236:                              ;   in Loop: Header=BB6_124 Depth=2
	s_or_b64 exec, exec, s[60:61]
.LBB6_237:                              ;   in Loop: Header=BB6_124 Depth=2
	s_or_b64 exec, exec, s[58:59]
                                        ; implicit-def: $vgpr3
.LBB6_238:                              ;   in Loop: Header=BB6_124 Depth=2
	s_andn2_saveexec_b64 s[22:23], s[56:57]
; %bb.239:                              ;   in Loop: Header=BB6_124 Depth=2
	v_or_b32_sdwa v1, v3, s75 dst_sel:DWORD dst_unused:UNUSED_PAD src0_sel:BYTE_3 src1_sel:DWORD
	v_cmp_eq_u64_e32 vcc, 0, v[38:39]
	v_cndmask_b32_e32 v61, v1, v61, vcc
; %bb.240:                              ;   in Loop: Header=BB6_124 Depth=2
	s_or_b64 exec, exec, s[22:23]
	v_lshrrev_b32_e32 v14, 16, v11
	v_cmp_ne_u16_sdwa vcc, v14, v39 src0_sel:BYTE_0 src1_sel:DWORD
	v_mov_b32_e32 v1, 0
	s_and_saveexec_b64 s[22:23], vcc
	s_cbranch_execz .LBB6_246
; %bb.241:                              ;   in Loop: Header=BB6_124 Depth=2
	v_cmp_ne_u16_sdwa vcc, v14, s76 src0_sel:BYTE_0 src1_sel:DWORD
	v_bfrev_b32_e32 v1, 1
	s_and_saveexec_b64 s[56:57], vcc
	s_cbranch_execz .LBB6_245
; %bb.242:                              ;   in Loop: Header=BB6_124 Depth=2
	v_bfe_u32 v3, v11, 16, 7
	v_cmp_ne_u32_e32 vcc, s75, v3
	v_mov_b32_e32 v1, 0x7f800001
	s_and_saveexec_b64 s[58:59], vcc
	s_cbranch_execz .LBB6_244
; %bb.243:                              ;   in Loop: Header=BB6_124 Depth=2
	v_and_b32_e32 v1, 7, v14
	v_ffbh_u32_e32 v7, v1
	v_min_u32_e32 v7, 32, v7
	v_subrev_u32_e32 v8, 28, v7
	v_lshlrev_b64 v[8:9], v8, v[14:15]
	v_lshrrev_b32_e32 v4, 3, v3
	v_sub_u32_e32 v7, 29, v7
	v_and_b32_e32 v8, 7, v8
	v_cmp_gt_u32_e32 vcc, 8, v3
	v_cndmask_b32_e32 v3, v4, v7, vcc
	v_cndmask_b32_e32 v1, v1, v8, vcc
	v_lshlrev_b32_e32 v4, 24, v14
	v_lshlrev_b32_e32 v1, 20, v1
	v_and_b32_e32 v4, 0x80000000, v4
	v_lshl_add_u32 v3, v3, 23, v31
	v_or3_b32 v1, v4, v3, v1
.LBB6_244:                              ;   in Loop: Header=BB6_124 Depth=2
	s_or_b64 exec, exec, s[58:59]
.LBB6_245:                              ;   in Loop: Header=BB6_124 Depth=2
	s_or_b64 exec, exec, s[56:57]
.LBB6_246:                              ;   in Loop: Header=BB6_124 Depth=2
	s_or_b64 exec, exec, s[22:23]
	v_mul_f32_e32 v3, v5, v1
	v_and_b32_sdwa v1, v3, s76 dst_sel:DWORD dst_unused:UNUSED_PAD src0_sel:BYTE_3 src1_sel:DWORD
	v_and_b32_e32 v8, 0x7f800000, v3
	v_mov_b32_e32 v9, v39
	v_and_b32_e32 v38, 0x7fffff, v3
	v_or_b32_e32 v42, 0x7e, v1
	v_cmp_ne_u64_e32 vcc, s[42:43], v[8:9]
	s_and_saveexec_b64 s[22:23], vcc
	s_xor_b64 s[56:57], exec, s[22:23]
	s_cbranch_execz .LBB6_256
; %bb.247:                              ;   in Loop: Header=BB6_124 Depth=2
	v_and_b32_e32 v8, 0x7fffffff, v3
	v_mov_b32_e32 v9, v39
	v_cmp_gt_u64_e32 vcc, s[44:45], v[8:9]
	s_and_saveexec_b64 s[58:59], vcc
	s_cbranch_execz .LBB6_255
; %bb.248:                              ;   in Loop: Header=BB6_124 Depth=2
	v_cmp_ne_u32_e32 vcc, 0, v3
	v_mov_b32_e32 v42, 0
	s_and_saveexec_b64 s[60:61], vcc
	s_cbranch_execz .LBB6_254
; %bb.249:                              ;   in Loop: Header=BB6_124 Depth=2
	v_bfe_u32 v3, v3, 23, 8
	v_sub_u32_e32 v7, 0x79, v3
	v_cmp_gt_u32_e32 vcc, s77, v3
	v_add_u32_e32 v4, 0xffffff81, v3
	v_cndmask_b32_e32 v7, 0, v7, vcc
	v_cmp_eq_u32_e32 vcc, 0, v3
	v_mov_b32_e32 v3, 0xffffff82
	v_cndmask_b32_e32 v3, v4, v3, vcc
	v_cndmask_b32_e32 v4, v7, v20, vcc
	v_or_b32_e32 v8, 0x800000, v38
	v_add_u32_e32 v7, 20, v4
	v_cndmask_b32_e32 v38, v8, v38, vcc
	v_lshlrev_b64 v[8:9], v7, -1
	v_not_b32_e32 v7, v9
	v_and_b32_e32 v9, 0, v7
	v_add_u32_e32 v7, 19, v4
	v_lshrrev_b64 v[16:17], v4, v[38:39]
	v_not_b32_e32 v8, v8
	v_lshlrev_b64 v[14:15], v7, 1
	v_lshrrev_b32_e32 v7, 23, v16
	v_and_b32_e32 v8, v38, v8
	v_add3_u32 v7, v4, v3, v7
	v_bfe_u32 v3, v16, 20, 1
	v_add_u32_e32 v3, -1, v3
	v_cmp_eq_u64_e32 vcc, v[8:9], v[14:15]
	v_cndmask_b32_e32 v3, 0, v3, vcc
	v_add_u32_e32 v3, v3, v16
	v_and_b32_e32 v3, 0xfffff, v3
	v_add_co_u32_e32 v14, vcc, v3, v16
	v_add_u32_e32 v4, 6, v7
	v_addc_co_u32_e32 v15, vcc, 0, v17, vcc
	v_cmp_ne_u32_e32 vcc, 0, v4
                                        ; implicit-def: $vgpr3
	s_and_saveexec_b64 s[22:23], vcc
	s_xor_b64 s[22:23], exec, s[22:23]
; %bb.250:                              ;   in Loop: Header=BB6_124 Depth=2
	v_add_u32_e32 v3, 7, v7
	v_cmp_lt_u64_e32 vcc, s[48:49], v[14:15]
	v_cndmask_b32_e32 v3, v4, v3, vcc
	v_cndmask_b32_e64 v4, 0, 1, vcc
	v_lshrrev_b64 v[14:15], v4, v[14:15]
; %bb.251:                              ;   in Loop: Header=BB6_124 Depth=2
	s_andn2_saveexec_b64 s[22:23], s[22:23]
; %bb.252:                              ;   in Loop: Header=BB6_124 Depth=2
	v_bfe_u32 v3, v14, 23, 1
; %bb.253:                              ;   in Loop: Header=BB6_124 Depth=2
	s_or_b64 exec, exec, s[22:23]
	v_lshrrev_b64 v[8:9], 20, v[14:15]
	v_cmp_gt_i32_e32 vcc, 16, v3
	v_cndmask_b32_e32 v9, 0, v9, vcc
	v_cndmask_b32_e32 v8, 7, v8, vcc
	v_cmp_eq_u32_e32 vcc, 0, v3
	v_min_i32_e32 v3, 15, v3
	v_lshlrev_b32_e32 v3, 3, v3
	v_cmp_eq_u64_e64 s[22:23], 0, v[8:9]
	v_and_b32_e32 v3, 0xf8, v3
	v_and_or_b32 v3, v8, 7, v3
	s_and_b64 s[22:23], vcc, s[22:23]
	v_cndmask_b32_e64 v3, v3, 0, s[22:23]
	v_or_b32_e32 v42, v3, v1
.LBB6_254:                              ;   in Loop: Header=BB6_124 Depth=2
	s_or_b64 exec, exec, s[60:61]
.LBB6_255:                              ;   in Loop: Header=BB6_124 Depth=2
	s_or_b64 exec, exec, s[58:59]
                                        ; implicit-def: $vgpr3
.LBB6_256:                              ;   in Loop: Header=BB6_124 Depth=2
	s_andn2_saveexec_b64 s[22:23], s[56:57]
; %bb.257:                              ;   in Loop: Header=BB6_124 Depth=2
	v_or_b32_sdwa v1, v3, s75 dst_sel:DWORD dst_unused:UNUSED_PAD src0_sel:BYTE_3 src1_sel:DWORD
	v_cmp_eq_u64_e32 vcc, 0, v[38:39]
	v_cndmask_b32_e32 v42, v1, v42, vcc
; %bb.258:                              ;   in Loop: Header=BB6_124 Depth=2
	s_or_b64 exec, exec, s[22:23]
	v_cmp_lt_u64_e32 vcc, s[46:47], v[10:11]
	v_mov_b32_e32 v1, 0
	s_and_saveexec_b64 s[22:23], vcc
	s_cbranch_execz .LBB6_264
; %bb.259:                              ;   in Loop: Header=BB6_124 Depth=2
	v_lshrrev_b32_e32 v10, 24, v11
	v_cmp_ne_u32_e32 vcc, s76, v10
	v_bfrev_b32_e32 v1, 1
	s_and_saveexec_b64 s[56:57], vcc
	s_cbranch_execz .LBB6_263
; %bb.260:                              ;   in Loop: Header=BB6_124 Depth=2
	v_bfe_u32 v3, v11, 24, 7
	v_cmp_ne_u32_e32 vcc, s75, v3
	v_mov_b32_e32 v1, 0x7f800001
	s_and_saveexec_b64 s[58:59], vcc
	s_cbranch_execz .LBB6_262
; %bb.261:                              ;   in Loop: Header=BB6_124 Depth=2
	v_and_b32_e32 v1, 7, v10
	v_ffbh_u32_e32 v7, v1
	v_min_u32_e32 v7, 32, v7
	v_subrev_u32_e32 v8, 28, v7
	v_lshlrev_b64 v[8:9], v8, v[10:11]
	v_lshrrev_b32_e32 v4, 3, v3
	v_sub_u32_e32 v7, 29, v7
	v_and_b32_e32 v8, 7, v8
	v_cmp_gt_u32_e32 vcc, 8, v3
	v_cndmask_b32_e32 v3, v4, v7, vcc
	v_cndmask_b32_e32 v1, v1, v8, vcc
	v_lshlrev_b32_e32 v4, 24, v10
	v_lshlrev_b32_e32 v1, 20, v1
	v_and_b32_e32 v4, 0x80000000, v4
	v_lshl_add_u32 v3, v3, 23, v31
	v_or3_b32 v1, v4, v3, v1
.LBB6_262:                              ;   in Loop: Header=BB6_124 Depth=2
	s_or_b64 exec, exec, s[58:59]
.LBB6_263:                              ;   in Loop: Header=BB6_124 Depth=2
	s_or_b64 exec, exec, s[56:57]
.LBB6_264:                              ;   in Loop: Header=BB6_124 Depth=2
	s_or_b64 exec, exec, s[22:23]
	v_mul_f32_e32 v3, v5, v1
	v_and_b32_sdwa v1, v3, s76 dst_sel:DWORD dst_unused:UNUSED_PAD src0_sel:BYTE_3 src1_sel:DWORD
	v_and_b32_e32 v8, 0x7f800000, v3
	v_mov_b32_e32 v9, v39
	v_and_b32_e32 v38, 0x7fffff, v3
	v_or_b32_e32 v49, 0x7e, v1
	v_cmp_ne_u64_e32 vcc, s[42:43], v[8:9]
	s_and_saveexec_b64 s[22:23], vcc
	s_xor_b64 s[56:57], exec, s[22:23]
	s_cbranch_execz .LBB6_274
; %bb.265:                              ;   in Loop: Header=BB6_124 Depth=2
	v_and_b32_e32 v8, 0x7fffffff, v3
	v_mov_b32_e32 v9, v39
	v_cmp_gt_u64_e32 vcc, s[44:45], v[8:9]
	s_and_saveexec_b64 s[58:59], vcc
	s_cbranch_execz .LBB6_273
; %bb.266:                              ;   in Loop: Header=BB6_124 Depth=2
	v_cmp_ne_u32_e32 vcc, 0, v3
	v_mov_b32_e32 v49, 0
	s_and_saveexec_b64 s[60:61], vcc
	s_cbranch_execz .LBB6_272
; %bb.267:                              ;   in Loop: Header=BB6_124 Depth=2
	v_bfe_u32 v3, v3, 23, 8
	v_sub_u32_e32 v7, 0x79, v3
	v_cmp_gt_u32_e32 vcc, s77, v3
	v_add_u32_e32 v4, 0xffffff81, v3
	v_cndmask_b32_e32 v7, 0, v7, vcc
	v_cmp_eq_u32_e32 vcc, 0, v3
	v_mov_b32_e32 v3, 0xffffff82
	v_cndmask_b32_e32 v3, v4, v3, vcc
	v_cndmask_b32_e32 v4, v7, v20, vcc
	v_or_b32_e32 v8, 0x800000, v38
	v_add_u32_e32 v7, 20, v4
	v_cndmask_b32_e32 v38, v8, v38, vcc
	v_lshlrev_b64 v[8:9], v7, -1
	v_not_b32_e32 v7, v9
	v_and_b32_e32 v9, 0, v7
	v_add_u32_e32 v7, 19, v4
	v_lshrrev_b64 v[14:15], v4, v[38:39]
	v_not_b32_e32 v8, v8
	v_lshlrev_b64 v[10:11], v7, 1
	v_lshrrev_b32_e32 v7, 23, v14
	v_and_b32_e32 v8, v38, v8
	v_add3_u32 v7, v4, v3, v7
	v_bfe_u32 v3, v14, 20, 1
	v_add_u32_e32 v3, -1, v3
	v_cmp_eq_u64_e32 vcc, v[8:9], v[10:11]
	v_cndmask_b32_e32 v3, 0, v3, vcc
	v_add_u32_e32 v3, v3, v14
	v_and_b32_e32 v3, 0xfffff, v3
	v_add_co_u32_e32 v10, vcc, v3, v14
	v_add_u32_e32 v4, 6, v7
	v_addc_co_u32_e32 v11, vcc, 0, v15, vcc
	v_cmp_ne_u32_e32 vcc, 0, v4
                                        ; implicit-def: $vgpr3
	s_and_saveexec_b64 s[22:23], vcc
	s_xor_b64 s[22:23], exec, s[22:23]
; %bb.268:                              ;   in Loop: Header=BB6_124 Depth=2
	v_add_u32_e32 v3, 7, v7
	v_cmp_lt_u64_e32 vcc, s[48:49], v[10:11]
	v_cndmask_b32_e32 v3, v4, v3, vcc
	v_cndmask_b32_e64 v4, 0, 1, vcc
	v_lshrrev_b64 v[10:11], v4, v[10:11]
; %bb.269:                              ;   in Loop: Header=BB6_124 Depth=2
	s_andn2_saveexec_b64 s[22:23], s[22:23]
; %bb.270:                              ;   in Loop: Header=BB6_124 Depth=2
	v_bfe_u32 v3, v10, 23, 1
; %bb.271:                              ;   in Loop: Header=BB6_124 Depth=2
	s_or_b64 exec, exec, s[22:23]
	v_lshrrev_b64 v[8:9], 20, v[10:11]
	v_cmp_gt_i32_e32 vcc, 16, v3
	v_cndmask_b32_e32 v9, 0, v9, vcc
	v_cndmask_b32_e32 v8, 7, v8, vcc
	v_cmp_eq_u32_e32 vcc, 0, v3
	v_min_i32_e32 v3, 15, v3
	v_lshlrev_b32_e32 v3, 3, v3
	v_cmp_eq_u64_e64 s[22:23], 0, v[8:9]
	v_and_b32_e32 v3, 0xf8, v3
	v_and_or_b32 v3, v8, 7, v3
	s_and_b64 s[22:23], vcc, s[22:23]
	v_cndmask_b32_e64 v3, v3, 0, s[22:23]
	v_or_b32_e32 v49, v3, v1
.LBB6_272:                              ;   in Loop: Header=BB6_124 Depth=2
	s_or_b64 exec, exec, s[60:61]
.LBB6_273:                              ;   in Loop: Header=BB6_124 Depth=2
	s_or_b64 exec, exec, s[58:59]
                                        ; implicit-def: $vgpr3
.LBB6_274:                              ;   in Loop: Header=BB6_124 Depth=2
	s_andn2_saveexec_b64 s[22:23], s[56:57]
; %bb.275:                              ;   in Loop: Header=BB6_124 Depth=2
	v_or_b32_sdwa v1, v3, s75 dst_sel:DWORD dst_unused:UNUSED_PAD src0_sel:BYTE_3 src1_sel:DWORD
	v_cmp_eq_u64_e32 vcc, 0, v[38:39]
	v_cndmask_b32_e32 v49, v1, v49, vcc
; %bb.276:                              ;   in Loop: Header=BB6_124 Depth=2
	s_or_b64 exec, exec, s[22:23]
	v_cmp_ne_u16_sdwa vcc, v12, v39 src0_sel:BYTE_0 src1_sel:DWORD
	v_mov_b32_e32 v1, 0
	s_and_saveexec_b64 s[22:23], vcc
	s_cbranch_execz .LBB6_282
; %bb.277:                              ;   in Loop: Header=BB6_124 Depth=2
	v_cmp_ne_u16_sdwa vcc, v12, s76 src0_sel:BYTE_0 src1_sel:DWORD
	v_bfrev_b32_e32 v1, 1
	s_and_saveexec_b64 s[56:57], vcc
	s_cbranch_execz .LBB6_281
; %bb.278:                              ;   in Loop: Header=BB6_124 Depth=2
	v_and_b32_e32 v3, 0x7f, v12
	v_cmp_ne_u32_e32 vcc, s75, v3
	v_mov_b32_e32 v1, 0x7f800001
	s_and_saveexec_b64 s[58:59], vcc
	s_cbranch_execz .LBB6_280
; %bb.279:                              ;   in Loop: Header=BB6_124 Depth=2
	v_and_b32_e32 v1, 7, v12
	v_ffbh_u32_e32 v1, v1
	v_min_u32_e32 v1, 32, v1
	v_subrev_u32_e32 v7, 28, v1
	v_cmp_gt_u32_e32 vcc, 8, v3
	v_lshrrev_b32_e32 v4, 3, v3
	v_cndmask_b32_e32 v3, 0, v7, vcc
	v_sub_u32_e32 v1, 29, v1
	v_lshlrev_b64 v[8:9], v3, v[12:13]
	v_cndmask_b32_e32 v1, v4, v1, vcc
	v_lshlrev_b32_e32 v3, 20, v8
	v_lshlrev_b32_e32 v4, 24, v12
	v_and_b32_e32 v3, 0x700000, v3
	v_and_b32_e32 v4, 0x80000000, v4
	v_lshl_add_u32 v1, v1, 23, v31
	v_or3_b32 v1, v4, v1, v3
.LBB6_280:                              ;   in Loop: Header=BB6_124 Depth=2
	s_or_b64 exec, exec, s[58:59]
.LBB6_281:                              ;   in Loop: Header=BB6_124 Depth=2
	s_or_b64 exec, exec, s[56:57]
.LBB6_282:                              ;   in Loop: Header=BB6_124 Depth=2
	s_or_b64 exec, exec, s[22:23]
	v_mul_f32_e32 v3, v5, v1
	v_and_b32_sdwa v1, v3, s76 dst_sel:DWORD dst_unused:UNUSED_PAD src0_sel:BYTE_3 src1_sel:DWORD
	v_and_b32_e32 v10, 0x7f800000, v3
	v_mov_b32_e32 v11, v39
	v_and_b32_e32 v38, 0x7fffff, v3
	v_or_b32_e32 v8, 0x7e, v1
	v_cmp_ne_u64_e32 vcc, s[42:43], v[10:11]
	s_and_saveexec_b64 s[22:23], vcc
	s_xor_b64 s[56:57], exec, s[22:23]
	s_cbranch_execz .LBB6_292
; %bb.283:                              ;   in Loop: Header=BB6_124 Depth=2
	v_and_b32_e32 v10, 0x7fffffff, v3
	v_mov_b32_e32 v11, v39
	v_cmp_gt_u64_e32 vcc, s[44:45], v[10:11]
	s_and_saveexec_b64 s[58:59], vcc
	s_cbranch_execz .LBB6_291
; %bb.284:                              ;   in Loop: Header=BB6_124 Depth=2
	v_cmp_ne_u32_e32 vcc, 0, v3
	v_mov_b32_e32 v8, 0
	s_and_saveexec_b64 s[60:61], vcc
	s_cbranch_execz .LBB6_290
; %bb.285:                              ;   in Loop: Header=BB6_124 Depth=2
	v_bfe_u32 v3, v3, 23, 8
	v_sub_u32_e32 v7, 0x79, v3
	v_cmp_gt_u32_e32 vcc, s77, v3
	v_add_u32_e32 v4, 0xffffff81, v3
	v_cndmask_b32_e32 v7, 0, v7, vcc
	v_cmp_eq_u32_e32 vcc, 0, v3
	v_mov_b32_e32 v3, 0xffffff82
	v_cndmask_b32_e32 v3, v4, v3, vcc
	v_cndmask_b32_e32 v4, v7, v20, vcc
	v_or_b32_e32 v8, 0x800000, v38
	v_add_u32_e32 v7, 20, v4
	v_cndmask_b32_e32 v38, v8, v38, vcc
	v_lshlrev_b64 v[8:9], v7, -1
	v_not_b32_e32 v7, v9
	v_and_b32_e32 v9, 0, v7
	v_add_u32_e32 v7, 19, v4
	v_lshrrev_b64 v[14:15], v4, v[38:39]
	v_not_b32_e32 v8, v8
	v_lshlrev_b64 v[10:11], v7, 1
	v_lshrrev_b32_e32 v7, 23, v14
	v_and_b32_e32 v8, v38, v8
	v_add3_u32 v7, v4, v3, v7
	v_bfe_u32 v3, v14, 20, 1
	v_add_u32_e32 v3, -1, v3
	v_cmp_eq_u64_e32 vcc, v[8:9], v[10:11]
	v_cndmask_b32_e32 v3, 0, v3, vcc
	v_add_u32_e32 v3, v3, v14
	v_and_b32_e32 v3, 0xfffff, v3
	v_add_co_u32_e32 v10, vcc, v3, v14
	v_add_u32_e32 v4, 6, v7
	v_addc_co_u32_e32 v11, vcc, 0, v15, vcc
	v_cmp_ne_u32_e32 vcc, 0, v4
                                        ; implicit-def: $vgpr3
	s_and_saveexec_b64 s[22:23], vcc
	s_xor_b64 s[22:23], exec, s[22:23]
; %bb.286:                              ;   in Loop: Header=BB6_124 Depth=2
	v_add_u32_e32 v3, 7, v7
	v_cmp_lt_u64_e32 vcc, s[48:49], v[10:11]
	v_cndmask_b32_e32 v3, v4, v3, vcc
	v_cndmask_b32_e64 v4, 0, 1, vcc
	v_lshrrev_b64 v[10:11], v4, v[10:11]
; %bb.287:                              ;   in Loop: Header=BB6_124 Depth=2
	s_andn2_saveexec_b64 s[22:23], s[22:23]
; %bb.288:                              ;   in Loop: Header=BB6_124 Depth=2
	v_bfe_u32 v3, v10, 23, 1
; %bb.289:                              ;   in Loop: Header=BB6_124 Depth=2
	s_or_b64 exec, exec, s[22:23]
	v_lshrrev_b64 v[8:9], 20, v[10:11]
	v_cmp_gt_i32_e32 vcc, 16, v3
	v_cndmask_b32_e32 v9, 0, v9, vcc
	v_cndmask_b32_e32 v8, 7, v8, vcc
	v_cmp_eq_u32_e32 vcc, 0, v3
	v_min_i32_e32 v3, 15, v3
	v_cmp_eq_u64_e64 s[22:23], 0, v[8:9]
	v_lshlrev_b32_e32 v3, 3, v3
	v_and_or_b32 v3, v8, 7, v3
	s_and_b64 s[22:23], vcc, s[22:23]
	v_cndmask_b32_e64 v3, v3, 0, s[22:23]
	v_or_b32_e32 v8, v3, v1
.LBB6_290:                              ;   in Loop: Header=BB6_124 Depth=2
	s_or_b64 exec, exec, s[60:61]
.LBB6_291:                              ;   in Loop: Header=BB6_124 Depth=2
	s_or_b64 exec, exec, s[58:59]
                                        ; implicit-def: $vgpr3
.LBB6_292:                              ;   in Loop: Header=BB6_124 Depth=2
	s_andn2_saveexec_b64 s[22:23], s[56:57]
; %bb.293:                              ;   in Loop: Header=BB6_124 Depth=2
	v_or_b32_sdwa v1, v3, s75 dst_sel:DWORD dst_unused:UNUSED_PAD src0_sel:BYTE_3 src1_sel:DWORD
	v_cmp_eq_u64_e32 vcc, 0, v[38:39]
	v_cndmask_b32_e32 v8, v1, v8, vcc
; %bb.294:                              ;   in Loop: Header=BB6_124 Depth=2
	s_or_b64 exec, exec, s[22:23]
	v_lshrrev_b16_e32 v10, 8, v12
	v_cmp_ne_u16_e32 vcc, 0, v10
	v_mov_b32_e32 v1, 0
	s_and_saveexec_b64 s[22:23], vcc
	s_cbranch_execz .LBB6_300
; %bb.295:                              ;   in Loop: Header=BB6_124 Depth=2
	v_cmp_ne_u16_e32 vcc, s76, v10
	v_bfrev_b32_e32 v1, 1
	s_and_saveexec_b64 s[56:57], vcc
	s_cbranch_execz .LBB6_299
; %bb.296:                              ;   in Loop: Header=BB6_124 Depth=2
	v_and_b32_e32 v3, 0x7f, v10
	v_cmp_ne_u32_e32 vcc, s75, v3
	v_mov_b32_e32 v1, 0x7f800001
	s_and_saveexec_b64 s[58:59], vcc
	s_cbranch_execz .LBB6_298
; %bb.297:                              ;   in Loop: Header=BB6_124 Depth=2
	v_and_b32_e32 v1, 7, v10
	v_ffbh_u32_e32 v7, v1
	v_min_u32_e32 v7, 32, v7
	v_subrev_u32_e32 v9, 28, v7
	v_lshlrev_b64 v[10:11], v9, v[10:11]
	v_lshrrev_b32_e32 v4, 3, v3
	v_sub_u32_e32 v7, 29, v7
	v_and_b32_e32 v9, 7, v10
	v_cmp_gt_u32_e32 vcc, 8, v3
	v_cndmask_b32_e32 v3, v4, v7, vcc
	v_cndmask_b32_e32 v1, v1, v9, vcc
	v_lshlrev_b32_e32 v4, 16, v12
	v_lshlrev_b32_e32 v1, 20, v1
	v_and_b32_e32 v4, 0x80000000, v4
	v_lshl_add_u32 v3, v3, 23, v31
	v_or3_b32 v1, v4, v3, v1
.LBB6_298:                              ;   in Loop: Header=BB6_124 Depth=2
	s_or_b64 exec, exec, s[58:59]
.LBB6_299:                              ;   in Loop: Header=BB6_124 Depth=2
	s_or_b64 exec, exec, s[56:57]
.LBB6_300:                              ;   in Loop: Header=BB6_124 Depth=2
	s_or_b64 exec, exec, s[22:23]
	v_mul_f32_e32 v3, v5, v1
	v_and_b32_sdwa v1, v3, s76 dst_sel:DWORD dst_unused:UNUSED_PAD src0_sel:BYTE_3 src1_sel:DWORD
	v_and_b32_e32 v10, 0x7f800000, v3
	v_mov_b32_e32 v11, v39
	v_and_b32_e32 v38, 0x7fffff, v3
	v_or_b32_e32 v40, 0x7e, v1
	v_cmp_ne_u64_e32 vcc, s[42:43], v[10:11]
	s_and_saveexec_b64 s[22:23], vcc
	s_xor_b64 s[56:57], exec, s[22:23]
	s_cbranch_execz .LBB6_310
; %bb.301:                              ;   in Loop: Header=BB6_124 Depth=2
	v_and_b32_e32 v10, 0x7fffffff, v3
	v_mov_b32_e32 v11, v39
	v_cmp_gt_u64_e32 vcc, s[44:45], v[10:11]
	s_and_saveexec_b64 s[58:59], vcc
	s_cbranch_execz .LBB6_309
; %bb.302:                              ;   in Loop: Header=BB6_124 Depth=2
	v_cmp_ne_u32_e32 vcc, 0, v3
	v_mov_b32_e32 v40, 0
	s_and_saveexec_b64 s[60:61], vcc
	s_cbranch_execz .LBB6_308
; %bb.303:                              ;   in Loop: Header=BB6_124 Depth=2
	v_bfe_u32 v3, v3, 23, 8
	v_sub_u32_e32 v7, 0x79, v3
	v_cmp_gt_u32_e32 vcc, s77, v3
	v_add_u32_e32 v4, 0xffffff81, v3
	v_cndmask_b32_e32 v7, 0, v7, vcc
	v_cmp_eq_u32_e32 vcc, 0, v3
	v_mov_b32_e32 v3, 0xffffff82
	v_cndmask_b32_e32 v3, v4, v3, vcc
	v_cndmask_b32_e32 v4, v7, v20, vcc
	v_add_u32_e32 v7, 20, v4
	v_or_b32_e32 v9, 0x800000, v38
	v_lshlrev_b64 v[10:11], v7, -1
	v_cndmask_b32_e32 v38, v9, v38, vcc
	v_not_b32_e32 v7, v11
	v_and_b32_e32 v11, 0, v7
	v_add_u32_e32 v7, 19, v4
	v_lshrrev_b64 v[16:17], v4, v[38:39]
	v_not_b32_e32 v9, v10
	v_lshlrev_b64 v[14:15], v7, 1
	v_lshrrev_b32_e32 v7, 23, v16
	v_and_b32_e32 v10, v38, v9
	v_add3_u32 v7, v4, v3, v7
	v_bfe_u32 v3, v16, 20, 1
	v_add_u32_e32 v3, -1, v3
	v_cmp_eq_u64_e32 vcc, v[10:11], v[14:15]
	v_cndmask_b32_e32 v3, 0, v3, vcc
	v_add_u32_e32 v3, v3, v16
	v_and_b32_e32 v3, 0xfffff, v3
	v_add_co_u32_e32 v10, vcc, v3, v16
	v_add_u32_e32 v4, 6, v7
	v_addc_co_u32_e32 v11, vcc, 0, v17, vcc
	v_cmp_ne_u32_e32 vcc, 0, v4
                                        ; implicit-def: $vgpr3
	s_and_saveexec_b64 s[22:23], vcc
	s_xor_b64 s[22:23], exec, s[22:23]
; %bb.304:                              ;   in Loop: Header=BB6_124 Depth=2
	v_add_u32_e32 v3, 7, v7
	v_cmp_lt_u64_e32 vcc, s[48:49], v[10:11]
	v_cndmask_b32_e32 v3, v4, v3, vcc
	v_cndmask_b32_e64 v4, 0, 1, vcc
	v_lshrrev_b64 v[10:11], v4, v[10:11]
; %bb.305:                              ;   in Loop: Header=BB6_124 Depth=2
	s_andn2_saveexec_b64 s[22:23], s[22:23]
; %bb.306:                              ;   in Loop: Header=BB6_124 Depth=2
	v_bfe_u32 v3, v10, 23, 1
; %bb.307:                              ;   in Loop: Header=BB6_124 Depth=2
	s_or_b64 exec, exec, s[22:23]
	v_lshrrev_b64 v[10:11], 20, v[10:11]
	v_cmp_gt_i32_e32 vcc, 16, v3
	v_cndmask_b32_e32 v11, 0, v11, vcc
	v_cndmask_b32_e32 v10, 7, v10, vcc
	v_cmp_eq_u32_e32 vcc, 0, v3
	v_min_i32_e32 v3, 15, v3
	v_cmp_eq_u64_e64 s[22:23], 0, v[10:11]
	v_lshlrev_b32_e32 v3, 3, v3
	v_and_or_b32 v3, v10, 7, v3
	s_and_b64 s[22:23], vcc, s[22:23]
	v_cndmask_b32_e64 v3, v3, 0, s[22:23]
	v_or_b32_e32 v40, v3, v1
.LBB6_308:                              ;   in Loop: Header=BB6_124 Depth=2
	s_or_b64 exec, exec, s[60:61]
.LBB6_309:                              ;   in Loop: Header=BB6_124 Depth=2
	s_or_b64 exec, exec, s[58:59]
                                        ; implicit-def: $vgpr3
.LBB6_310:                              ;   in Loop: Header=BB6_124 Depth=2
	s_andn2_saveexec_b64 s[22:23], s[56:57]
; %bb.311:                              ;   in Loop: Header=BB6_124 Depth=2
	v_or_b32_sdwa v1, v3, s75 dst_sel:DWORD dst_unused:UNUSED_PAD src0_sel:BYTE_3 src1_sel:DWORD
	v_cmp_eq_u64_e32 vcc, 0, v[38:39]
	v_cndmask_b32_e32 v40, v1, v40, vcc
; %bb.312:                              ;   in Loop: Header=BB6_124 Depth=2
	s_or_b64 exec, exec, s[22:23]
	v_lshrrev_b32_e32 v10, 16, v12
	v_cmp_ne_u16_sdwa vcc, v10, v39 src0_sel:BYTE_0 src1_sel:DWORD
	v_mov_b32_e32 v1, 0
	s_and_saveexec_b64 s[22:23], vcc
	s_cbranch_execz .LBB6_318
; %bb.313:                              ;   in Loop: Header=BB6_124 Depth=2
	v_cmp_ne_u16_sdwa vcc, v10, s76 src0_sel:BYTE_0 src1_sel:DWORD
	v_bfrev_b32_e32 v1, 1
	s_and_saveexec_b64 s[56:57], vcc
	s_cbranch_execz .LBB6_317
; %bb.314:                              ;   in Loop: Header=BB6_124 Depth=2
	v_bfe_u32 v3, v12, 16, 7
	v_cmp_ne_u32_e32 vcc, s75, v3
	v_mov_b32_e32 v1, 0x7f800001
	s_and_saveexec_b64 s[58:59], vcc
	s_cbranch_execz .LBB6_316
; %bb.315:                              ;   in Loop: Header=BB6_124 Depth=2
	v_and_b32_e32 v1, 7, v10
	v_ffbh_u32_e32 v7, v1
	v_min_u32_e32 v7, 32, v7
	v_subrev_u32_e32 v9, 28, v7
	v_lshlrev_b64 v[14:15], v9, v[10:11]
	v_lshrrev_b32_e32 v4, 3, v3
	v_sub_u32_e32 v7, 29, v7
	v_and_b32_e32 v9, 7, v14
	v_cmp_gt_u32_e32 vcc, 8, v3
	v_cndmask_b32_e32 v3, v4, v7, vcc
	v_cndmask_b32_e32 v1, v1, v9, vcc
	v_lshlrev_b32_e32 v4, 24, v10
	v_lshlrev_b32_e32 v1, 20, v1
	v_and_b32_e32 v4, 0x80000000, v4
	v_lshl_add_u32 v3, v3, 23, v31
	v_or3_b32 v1, v4, v3, v1
.LBB6_316:                              ;   in Loop: Header=BB6_124 Depth=2
	s_or_b64 exec, exec, s[58:59]
.LBB6_317:                              ;   in Loop: Header=BB6_124 Depth=2
	s_or_b64 exec, exec, s[56:57]
.LBB6_318:                              ;   in Loop: Header=BB6_124 Depth=2
	s_or_b64 exec, exec, s[22:23]
	v_mul_f32_e32 v3, v5, v1
	v_and_b32_sdwa v1, v3, s76 dst_sel:DWORD dst_unused:UNUSED_PAD src0_sel:BYTE_3 src1_sel:DWORD
	v_and_b32_e32 v10, 0x7f800000, v3
	v_mov_b32_e32 v11, v39
	v_and_b32_e32 v38, 0x7fffff, v3
	v_or_b32_e32 v48, 0x7e, v1
	v_cmp_ne_u64_e32 vcc, s[42:43], v[10:11]
	s_and_saveexec_b64 s[22:23], vcc
	s_xor_b64 s[56:57], exec, s[22:23]
	s_cbranch_execz .LBB6_328
; %bb.319:                              ;   in Loop: Header=BB6_124 Depth=2
	v_and_b32_e32 v10, 0x7fffffff, v3
	v_mov_b32_e32 v11, v39
	v_cmp_gt_u64_e32 vcc, s[44:45], v[10:11]
	s_and_saveexec_b64 s[58:59], vcc
	s_cbranch_execz .LBB6_327
; %bb.320:                              ;   in Loop: Header=BB6_124 Depth=2
	v_cmp_ne_u32_e32 vcc, 0, v3
	v_mov_b32_e32 v48, 0
	s_and_saveexec_b64 s[60:61], vcc
	s_cbranch_execz .LBB6_326
; %bb.321:                              ;   in Loop: Header=BB6_124 Depth=2
	v_bfe_u32 v3, v3, 23, 8
	v_sub_u32_e32 v7, 0x79, v3
	v_cmp_gt_u32_e32 vcc, s77, v3
	v_add_u32_e32 v4, 0xffffff81, v3
	v_cndmask_b32_e32 v7, 0, v7, vcc
	v_cmp_eq_u32_e32 vcc, 0, v3
	v_mov_b32_e32 v3, 0xffffff82
	v_cndmask_b32_e32 v3, v4, v3, vcc
	v_cndmask_b32_e32 v4, v7, v20, vcc
	v_add_u32_e32 v7, 20, v4
	v_or_b32_e32 v9, 0x800000, v38
	v_lshlrev_b64 v[10:11], v7, -1
	v_cndmask_b32_e32 v38, v9, v38, vcc
	v_not_b32_e32 v7, v11
	v_and_b32_e32 v11, 0, v7
	v_add_u32_e32 v7, 19, v4
	v_lshrrev_b64 v[16:17], v4, v[38:39]
	v_not_b32_e32 v9, v10
	v_lshlrev_b64 v[14:15], v7, 1
	v_lshrrev_b32_e32 v7, 23, v16
	v_and_b32_e32 v10, v38, v9
	v_add3_u32 v7, v4, v3, v7
	v_bfe_u32 v3, v16, 20, 1
	v_add_u32_e32 v3, -1, v3
	v_cmp_eq_u64_e32 vcc, v[10:11], v[14:15]
	v_cndmask_b32_e32 v3, 0, v3, vcc
	v_add_u32_e32 v3, v3, v16
	v_and_b32_e32 v3, 0xfffff, v3
	v_add_co_u32_e32 v10, vcc, v3, v16
	v_add_u32_e32 v4, 6, v7
	v_addc_co_u32_e32 v11, vcc, 0, v17, vcc
	v_cmp_ne_u32_e32 vcc, 0, v4
                                        ; implicit-def: $vgpr3
	s_and_saveexec_b64 s[22:23], vcc
	s_xor_b64 s[22:23], exec, s[22:23]
; %bb.322:                              ;   in Loop: Header=BB6_124 Depth=2
	v_add_u32_e32 v3, 7, v7
	v_cmp_lt_u64_e32 vcc, s[48:49], v[10:11]
	v_cndmask_b32_e32 v3, v4, v3, vcc
	v_cndmask_b32_e64 v4, 0, 1, vcc
	v_lshrrev_b64 v[10:11], v4, v[10:11]
; %bb.323:                              ;   in Loop: Header=BB6_124 Depth=2
	s_andn2_saveexec_b64 s[22:23], s[22:23]
; %bb.324:                              ;   in Loop: Header=BB6_124 Depth=2
	v_bfe_u32 v3, v10, 23, 1
; %bb.325:                              ;   in Loop: Header=BB6_124 Depth=2
	s_or_b64 exec, exec, s[22:23]
	v_lshrrev_b64 v[10:11], 20, v[10:11]
	v_cmp_gt_i32_e32 vcc, 16, v3
	v_cndmask_b32_e32 v11, 0, v11, vcc
	v_cndmask_b32_e32 v10, 7, v10, vcc
	v_cmp_eq_u32_e32 vcc, 0, v3
	v_min_i32_e32 v3, 15, v3
	v_cmp_eq_u64_e64 s[22:23], 0, v[10:11]
	v_lshlrev_b32_e32 v3, 3, v3
	v_and_or_b32 v3, v10, 7, v3
	s_and_b64 s[22:23], vcc, s[22:23]
	v_cndmask_b32_e64 v3, v3, 0, s[22:23]
	v_or_b32_e32 v48, v3, v1
.LBB6_326:                              ;   in Loop: Header=BB6_124 Depth=2
	s_or_b64 exec, exec, s[60:61]
.LBB6_327:                              ;   in Loop: Header=BB6_124 Depth=2
	s_or_b64 exec, exec, s[58:59]
                                        ; implicit-def: $vgpr3
.LBB6_328:                              ;   in Loop: Header=BB6_124 Depth=2
	s_andn2_saveexec_b64 s[22:23], s[56:57]
; %bb.329:                              ;   in Loop: Header=BB6_124 Depth=2
	v_or_b32_sdwa v1, v3, s75 dst_sel:DWORD dst_unused:UNUSED_PAD src0_sel:BYTE_3 src1_sel:DWORD
	v_cmp_eq_u64_e32 vcc, 0, v[38:39]
	v_cndmask_b32_e32 v48, v1, v48, vcc
; %bb.330:                              ;   in Loop: Header=BB6_124 Depth=2
	s_or_b64 exec, exec, s[22:23]
	v_cmp_lt_u32_e32 vcc, s47, v12
	v_mov_b32_e32 v1, 0
	s_and_saveexec_b64 s[22:23], vcc
	s_cbranch_execz .LBB6_336
; %bb.331:                              ;   in Loop: Header=BB6_124 Depth=2
	v_lshrrev_b32_e32 v10, 24, v12
	v_cmp_ne_u32_e32 vcc, s76, v10
	v_bfrev_b32_e32 v1, 1
	s_and_saveexec_b64 s[56:57], vcc
	s_cbranch_execz .LBB6_335
; %bb.332:                              ;   in Loop: Header=BB6_124 Depth=2
	v_bfe_u32 v3, v12, 24, 7
	v_cmp_ne_u32_e32 vcc, s75, v3
	v_mov_b32_e32 v1, 0x7f800001
	s_and_saveexec_b64 s[58:59], vcc
	s_cbranch_execz .LBB6_334
; %bb.333:                              ;   in Loop: Header=BB6_124 Depth=2
	v_and_b32_e32 v1, 7, v10
	v_ffbh_u32_e32 v7, v1
	v_min_u32_e32 v7, 32, v7
	v_subrev_u32_e32 v9, 28, v7
	v_lshlrev_b64 v[14:15], v9, v[10:11]
	v_lshrrev_b32_e32 v4, 3, v3
	v_sub_u32_e32 v7, 29, v7
	v_and_b32_e32 v9, 7, v14
	v_cmp_gt_u32_e32 vcc, 8, v3
	v_cndmask_b32_e32 v3, v4, v7, vcc
	v_cndmask_b32_e32 v1, v1, v9, vcc
	v_lshlrev_b32_e32 v4, 24, v10
	v_lshlrev_b32_e32 v1, 20, v1
	v_and_b32_e32 v4, 0x80000000, v4
	v_lshl_add_u32 v3, v3, 23, v31
	v_or3_b32 v1, v4, v3, v1
.LBB6_334:                              ;   in Loop: Header=BB6_124 Depth=2
	s_or_b64 exec, exec, s[58:59]
.LBB6_335:                              ;   in Loop: Header=BB6_124 Depth=2
	s_or_b64 exec, exec, s[56:57]
.LBB6_336:                              ;   in Loop: Header=BB6_124 Depth=2
	s_or_b64 exec, exec, s[22:23]
	v_mul_f32_e32 v3, v5, v1
	v_and_b32_sdwa v1, v3, s76 dst_sel:DWORD dst_unused:UNUSED_PAD src0_sel:BYTE_3 src1_sel:DWORD
	v_and_b32_e32 v10, 0x7f800000, v3
	v_mov_b32_e32 v11, v39
	v_and_b32_e32 v38, 0x7fffff, v3
	v_or_b32_e32 v7, 0x7e, v1
	v_cmp_ne_u64_e32 vcc, s[42:43], v[10:11]
	s_and_saveexec_b64 s[22:23], vcc
	s_xor_b64 s[56:57], exec, s[22:23]
	s_cbranch_execz .LBB6_346
; %bb.337:                              ;   in Loop: Header=BB6_124 Depth=2
	v_and_b32_e32 v10, 0x7fffffff, v3
	v_mov_b32_e32 v11, v39
	v_cmp_gt_u64_e32 vcc, s[44:45], v[10:11]
	s_and_saveexec_b64 s[58:59], vcc
	s_cbranch_execz .LBB6_345
; %bb.338:                              ;   in Loop: Header=BB6_124 Depth=2
	v_cmp_ne_u32_e32 vcc, 0, v3
	v_mov_b32_e32 v7, 0
	s_and_saveexec_b64 s[60:61], vcc
	s_cbranch_execz .LBB6_344
; %bb.339:                              ;   in Loop: Header=BB6_124 Depth=2
	v_bfe_u32 v3, v3, 23, 8
	v_sub_u32_e32 v7, 0x79, v3
	v_cmp_gt_u32_e32 vcc, s77, v3
	v_add_u32_e32 v4, 0xffffff81, v3
	v_cndmask_b32_e32 v7, 0, v7, vcc
	v_cmp_eq_u32_e32 vcc, 0, v3
	v_mov_b32_e32 v3, 0xffffff82
	v_cndmask_b32_e32 v3, v4, v3, vcc
	v_cndmask_b32_e32 v4, v7, v20, vcc
	v_add_u32_e32 v7, 20, v4
	v_or_b32_e32 v9, 0x800000, v38
	v_lshlrev_b64 v[10:11], v7, -1
	v_cndmask_b32_e32 v38, v9, v38, vcc
	v_not_b32_e32 v7, v11
	v_and_b32_e32 v11, 0, v7
	v_add_u32_e32 v7, 19, v4
	v_lshrrev_b64 v[16:17], v4, v[38:39]
	v_not_b32_e32 v9, v10
	v_lshlrev_b64 v[14:15], v7, 1
	v_lshrrev_b32_e32 v7, 23, v16
	v_and_b32_e32 v10, v38, v9
	v_add3_u32 v7, v4, v3, v7
	v_bfe_u32 v3, v16, 20, 1
	v_add_u32_e32 v3, -1, v3
	v_cmp_eq_u64_e32 vcc, v[10:11], v[14:15]
	v_cndmask_b32_e32 v3, 0, v3, vcc
	v_add_u32_e32 v3, v3, v16
	v_and_b32_e32 v3, 0xfffff, v3
	v_add_co_u32_e32 v10, vcc, v3, v16
	v_add_u32_e32 v4, 6, v7
	v_addc_co_u32_e32 v11, vcc, 0, v17, vcc
	v_cmp_ne_u32_e32 vcc, 0, v4
                                        ; implicit-def: $vgpr3
	s_and_saveexec_b64 s[22:23], vcc
	s_xor_b64 s[22:23], exec, s[22:23]
; %bb.340:                              ;   in Loop: Header=BB6_124 Depth=2
	v_add_u32_e32 v3, 7, v7
	v_cmp_lt_u64_e32 vcc, s[48:49], v[10:11]
	v_cndmask_b32_e32 v3, v4, v3, vcc
	v_cndmask_b32_e64 v4, 0, 1, vcc
	v_lshrrev_b64 v[10:11], v4, v[10:11]
; %bb.341:                              ;   in Loop: Header=BB6_124 Depth=2
	s_andn2_saveexec_b64 s[22:23], s[22:23]
; %bb.342:                              ;   in Loop: Header=BB6_124 Depth=2
	v_bfe_u32 v3, v10, 23, 1
; %bb.343:                              ;   in Loop: Header=BB6_124 Depth=2
	s_or_b64 exec, exec, s[22:23]
	v_lshrrev_b64 v[10:11], 20, v[10:11]
	v_cmp_gt_i32_e32 vcc, 16, v3
	v_cndmask_b32_e32 v11, 0, v11, vcc
	v_cndmask_b32_e32 v10, 7, v10, vcc
	v_cmp_eq_u32_e32 vcc, 0, v3
	v_min_i32_e32 v3, 15, v3
	v_cmp_eq_u64_e64 s[22:23], 0, v[10:11]
	v_lshlrev_b32_e32 v3, 3, v3
	v_and_or_b32 v3, v10, 7, v3
	s_and_b64 s[22:23], vcc, s[22:23]
	v_cndmask_b32_e64 v3, v3, 0, s[22:23]
	v_or_b32_e32 v7, v3, v1
.LBB6_344:                              ;   in Loop: Header=BB6_124 Depth=2
	s_or_b64 exec, exec, s[60:61]
.LBB6_345:                              ;   in Loop: Header=BB6_124 Depth=2
	s_or_b64 exec, exec, s[58:59]
                                        ; implicit-def: $vgpr3
.LBB6_346:                              ;   in Loop: Header=BB6_124 Depth=2
	s_andn2_saveexec_b64 s[22:23], s[56:57]
; %bb.347:                              ;   in Loop: Header=BB6_124 Depth=2
	v_or_b32_sdwa v1, v3, s75 dst_sel:DWORD dst_unused:UNUSED_PAD src0_sel:BYTE_3 src1_sel:DWORD
	v_cmp_eq_u64_e32 vcc, 0, v[38:39]
	v_cndmask_b32_e32 v7, v1, v7, vcc
; %bb.348:                              ;   in Loop: Header=BB6_124 Depth=2
	s_or_b64 exec, exec, s[22:23]
	v_mov_b32_e32 v38, v13
	v_cmp_ne_u16_sdwa vcc, v13, v39 src0_sel:BYTE_0 src1_sel:DWORD
	v_mov_b32_e32 v1, 0
	s_and_saveexec_b64 s[22:23], vcc
	s_cbranch_execz .LBB6_354
; %bb.349:                              ;   in Loop: Header=BB6_124 Depth=2
	v_cmp_ne_u16_sdwa vcc, v13, s76 src0_sel:BYTE_0 src1_sel:DWORD
	v_bfrev_b32_e32 v1, 1
	s_and_saveexec_b64 s[56:57], vcc
	s_cbranch_execz .LBB6_353
; %bb.350:                              ;   in Loop: Header=BB6_124 Depth=2
	v_and_b32_e32 v3, 0x7f, v13
	v_cmp_ne_u32_e32 vcc, s75, v3
	v_mov_b32_e32 v1, 0x7f800001
	s_and_saveexec_b64 s[58:59], vcc
	s_cbranch_execz .LBB6_352
; %bb.351:                              ;   in Loop: Header=BB6_124 Depth=2
	v_and_b32_e32 v1, 7, v13
	v_ffbh_u32_e32 v1, v1
	v_min_u32_e32 v1, 32, v1
	v_subrev_u32_e32 v9, 28, v1
	v_cmp_gt_u32_e32 vcc, 8, v3
	v_lshrrev_b32_e32 v4, 3, v3
	v_cndmask_b32_e32 v3, 0, v9, vcc
	v_sub_u32_e32 v1, 29, v1
	v_lshlrev_b64 v[10:11], v3, v[38:39]
	v_cndmask_b32_e32 v1, v4, v1, vcc
	v_lshlrev_b32_e32 v3, 20, v10
	v_lshlrev_b32_e32 v4, 24, v38
	v_and_b32_e32 v3, 0x700000, v3
	v_and_b32_e32 v4, 0x80000000, v4
	v_lshl_add_u32 v1, v1, 23, v31
	v_or3_b32 v1, v4, v1, v3
.LBB6_352:                              ;   in Loop: Header=BB6_124 Depth=2
	s_or_b64 exec, exec, s[58:59]
.LBB6_353:                              ;   in Loop: Header=BB6_124 Depth=2
	s_or_b64 exec, exec, s[56:57]
.LBB6_354:                              ;   in Loop: Header=BB6_124 Depth=2
	s_or_b64 exec, exec, s[22:23]
	v_mul_f32_e32 v3, v5, v1
	v_and_b32_sdwa v1, v3, s76 dst_sel:DWORD dst_unused:UNUSED_PAD src0_sel:BYTE_3 src1_sel:DWORD
	v_and_b32_e32 v14, 0x7f800000, v3
	v_mov_b32_e32 v15, v39
	v_and_b32_e32 v10, 0x7fffff, v3
	v_mov_b32_e32 v11, v39
	v_or_b32_e32 v43, 0x7e, v1
	v_cmp_ne_u64_e32 vcc, s[42:43], v[14:15]
	s_and_saveexec_b64 s[22:23], vcc
	s_xor_b64 s[56:57], exec, s[22:23]
	s_cbranch_execz .LBB6_364
; %bb.355:                              ;   in Loop: Header=BB6_124 Depth=2
	v_and_b32_e32 v14, 0x7fffffff, v3
	v_mov_b32_e32 v15, v39
	v_cmp_gt_u64_e32 vcc, s[44:45], v[14:15]
	s_and_saveexec_b64 s[58:59], vcc
	s_cbranch_execz .LBB6_363
; %bb.356:                              ;   in Loop: Header=BB6_124 Depth=2
	v_cmp_ne_u32_e32 vcc, 0, v3
	v_mov_b32_e32 v43, 0
	s_and_saveexec_b64 s[60:61], vcc
	s_cbranch_execz .LBB6_362
; %bb.357:                              ;   in Loop: Header=BB6_124 Depth=2
	v_bfe_u32 v3, v3, 23, 8
	v_sub_u32_e32 v9, 0x79, v3
	v_cmp_gt_u32_e32 vcc, s77, v3
	v_add_u32_e32 v4, 0xffffff81, v3
	v_cndmask_b32_e32 v9, 0, v9, vcc
	v_cmp_eq_u32_e32 vcc, 0, v3
	v_mov_b32_e32 v3, 0xffffff82
	v_cndmask_b32_e32 v3, v4, v3, vcc
	v_cndmask_b32_e32 v4, v9, v20, vcc
	v_or_b32_e32 v14, 0x800000, v10
	v_add_u32_e32 v9, 20, v4
	v_cndmask_b32_e32 v10, v14, v10, vcc
	v_lshlrev_b64 v[14:15], v9, -1
	v_not_b32_e32 v9, v15
	v_not_b32_e32 v14, v14
	v_and_b32_e32 v15, 0, v9
	v_and_b32_e32 v14, v10, v14
	v_add_u32_e32 v9, 19, v4
	v_lshrrev_b64 v[10:11], v4, v[10:11]
	v_lshlrev_b64 v[16:17], v9, 1
	v_lshrrev_b32_e32 v9, 23, v10
	v_add3_u32 v9, v4, v3, v9
	v_bfe_u32 v3, v10, 20, 1
	v_add_u32_e32 v3, -1, v3
	v_cmp_eq_u64_e32 vcc, v[14:15], v[16:17]
	v_cndmask_b32_e32 v3, 0, v3, vcc
	v_add_u32_e32 v3, v3, v10
	v_and_b32_e32 v3, 0xfffff, v3
	v_add_co_u32_e32 v10, vcc, v3, v10
	v_add_u32_e32 v4, 6, v9
	v_addc_co_u32_e32 v11, vcc, 0, v11, vcc
	v_cmp_ne_u32_e32 vcc, 0, v4
                                        ; implicit-def: $vgpr3
	s_and_saveexec_b64 s[22:23], vcc
	s_xor_b64 s[22:23], exec, s[22:23]
; %bb.358:                              ;   in Loop: Header=BB6_124 Depth=2
	v_add_u32_e32 v3, 7, v9
	v_cmp_lt_u64_e32 vcc, s[48:49], v[10:11]
	v_cndmask_b32_e32 v3, v4, v3, vcc
	v_cndmask_b32_e64 v4, 0, 1, vcc
	v_lshrrev_b64 v[10:11], v4, v[10:11]
; %bb.359:                              ;   in Loop: Header=BB6_124 Depth=2
	s_andn2_saveexec_b64 s[22:23], s[22:23]
; %bb.360:                              ;   in Loop: Header=BB6_124 Depth=2
	v_bfe_u32 v3, v10, 23, 1
; %bb.361:                              ;   in Loop: Header=BB6_124 Depth=2
	s_or_b64 exec, exec, s[22:23]
	v_lshrrev_b64 v[10:11], 20, v[10:11]
	v_cmp_gt_i32_e32 vcc, 16, v3
	v_cndmask_b32_e32 v11, 0, v11, vcc
	v_cndmask_b32_e32 v10, 7, v10, vcc
	v_cmp_eq_u32_e32 vcc, 0, v3
	v_min_i32_e32 v3, 15, v3
	v_cmp_eq_u64_e64 s[22:23], 0, v[10:11]
	v_lshlrev_b32_e32 v3, 3, v3
	v_and_or_b32 v3, v10, 7, v3
	s_and_b64 s[22:23], vcc, s[22:23]
	v_cndmask_b32_e64 v3, v3, 0, s[22:23]
	v_or_b32_e32 v43, v3, v1
.LBB6_362:                              ;   in Loop: Header=BB6_124 Depth=2
	s_or_b64 exec, exec, s[60:61]
.LBB6_363:                              ;   in Loop: Header=BB6_124 Depth=2
	s_or_b64 exec, exec, s[58:59]
                                        ; implicit-def: $vgpr3
                                        ; implicit-def: $vgpr10_vgpr11
.LBB6_364:                              ;   in Loop: Header=BB6_124 Depth=2
	s_andn2_saveexec_b64 s[22:23], s[56:57]
; %bb.365:                              ;   in Loop: Header=BB6_124 Depth=2
	v_or_b32_sdwa v1, v3, s75 dst_sel:DWORD dst_unused:UNUSED_PAD src0_sel:BYTE_3 src1_sel:DWORD
	v_cmp_eq_u64_e32 vcc, 0, v[10:11]
	v_cndmask_b32_e32 v43, v1, v43, vcc
; %bb.366:                              ;   in Loop: Header=BB6_124 Depth=2
	s_or_b64 exec, exec, s[22:23]
	v_lshrrev_b16_e32 v10, 8, v38
	v_cmp_ne_u16_e32 vcc, 0, v10
	v_mov_b32_e32 v1, 0
	s_and_saveexec_b64 s[22:23], vcc
	s_cbranch_execz .LBB6_372
; %bb.367:                              ;   in Loop: Header=BB6_124 Depth=2
	v_cmp_ne_u16_e32 vcc, s76, v10
	v_bfrev_b32_e32 v1, 1
	s_and_saveexec_b64 s[56:57], vcc
	s_cbranch_execz .LBB6_371
; %bb.368:                              ;   in Loop: Header=BB6_124 Depth=2
	v_and_b32_e32 v3, 0x7f, v10
	v_cmp_ne_u32_e32 vcc, s75, v3
	v_mov_b32_e32 v1, 0x7f800001
	s_and_saveexec_b64 s[58:59], vcc
	s_cbranch_execz .LBB6_370
; %bb.369:                              ;   in Loop: Header=BB6_124 Depth=2
	v_and_b32_e32 v1, 7, v10
	v_ffbh_u32_e32 v9, v1
	v_min_u32_e32 v9, 32, v9
	v_subrev_u32_e32 v11, 28, v9
	v_lshlrev_b64 v[10:11], v11, v[10:11]
	v_lshrrev_b32_e32 v4, 3, v3
	v_sub_u32_e32 v9, 29, v9
	v_and_b32_e32 v10, 7, v10
	v_cmp_gt_u32_e32 vcc, 8, v3
	v_cndmask_b32_e32 v3, v4, v9, vcc
	v_cndmask_b32_e32 v1, v1, v10, vcc
	v_lshlrev_b32_e32 v4, 16, v38
	v_lshlrev_b32_e32 v1, 20, v1
	v_and_b32_e32 v4, 0x80000000, v4
	v_lshl_add_u32 v3, v3, 23, v31
	v_or3_b32 v1, v4, v3, v1
.LBB6_370:                              ;   in Loop: Header=BB6_124 Depth=2
	s_or_b64 exec, exec, s[58:59]
.LBB6_371:                              ;   in Loop: Header=BB6_124 Depth=2
	s_or_b64 exec, exec, s[56:57]
.LBB6_372:                              ;   in Loop: Header=BB6_124 Depth=2
	s_or_b64 exec, exec, s[22:23]
	v_mul_f32_e32 v3, v5, v1
	v_and_b32_sdwa v1, v3, s76 dst_sel:DWORD dst_unused:UNUSED_PAD src0_sel:BYTE_3 src1_sel:DWORD
	v_and_b32_e32 v10, 0x7f800000, v3
	v_mov_b32_e32 v11, v39
	v_and_b32_e32 v38, 0x7fffff, v3
	v_or_b32_e32 v30, 0x7e, v1
	v_cmp_ne_u64_e32 vcc, s[42:43], v[10:11]
	s_and_saveexec_b64 s[22:23], vcc
	s_xor_b64 s[56:57], exec, s[22:23]
	s_cbranch_execz .LBB6_382
; %bb.373:                              ;   in Loop: Header=BB6_124 Depth=2
	v_and_b32_e32 v10, 0x7fffffff, v3
	v_mov_b32_e32 v11, v39
	v_cmp_gt_u64_e32 vcc, s[44:45], v[10:11]
	s_and_saveexec_b64 s[58:59], vcc
	s_cbranch_execz .LBB6_381
; %bb.374:                              ;   in Loop: Header=BB6_124 Depth=2
	v_cmp_ne_u32_e32 vcc, 0, v3
	v_mov_b32_e32 v30, 0
	s_and_saveexec_b64 s[60:61], vcc
	s_cbranch_execz .LBB6_380
; %bb.375:                              ;   in Loop: Header=BB6_124 Depth=2
	v_bfe_u32 v3, v3, 23, 8
	v_sub_u32_e32 v9, 0x79, v3
	v_cmp_gt_u32_e32 vcc, s77, v3
	v_add_u32_e32 v4, 0xffffff81, v3
	v_cndmask_b32_e32 v9, 0, v9, vcc
	v_cmp_eq_u32_e32 vcc, 0, v3
	v_mov_b32_e32 v3, 0xffffff82
	v_cndmask_b32_e32 v3, v4, v3, vcc
	v_cndmask_b32_e32 v4, v9, v20, vcc
	v_or_b32_e32 v10, 0x800000, v38
	v_add_u32_e32 v9, 20, v4
	v_cndmask_b32_e32 v38, v10, v38, vcc
	v_lshlrev_b64 v[10:11], v9, -1
	v_not_b32_e32 v9, v11
	v_and_b32_e32 v11, 0, v9
	v_add_u32_e32 v9, 19, v4
	v_lshrrev_b64 v[16:17], v4, v[38:39]
	v_not_b32_e32 v10, v10
	v_lshlrev_b64 v[14:15], v9, 1
	v_lshrrev_b32_e32 v9, 23, v16
	v_and_b32_e32 v10, v38, v10
	v_add3_u32 v9, v4, v3, v9
	v_bfe_u32 v3, v16, 20, 1
	v_add_u32_e32 v3, -1, v3
	v_cmp_eq_u64_e32 vcc, v[10:11], v[14:15]
	v_cndmask_b32_e32 v3, 0, v3, vcc
	v_add_u32_e32 v3, v3, v16
	v_and_b32_e32 v3, 0xfffff, v3
	v_add_co_u32_e32 v10, vcc, v3, v16
	v_add_u32_e32 v4, 6, v9
	v_addc_co_u32_e32 v11, vcc, 0, v17, vcc
	v_cmp_ne_u32_e32 vcc, 0, v4
                                        ; implicit-def: $vgpr3
	s_and_saveexec_b64 s[22:23], vcc
	s_xor_b64 s[22:23], exec, s[22:23]
; %bb.376:                              ;   in Loop: Header=BB6_124 Depth=2
	v_add_u32_e32 v3, 7, v9
	v_cmp_lt_u64_e32 vcc, s[48:49], v[10:11]
	v_cndmask_b32_e32 v3, v4, v3, vcc
	v_cndmask_b32_e64 v4, 0, 1, vcc
	v_lshrrev_b64 v[10:11], v4, v[10:11]
; %bb.377:                              ;   in Loop: Header=BB6_124 Depth=2
	s_andn2_saveexec_b64 s[22:23], s[22:23]
; %bb.378:                              ;   in Loop: Header=BB6_124 Depth=2
	v_bfe_u32 v3, v10, 23, 1
; %bb.379:                              ;   in Loop: Header=BB6_124 Depth=2
	s_or_b64 exec, exec, s[22:23]
	v_lshrrev_b64 v[10:11], 20, v[10:11]
	v_cmp_gt_i32_e32 vcc, 16, v3
	v_cndmask_b32_e32 v11, 0, v11, vcc
	v_cndmask_b32_e32 v10, 7, v10, vcc
	v_cmp_eq_u32_e32 vcc, 0, v3
	v_min_i32_e32 v3, 15, v3
	v_lshlrev_b32_e32 v3, 3, v3
	v_cmp_eq_u64_e64 s[22:23], 0, v[10:11]
	v_and_b32_e32 v3, 0xf8, v3
	v_and_or_b32 v3, v10, 7, v3
	s_and_b64 s[22:23], vcc, s[22:23]
	v_cndmask_b32_e64 v3, v3, 0, s[22:23]
	v_or_b32_e32 v30, v3, v1
.LBB6_380:                              ;   in Loop: Header=BB6_124 Depth=2
	s_or_b64 exec, exec, s[60:61]
.LBB6_381:                              ;   in Loop: Header=BB6_124 Depth=2
	s_or_b64 exec, exec, s[58:59]
                                        ; implicit-def: $vgpr3
.LBB6_382:                              ;   in Loop: Header=BB6_124 Depth=2
	s_andn2_saveexec_b64 s[22:23], s[56:57]
; %bb.383:                              ;   in Loop: Header=BB6_124 Depth=2
	v_or_b32_sdwa v1, v3, s75 dst_sel:DWORD dst_unused:UNUSED_PAD src0_sel:BYTE_3 src1_sel:DWORD
	v_cmp_eq_u64_e32 vcc, 0, v[38:39]
	v_cndmask_b32_e32 v30, v1, v30, vcc
; %bb.384:                              ;   in Loop: Header=BB6_124 Depth=2
	s_or_b64 exec, exec, s[22:23]
	v_lshrrev_b32_e32 v10, 16, v13
	v_cmp_ne_u16_sdwa vcc, v10, v39 src0_sel:BYTE_0 src1_sel:DWORD
	v_mov_b32_e32 v1, 0
	s_and_saveexec_b64 s[22:23], vcc
	s_cbranch_execz .LBB6_390
; %bb.385:                              ;   in Loop: Header=BB6_124 Depth=2
	v_cmp_ne_u16_sdwa vcc, v10, s76 src0_sel:BYTE_0 src1_sel:DWORD
	v_bfrev_b32_e32 v1, 1
	s_and_saveexec_b64 s[56:57], vcc
	s_cbranch_execz .LBB6_389
; %bb.386:                              ;   in Loop: Header=BB6_124 Depth=2
	v_bfe_u32 v3, v13, 16, 7
	v_cmp_ne_u32_e32 vcc, s75, v3
	v_mov_b32_e32 v1, 0x7f800001
	s_and_saveexec_b64 s[58:59], vcc
	s_cbranch_execz .LBB6_388
; %bb.387:                              ;   in Loop: Header=BB6_124 Depth=2
	v_and_b32_e32 v1, 7, v10
	v_ffbh_u32_e32 v9, v1
	v_min_u32_e32 v9, 32, v9
	v_subrev_u32_e32 v11, 28, v9
	v_lshlrev_b64 v[14:15], v11, v[10:11]
	v_lshrrev_b32_e32 v4, 3, v3
	v_sub_u32_e32 v9, 29, v9
	v_and_b32_e32 v11, 7, v14
	v_cmp_gt_u32_e32 vcc, 8, v3
	v_cndmask_b32_e32 v3, v4, v9, vcc
	v_cndmask_b32_e32 v1, v1, v11, vcc
	v_lshlrev_b32_e32 v4, 24, v10
	v_lshlrev_b32_e32 v1, 20, v1
	v_and_b32_e32 v4, 0x80000000, v4
	v_lshl_add_u32 v3, v3, 23, v31
	v_or3_b32 v1, v4, v3, v1
.LBB6_388:                              ;   in Loop: Header=BB6_124 Depth=2
	s_or_b64 exec, exec, s[58:59]
.LBB6_389:                              ;   in Loop: Header=BB6_124 Depth=2
	s_or_b64 exec, exec, s[56:57]
.LBB6_390:                              ;   in Loop: Header=BB6_124 Depth=2
	s_or_b64 exec, exec, s[22:23]
	v_mul_f32_e32 v3, v5, v1
	v_and_b32_sdwa v1, v3, s76 dst_sel:DWORD dst_unused:UNUSED_PAD src0_sel:BYTE_3 src1_sel:DWORD
	v_and_b32_e32 v10, 0x7f800000, v3
	v_mov_b32_e32 v11, v39
	v_and_b32_e32 v38, 0x7fffff, v3
	v_or_b32_e32 v54, 0x7e, v1
	v_cmp_ne_u64_e32 vcc, s[42:43], v[10:11]
	s_and_saveexec_b64 s[22:23], vcc
	s_xor_b64 s[56:57], exec, s[22:23]
	s_cbranch_execz .LBB6_400
; %bb.391:                              ;   in Loop: Header=BB6_124 Depth=2
	v_and_b32_e32 v10, 0x7fffffff, v3
	v_mov_b32_e32 v11, v39
	v_cmp_gt_u64_e32 vcc, s[44:45], v[10:11]
	s_and_saveexec_b64 s[58:59], vcc
	s_cbranch_execz .LBB6_399
; %bb.392:                              ;   in Loop: Header=BB6_124 Depth=2
	v_cmp_ne_u32_e32 vcc, 0, v3
	v_mov_b32_e32 v54, 0
	s_and_saveexec_b64 s[60:61], vcc
	s_cbranch_execz .LBB6_398
; %bb.393:                              ;   in Loop: Header=BB6_124 Depth=2
	v_bfe_u32 v3, v3, 23, 8
	v_sub_u32_e32 v9, 0x79, v3
	v_cmp_gt_u32_e32 vcc, s77, v3
	v_add_u32_e32 v4, 0xffffff81, v3
	v_cndmask_b32_e32 v9, 0, v9, vcc
	v_cmp_eq_u32_e32 vcc, 0, v3
	v_mov_b32_e32 v3, 0xffffff82
	v_cndmask_b32_e32 v3, v4, v3, vcc
	v_cndmask_b32_e32 v4, v9, v20, vcc
	v_or_b32_e32 v10, 0x800000, v38
	v_add_u32_e32 v9, 20, v4
	v_cndmask_b32_e32 v38, v10, v38, vcc
	v_lshlrev_b64 v[10:11], v9, -1
	v_not_b32_e32 v9, v11
	v_and_b32_e32 v11, 0, v9
	v_add_u32_e32 v9, 19, v4
	v_lshrrev_b64 v[16:17], v4, v[38:39]
	v_not_b32_e32 v10, v10
	v_lshlrev_b64 v[14:15], v9, 1
	v_lshrrev_b32_e32 v9, 23, v16
	v_and_b32_e32 v10, v38, v10
	v_add3_u32 v9, v4, v3, v9
	v_bfe_u32 v3, v16, 20, 1
	v_add_u32_e32 v3, -1, v3
	v_cmp_eq_u64_e32 vcc, v[10:11], v[14:15]
	v_cndmask_b32_e32 v3, 0, v3, vcc
	v_add_u32_e32 v3, v3, v16
	v_and_b32_e32 v3, 0xfffff, v3
	v_add_co_u32_e32 v10, vcc, v3, v16
	v_add_u32_e32 v4, 6, v9
	v_addc_co_u32_e32 v11, vcc, 0, v17, vcc
	v_cmp_ne_u32_e32 vcc, 0, v4
                                        ; implicit-def: $vgpr3
	s_and_saveexec_b64 s[22:23], vcc
	s_xor_b64 s[22:23], exec, s[22:23]
; %bb.394:                              ;   in Loop: Header=BB6_124 Depth=2
	v_add_u32_e32 v3, 7, v9
	v_cmp_lt_u64_e32 vcc, s[48:49], v[10:11]
	v_cndmask_b32_e32 v3, v4, v3, vcc
	v_cndmask_b32_e64 v4, 0, 1, vcc
	v_lshrrev_b64 v[10:11], v4, v[10:11]
; %bb.395:                              ;   in Loop: Header=BB6_124 Depth=2
	s_andn2_saveexec_b64 s[22:23], s[22:23]
; %bb.396:                              ;   in Loop: Header=BB6_124 Depth=2
	v_bfe_u32 v3, v10, 23, 1
; %bb.397:                              ;   in Loop: Header=BB6_124 Depth=2
	s_or_b64 exec, exec, s[22:23]
	v_lshrrev_b64 v[10:11], 20, v[10:11]
	v_cmp_gt_i32_e32 vcc, 16, v3
	v_cndmask_b32_e32 v11, 0, v11, vcc
	v_cndmask_b32_e32 v10, 7, v10, vcc
	v_cmp_eq_u32_e32 vcc, 0, v3
	v_min_i32_e32 v3, 15, v3
	v_lshlrev_b32_e32 v3, 3, v3
	v_cmp_eq_u64_e64 s[22:23], 0, v[10:11]
	v_and_b32_e32 v3, 0xf8, v3
	v_and_or_b32 v3, v10, 7, v3
	s_and_b64 s[22:23], vcc, s[22:23]
	v_cndmask_b32_e64 v3, v3, 0, s[22:23]
	v_or_b32_e32 v54, v3, v1
.LBB6_398:                              ;   in Loop: Header=BB6_124 Depth=2
	s_or_b64 exec, exec, s[60:61]
.LBB6_399:                              ;   in Loop: Header=BB6_124 Depth=2
	s_or_b64 exec, exec, s[58:59]
                                        ; implicit-def: $vgpr3
.LBB6_400:                              ;   in Loop: Header=BB6_124 Depth=2
	s_andn2_saveexec_b64 s[22:23], s[56:57]
; %bb.401:                              ;   in Loop: Header=BB6_124 Depth=2
	v_or_b32_sdwa v1, v3, s75 dst_sel:DWORD dst_unused:UNUSED_PAD src0_sel:BYTE_3 src1_sel:DWORD
	v_cmp_eq_u64_e32 vcc, 0, v[38:39]
	v_cndmask_b32_e32 v54, v1, v54, vcc
; %bb.402:                              ;   in Loop: Header=BB6_124 Depth=2
	s_or_b64 exec, exec, s[22:23]
	v_cmp_lt_u64_e32 vcc, s[46:47], v[12:13]
	v_mov_b32_e32 v1, 0
	s_and_saveexec_b64 s[22:23], vcc
	s_cbranch_execz .LBB6_408
; %bb.403:                              ;   in Loop: Header=BB6_124 Depth=2
	v_lshrrev_b32_e32 v10, 24, v13
	v_cmp_ne_u32_e32 vcc, s76, v10
	v_bfrev_b32_e32 v1, 1
	s_and_saveexec_b64 s[56:57], vcc
	s_cbranch_execz .LBB6_407
; %bb.404:                              ;   in Loop: Header=BB6_124 Depth=2
	v_bfe_u32 v3, v13, 24, 7
	v_cmp_ne_u32_e32 vcc, s75, v3
	v_mov_b32_e32 v1, 0x7f800001
	s_and_saveexec_b64 s[58:59], vcc
	s_cbranch_execz .LBB6_406
; %bb.405:                              ;   in Loop: Header=BB6_124 Depth=2
	v_and_b32_e32 v1, 7, v10
	v_ffbh_u32_e32 v9, v1
	v_min_u32_e32 v9, 32, v9
	v_subrev_u32_e32 v11, 28, v9
	v_lshlrev_b64 v[12:13], v11, v[10:11]
	v_lshrrev_b32_e32 v4, 3, v3
	v_sub_u32_e32 v9, 29, v9
	v_and_b32_e32 v11, 7, v12
	v_cmp_gt_u32_e32 vcc, 8, v3
	v_cndmask_b32_e32 v3, v4, v9, vcc
	v_cndmask_b32_e32 v1, v1, v11, vcc
	v_lshlrev_b32_e32 v4, 24, v10
	v_lshlrev_b32_e32 v1, 20, v1
	v_and_b32_e32 v4, 0x80000000, v4
	v_lshl_add_u32 v3, v3, 23, v31
	v_or3_b32 v1, v4, v3, v1
.LBB6_406:                              ;   in Loop: Header=BB6_124 Depth=2
	s_or_b64 exec, exec, s[58:59]
.LBB6_407:                              ;   in Loop: Header=BB6_124 Depth=2
	s_or_b64 exec, exec, s[56:57]
.LBB6_408:                              ;   in Loop: Header=BB6_124 Depth=2
	s_or_b64 exec, exec, s[22:23]
	v_mul_f32_e32 v3, v5, v1
	v_and_b32_sdwa v1, v3, s76 dst_sel:DWORD dst_unused:UNUSED_PAD src0_sel:BYTE_3 src1_sel:DWORD
	v_and_b32_e32 v10, 0x7f800000, v3
	v_mov_b32_e32 v11, v39
	v_and_b32_e32 v38, 0x7fffff, v3
	v_or_b32_e32 v62, 0x7e, v1
	v_cmp_ne_u64_e32 vcc, s[42:43], v[10:11]
	s_and_saveexec_b64 s[22:23], vcc
	s_xor_b64 s[56:57], exec, s[22:23]
	s_cbranch_execz .LBB6_418
; %bb.409:                              ;   in Loop: Header=BB6_124 Depth=2
	v_and_b32_e32 v10, 0x7fffffff, v3
	v_mov_b32_e32 v11, v39
	v_cmp_gt_u64_e32 vcc, s[44:45], v[10:11]
	s_and_saveexec_b64 s[58:59], vcc
	s_cbranch_execz .LBB6_417
; %bb.410:                              ;   in Loop: Header=BB6_124 Depth=2
	v_cmp_ne_u32_e32 vcc, 0, v3
	v_mov_b32_e32 v62, 0
	s_and_saveexec_b64 s[60:61], vcc
	s_cbranch_execz .LBB6_416
; %bb.411:                              ;   in Loop: Header=BB6_124 Depth=2
	v_bfe_u32 v3, v3, 23, 8
	v_sub_u32_e32 v9, 0x79, v3
	v_cmp_gt_u32_e32 vcc, s77, v3
	v_add_u32_e32 v4, 0xffffff81, v3
	v_cndmask_b32_e32 v9, 0, v9, vcc
	v_cmp_eq_u32_e32 vcc, 0, v3
	v_mov_b32_e32 v3, 0xffffff82
	v_cndmask_b32_e32 v3, v4, v3, vcc
	v_cndmask_b32_e32 v4, v9, v20, vcc
	v_or_b32_e32 v10, 0x800000, v38
	v_add_u32_e32 v9, 20, v4
	v_cndmask_b32_e32 v38, v10, v38, vcc
	v_lshlrev_b64 v[10:11], v9, -1
	v_not_b32_e32 v9, v11
	v_and_b32_e32 v11, 0, v9
	v_add_u32_e32 v9, 19, v4
	v_lshrrev_b64 v[14:15], v4, v[38:39]
	v_not_b32_e32 v10, v10
	v_lshlrev_b64 v[12:13], v9, 1
	v_lshrrev_b32_e32 v9, 23, v14
	v_and_b32_e32 v10, v38, v10
	v_add3_u32 v9, v4, v3, v9
	v_bfe_u32 v3, v14, 20, 1
	v_add_u32_e32 v3, -1, v3
	v_cmp_eq_u64_e32 vcc, v[10:11], v[12:13]
	v_cndmask_b32_e32 v3, 0, v3, vcc
	v_add_u32_e32 v3, v3, v14
	v_and_b32_e32 v3, 0xfffff, v3
	v_add_co_u32_e32 v10, vcc, v3, v14
	v_add_u32_e32 v4, 6, v9
	v_addc_co_u32_e32 v11, vcc, 0, v15, vcc
	v_cmp_ne_u32_e32 vcc, 0, v4
                                        ; implicit-def: $vgpr3
	s_and_saveexec_b64 s[22:23], vcc
	s_xor_b64 s[22:23], exec, s[22:23]
; %bb.412:                              ;   in Loop: Header=BB6_124 Depth=2
	v_add_u32_e32 v3, 7, v9
	v_cmp_lt_u64_e32 vcc, s[48:49], v[10:11]
	v_cndmask_b32_e32 v3, v4, v3, vcc
	v_cndmask_b32_e64 v4, 0, 1, vcc
	v_lshrrev_b64 v[10:11], v4, v[10:11]
; %bb.413:                              ;   in Loop: Header=BB6_124 Depth=2
	s_andn2_saveexec_b64 s[22:23], s[22:23]
; %bb.414:                              ;   in Loop: Header=BB6_124 Depth=2
	v_bfe_u32 v3, v10, 23, 1
; %bb.415:                              ;   in Loop: Header=BB6_124 Depth=2
	s_or_b64 exec, exec, s[22:23]
	v_lshrrev_b64 v[10:11], 20, v[10:11]
	v_cmp_gt_i32_e32 vcc, 16, v3
	v_cndmask_b32_e32 v11, 0, v11, vcc
	v_cndmask_b32_e32 v10, 7, v10, vcc
	v_cmp_eq_u32_e32 vcc, 0, v3
	v_min_i32_e32 v3, 15, v3
	v_lshlrev_b32_e32 v3, 3, v3
	v_cmp_eq_u64_e64 s[22:23], 0, v[10:11]
	v_and_b32_e32 v3, 0xf8, v3
	v_and_or_b32 v3, v10, 7, v3
	s_and_b64 s[22:23], vcc, s[22:23]
	v_cndmask_b32_e64 v3, v3, 0, s[22:23]
	v_or_b32_e32 v62, v3, v1
.LBB6_416:                              ;   in Loop: Header=BB6_124 Depth=2
	s_or_b64 exec, exec, s[60:61]
.LBB6_417:                              ;   in Loop: Header=BB6_124 Depth=2
	s_or_b64 exec, exec, s[58:59]
                                        ; implicit-def: $vgpr3
.LBB6_418:                              ;   in Loop: Header=BB6_124 Depth=2
	s_andn2_saveexec_b64 s[22:23], s[56:57]
; %bb.419:                              ;   in Loop: Header=BB6_124 Depth=2
	v_or_b32_sdwa v1, v3, s75 dst_sel:DWORD dst_unused:UNUSED_PAD src0_sel:BYTE_3 src1_sel:DWORD
	v_cmp_eq_u64_e32 vcc, 0, v[38:39]
	v_cndmask_b32_e32 v62, v1, v62, vcc
; %bb.420:                              ;   in Loop: Header=BB6_124 Depth=2
	s_or_b64 exec, exec, s[22:23]
	global_load_dwordx4 v[10:13], v[44:45], off offset:1024 glc slc
	v_mov_b32_e32 v1, 0
	s_waitcnt vmcnt(0)
	v_cmp_ne_u16_sdwa vcc, v10, v39 src0_sel:BYTE_0 src1_sel:DWORD
	s_and_saveexec_b64 s[22:23], vcc
	s_cbranch_execz .LBB6_426
; %bb.421:                              ;   in Loop: Header=BB6_124 Depth=2
	v_cmp_ne_u16_sdwa vcc, v10, s76 src0_sel:BYTE_0 src1_sel:DWORD
	v_bfrev_b32_e32 v1, 1
	s_and_saveexec_b64 s[56:57], vcc
	s_cbranch_execz .LBB6_425
; %bb.422:                              ;   in Loop: Header=BB6_124 Depth=2
	v_and_b32_e32 v3, 0x7f, v10
	v_cmp_ne_u32_e32 vcc, s75, v3
	v_mov_b32_e32 v1, 0x7f800001
	s_and_saveexec_b64 s[58:59], vcc
	s_cbranch_execz .LBB6_424
; %bb.423:                              ;   in Loop: Header=BB6_124 Depth=2
	v_and_b32_e32 v1, 7, v10
	v_ffbh_u32_e32 v1, v1
	v_min_u32_e32 v1, 32, v1
	v_subrev_u32_e32 v9, 28, v1
	v_cmp_gt_u32_e32 vcc, 8, v3
	v_lshrrev_b32_e32 v4, 3, v3
	v_cndmask_b32_e32 v3, 0, v9, vcc
	v_sub_u32_e32 v1, 29, v1
	v_lshlrev_b64 v[14:15], v3, v[10:11]
	v_cndmask_b32_e32 v1, v4, v1, vcc
	v_lshlrev_b32_e32 v3, 20, v14
	v_lshlrev_b32_e32 v4, 24, v10
	v_and_b32_e32 v3, 0x700000, v3
	v_and_b32_e32 v4, 0x80000000, v4
	v_lshl_add_u32 v1, v1, 23, v31
	v_or3_b32 v1, v4, v1, v3
.LBB6_424:                              ;   in Loop: Header=BB6_124 Depth=2
	s_or_b64 exec, exec, s[58:59]
.LBB6_425:                              ;   in Loop: Header=BB6_124 Depth=2
	s_or_b64 exec, exec, s[56:57]
.LBB6_426:                              ;   in Loop: Header=BB6_124 Depth=2
	s_or_b64 exec, exec, s[22:23]
	v_mul_f32_e32 v3, v5, v1
	v_and_b32_sdwa v1, v3, s76 dst_sel:DWORD dst_unused:UNUSED_PAD src0_sel:BYTE_3 src1_sel:DWORD
	v_and_b32_e32 v14, 0x7f800000, v3
	v_mov_b32_e32 v15, v39
	v_and_b32_e32 v38, 0x7fffff, v3
	v_or_b32_e32 v34, 0x7e, v1
	v_cmp_ne_u64_e32 vcc, s[42:43], v[14:15]
	s_and_saveexec_b64 s[22:23], vcc
	s_xor_b64 s[56:57], exec, s[22:23]
	s_cbranch_execz .LBB6_436
; %bb.427:                              ;   in Loop: Header=BB6_124 Depth=2
	v_and_b32_e32 v14, 0x7fffffff, v3
	v_mov_b32_e32 v15, v39
	v_cmp_gt_u64_e32 vcc, s[44:45], v[14:15]
	s_and_saveexec_b64 s[58:59], vcc
	s_cbranch_execz .LBB6_435
; %bb.428:                              ;   in Loop: Header=BB6_124 Depth=2
	v_cmp_ne_u32_e32 vcc, 0, v3
	v_mov_b32_e32 v34, 0
	s_and_saveexec_b64 s[60:61], vcc
	s_cbranch_execz .LBB6_434
; %bb.429:                              ;   in Loop: Header=BB6_124 Depth=2
	v_bfe_u32 v3, v3, 23, 8
	v_sub_u32_e32 v9, 0x79, v3
	v_cmp_gt_u32_e32 vcc, s77, v3
	v_add_u32_e32 v4, 0xffffff81, v3
	v_cndmask_b32_e32 v9, 0, v9, vcc
	v_cmp_eq_u32_e32 vcc, 0, v3
	v_mov_b32_e32 v3, 0xffffff82
	v_cndmask_b32_e32 v3, v4, v3, vcc
	v_cndmask_b32_e32 v4, v9, v20, vcc
	v_or_b32_e32 v14, 0x800000, v38
	v_add_u32_e32 v9, 20, v4
	v_cndmask_b32_e32 v38, v14, v38, vcc
	v_lshlrev_b64 v[14:15], v9, -1
	v_not_b32_e32 v9, v15
	v_and_b32_e32 v15, 0, v9
	v_add_u32_e32 v9, 19, v4
	v_lshrrev_b64 v[18:19], v4, v[38:39]
	v_not_b32_e32 v14, v14
	v_lshlrev_b64 v[16:17], v9, 1
	v_lshrrev_b32_e32 v9, 23, v18
	v_and_b32_e32 v14, v38, v14
	v_add3_u32 v9, v4, v3, v9
	v_bfe_u32 v3, v18, 20, 1
	v_add_u32_e32 v3, -1, v3
	v_cmp_eq_u64_e32 vcc, v[14:15], v[16:17]
	v_cndmask_b32_e32 v3, 0, v3, vcc
	v_add_u32_e32 v3, v3, v18
	v_and_b32_e32 v3, 0xfffff, v3
	v_add_co_u32_e32 v14, vcc, v3, v18
	v_add_u32_e32 v4, 6, v9
	v_addc_co_u32_e32 v15, vcc, 0, v19, vcc
	v_cmp_ne_u32_e32 vcc, 0, v4
                                        ; implicit-def: $vgpr3
	s_and_saveexec_b64 s[22:23], vcc
	s_xor_b64 s[22:23], exec, s[22:23]
; %bb.430:                              ;   in Loop: Header=BB6_124 Depth=2
	v_add_u32_e32 v3, 7, v9
	v_cmp_lt_u64_e32 vcc, s[48:49], v[14:15]
	v_cndmask_b32_e32 v3, v4, v3, vcc
	v_cndmask_b32_e64 v4, 0, 1, vcc
	v_lshrrev_b64 v[14:15], v4, v[14:15]
; %bb.431:                              ;   in Loop: Header=BB6_124 Depth=2
	s_andn2_saveexec_b64 s[22:23], s[22:23]
; %bb.432:                              ;   in Loop: Header=BB6_124 Depth=2
	v_bfe_u32 v3, v14, 23, 1
; %bb.433:                              ;   in Loop: Header=BB6_124 Depth=2
	s_or_b64 exec, exec, s[22:23]
	v_lshrrev_b64 v[14:15], 20, v[14:15]
	v_cmp_gt_i32_e32 vcc, 16, v3
	v_cndmask_b32_e32 v15, 0, v15, vcc
	v_cndmask_b32_e32 v14, 7, v14, vcc
	v_cmp_eq_u32_e32 vcc, 0, v3
	v_min_i32_e32 v3, 15, v3
	v_cmp_eq_u64_e64 s[22:23], 0, v[14:15]
	v_lshlrev_b32_e32 v3, 3, v3
	v_and_or_b32 v3, v14, 7, v3
	s_and_b64 s[22:23], vcc, s[22:23]
	v_cndmask_b32_e64 v3, v3, 0, s[22:23]
	v_or_b32_e32 v34, v3, v1
.LBB6_434:                              ;   in Loop: Header=BB6_124 Depth=2
	s_or_b64 exec, exec, s[60:61]
.LBB6_435:                              ;   in Loop: Header=BB6_124 Depth=2
	s_or_b64 exec, exec, s[58:59]
                                        ; implicit-def: $vgpr3
.LBB6_436:                              ;   in Loop: Header=BB6_124 Depth=2
	s_andn2_saveexec_b64 s[22:23], s[56:57]
; %bb.437:                              ;   in Loop: Header=BB6_124 Depth=2
	v_or_b32_sdwa v1, v3, s75 dst_sel:DWORD dst_unused:UNUSED_PAD src0_sel:BYTE_3 src1_sel:DWORD
	v_cmp_eq_u64_e32 vcc, 0, v[38:39]
	v_cndmask_b32_e32 v34, v1, v34, vcc
; %bb.438:                              ;   in Loop: Header=BB6_124 Depth=2
	s_or_b64 exec, exec, s[22:23]
	v_lshrrev_b16_e32 v14, 8, v10
	v_cmp_ne_u16_e32 vcc, 0, v14
	v_mov_b32_e32 v1, 0
	s_and_saveexec_b64 s[22:23], vcc
	s_cbranch_execz .LBB6_444
; %bb.439:                              ;   in Loop: Header=BB6_124 Depth=2
	v_cmp_ne_u16_e32 vcc, s76, v14
	v_bfrev_b32_e32 v1, 1
	s_and_saveexec_b64 s[56:57], vcc
	s_cbranch_execz .LBB6_443
; %bb.440:                              ;   in Loop: Header=BB6_124 Depth=2
	v_and_b32_e32 v3, 0x7f, v14
	v_cmp_ne_u32_e32 vcc, s75, v3
	v_mov_b32_e32 v1, 0x7f800001
	s_and_saveexec_b64 s[58:59], vcc
	s_cbranch_execz .LBB6_442
; %bb.441:                              ;   in Loop: Header=BB6_124 Depth=2
	v_and_b32_e32 v1, 7, v14
	v_ffbh_u32_e32 v9, v1
	v_min_u32_e32 v9, 32, v9
	v_subrev_u32_e32 v15, 28, v9
	v_lshlrev_b64 v[14:15], v15, v[14:15]
	v_lshrrev_b32_e32 v4, 3, v3
	v_sub_u32_e32 v9, 29, v9
	v_and_b32_e32 v14, 7, v14
	v_cmp_gt_u32_e32 vcc, 8, v3
	v_cndmask_b32_e32 v3, v4, v9, vcc
	v_cndmask_b32_e32 v1, v1, v14, vcc
	v_lshlrev_b32_e32 v4, 16, v10
	v_lshlrev_b32_e32 v1, 20, v1
	v_and_b32_e32 v4, 0x80000000, v4
	v_lshl_add_u32 v3, v3, 23, v31
	v_or3_b32 v1, v4, v3, v1
.LBB6_442:                              ;   in Loop: Header=BB6_124 Depth=2
	s_or_b64 exec, exec, s[58:59]
.LBB6_443:                              ;   in Loop: Header=BB6_124 Depth=2
	s_or_b64 exec, exec, s[56:57]
.LBB6_444:                              ;   in Loop: Header=BB6_124 Depth=2
	s_or_b64 exec, exec, s[22:23]
	v_mul_f32_e32 v3, v5, v1
	v_and_b32_sdwa v1, v3, s76 dst_sel:DWORD dst_unused:UNUSED_PAD src0_sel:BYTE_3 src1_sel:DWORD
	v_and_b32_e32 v14, 0x7f800000, v3
	v_mov_b32_e32 v15, v39
	v_and_b32_e32 v38, 0x7fffff, v3
	v_or_b32_e32 v50, 0x7e, v1
	v_cmp_ne_u64_e32 vcc, s[42:43], v[14:15]
	s_and_saveexec_b64 s[22:23], vcc
	s_xor_b64 s[56:57], exec, s[22:23]
	s_cbranch_execz .LBB6_454
; %bb.445:                              ;   in Loop: Header=BB6_124 Depth=2
	v_and_b32_e32 v14, 0x7fffffff, v3
	v_mov_b32_e32 v15, v39
	v_cmp_gt_u64_e32 vcc, s[44:45], v[14:15]
	s_and_saveexec_b64 s[58:59], vcc
	s_cbranch_execz .LBB6_453
; %bb.446:                              ;   in Loop: Header=BB6_124 Depth=2
	v_cmp_ne_u32_e32 vcc, 0, v3
	v_mov_b32_e32 v50, 0
	s_and_saveexec_b64 s[60:61], vcc
	s_cbranch_execz .LBB6_452
; %bb.447:                              ;   in Loop: Header=BB6_124 Depth=2
	v_bfe_u32 v3, v3, 23, 8
	v_sub_u32_e32 v9, 0x79, v3
	v_cmp_gt_u32_e32 vcc, s77, v3
	v_add_u32_e32 v4, 0xffffff81, v3
	v_cndmask_b32_e32 v9, 0, v9, vcc
	v_cmp_eq_u32_e32 vcc, 0, v3
	v_mov_b32_e32 v3, 0xffffff82
	v_cndmask_b32_e32 v3, v4, v3, vcc
	v_cndmask_b32_e32 v4, v9, v20, vcc
	v_or_b32_e32 v14, 0x800000, v38
	v_add_u32_e32 v9, 20, v4
	v_cndmask_b32_e32 v38, v14, v38, vcc
	v_lshlrev_b64 v[14:15], v9, -1
	v_not_b32_e32 v9, v15
	v_and_b32_e32 v15, 0, v9
	v_add_u32_e32 v9, 19, v4
	v_lshrrev_b64 v[18:19], v4, v[38:39]
	v_not_b32_e32 v14, v14
	v_lshlrev_b64 v[16:17], v9, 1
	v_lshrrev_b32_e32 v9, 23, v18
	v_and_b32_e32 v14, v38, v14
	v_add3_u32 v9, v4, v3, v9
	v_bfe_u32 v3, v18, 20, 1
	v_add_u32_e32 v3, -1, v3
	v_cmp_eq_u64_e32 vcc, v[14:15], v[16:17]
	v_cndmask_b32_e32 v3, 0, v3, vcc
	v_add_u32_e32 v3, v3, v18
	v_and_b32_e32 v3, 0xfffff, v3
	v_add_co_u32_e32 v14, vcc, v3, v18
	v_add_u32_e32 v4, 6, v9
	v_addc_co_u32_e32 v15, vcc, 0, v19, vcc
	v_cmp_ne_u32_e32 vcc, 0, v4
                                        ; implicit-def: $vgpr3
	s_and_saveexec_b64 s[22:23], vcc
	s_xor_b64 s[22:23], exec, s[22:23]
; %bb.448:                              ;   in Loop: Header=BB6_124 Depth=2
	v_add_u32_e32 v3, 7, v9
	v_cmp_lt_u64_e32 vcc, s[48:49], v[14:15]
	v_cndmask_b32_e32 v3, v4, v3, vcc
	v_cndmask_b32_e64 v4, 0, 1, vcc
	v_lshrrev_b64 v[14:15], v4, v[14:15]
; %bb.449:                              ;   in Loop: Header=BB6_124 Depth=2
	s_andn2_saveexec_b64 s[22:23], s[22:23]
; %bb.450:                              ;   in Loop: Header=BB6_124 Depth=2
	v_bfe_u32 v3, v14, 23, 1
; %bb.451:                              ;   in Loop: Header=BB6_124 Depth=2
	s_or_b64 exec, exec, s[22:23]
	v_lshrrev_b64 v[14:15], 20, v[14:15]
	v_cmp_gt_i32_e32 vcc, 16, v3
	v_cndmask_b32_e32 v15, 0, v15, vcc
	v_cndmask_b32_e32 v14, 7, v14, vcc
	v_cmp_eq_u32_e32 vcc, 0, v3
	v_min_i32_e32 v3, 15, v3
	v_cmp_eq_u64_e64 s[22:23], 0, v[14:15]
	v_lshlrev_b32_e32 v3, 3, v3
	v_and_or_b32 v3, v14, 7, v3
	s_and_b64 s[22:23], vcc, s[22:23]
	v_cndmask_b32_e64 v3, v3, 0, s[22:23]
	v_or_b32_e32 v50, v3, v1
.LBB6_452:                              ;   in Loop: Header=BB6_124 Depth=2
	s_or_b64 exec, exec, s[60:61]
.LBB6_453:                              ;   in Loop: Header=BB6_124 Depth=2
	s_or_b64 exec, exec, s[58:59]
                                        ; implicit-def: $vgpr3
.LBB6_454:                              ;   in Loop: Header=BB6_124 Depth=2
	s_andn2_saveexec_b64 s[22:23], s[56:57]
; %bb.455:                              ;   in Loop: Header=BB6_124 Depth=2
	v_or_b32_sdwa v1, v3, s75 dst_sel:DWORD dst_unused:UNUSED_PAD src0_sel:BYTE_3 src1_sel:DWORD
	v_cmp_eq_u64_e32 vcc, 0, v[38:39]
	v_cndmask_b32_e32 v50, v1, v50, vcc
; %bb.456:                              ;   in Loop: Header=BB6_124 Depth=2
	s_or_b64 exec, exec, s[22:23]
	v_lshrrev_b32_e32 v14, 16, v10
	v_cmp_ne_u16_sdwa vcc, v14, v39 src0_sel:BYTE_0 src1_sel:DWORD
	v_mov_b32_e32 v1, 0
	s_and_saveexec_b64 s[22:23], vcc
	s_cbranch_execz .LBB6_462
; %bb.457:                              ;   in Loop: Header=BB6_124 Depth=2
	v_cmp_ne_u16_sdwa vcc, v14, s76 src0_sel:BYTE_0 src1_sel:DWORD
	v_bfrev_b32_e32 v1, 1
	s_and_saveexec_b64 s[56:57], vcc
	s_cbranch_execz .LBB6_461
; %bb.458:                              ;   in Loop: Header=BB6_124 Depth=2
	v_bfe_u32 v3, v10, 16, 7
	v_cmp_ne_u32_e32 vcc, s75, v3
	v_mov_b32_e32 v1, 0x7f800001
	s_and_saveexec_b64 s[58:59], vcc
	s_cbranch_execz .LBB6_460
; %bb.459:                              ;   in Loop: Header=BB6_124 Depth=2
	v_and_b32_e32 v1, 7, v14
	v_ffbh_u32_e32 v9, v1
	v_min_u32_e32 v9, 32, v9
	v_subrev_u32_e32 v15, 28, v9
	v_lshlrev_b64 v[16:17], v15, v[14:15]
	v_lshrrev_b32_e32 v4, 3, v3
	v_sub_u32_e32 v9, 29, v9
	v_and_b32_e32 v15, 7, v16
	v_cmp_gt_u32_e32 vcc, 8, v3
	v_cndmask_b32_e32 v3, v4, v9, vcc
	v_cndmask_b32_e32 v1, v1, v15, vcc
	v_lshlrev_b32_e32 v4, 24, v14
	v_lshlrev_b32_e32 v1, 20, v1
	v_and_b32_e32 v4, 0x80000000, v4
	v_lshl_add_u32 v3, v3, 23, v31
	v_or3_b32 v1, v4, v3, v1
.LBB6_460:                              ;   in Loop: Header=BB6_124 Depth=2
	s_or_b64 exec, exec, s[58:59]
.LBB6_461:                              ;   in Loop: Header=BB6_124 Depth=2
	s_or_b64 exec, exec, s[56:57]
.LBB6_462:                              ;   in Loop: Header=BB6_124 Depth=2
	s_or_b64 exec, exec, s[22:23]
	v_mul_f32_e32 v3, v5, v1
	v_and_b32_sdwa v1, v3, s76 dst_sel:DWORD dst_unused:UNUSED_PAD src0_sel:BYTE_3 src1_sel:DWORD
	v_and_b32_e32 v14, 0x7f800000, v3
	v_mov_b32_e32 v15, v39
	v_and_b32_e32 v38, 0x7fffff, v3
	v_or_b32_e32 v60, 0x7e, v1
	v_cmp_ne_u64_e32 vcc, s[42:43], v[14:15]
	s_and_saveexec_b64 s[22:23], vcc
	s_xor_b64 s[56:57], exec, s[22:23]
	s_cbranch_execz .LBB6_472
; %bb.463:                              ;   in Loop: Header=BB6_124 Depth=2
	v_and_b32_e32 v14, 0x7fffffff, v3
	v_mov_b32_e32 v15, v39
	v_cmp_gt_u64_e32 vcc, s[44:45], v[14:15]
	s_and_saveexec_b64 s[58:59], vcc
	s_cbranch_execz .LBB6_471
; %bb.464:                              ;   in Loop: Header=BB6_124 Depth=2
	v_cmp_ne_u32_e32 vcc, 0, v3
	v_mov_b32_e32 v60, 0
	s_and_saveexec_b64 s[60:61], vcc
	s_cbranch_execz .LBB6_470
; %bb.465:                              ;   in Loop: Header=BB6_124 Depth=2
	v_bfe_u32 v3, v3, 23, 8
	v_sub_u32_e32 v9, 0x79, v3
	v_cmp_gt_u32_e32 vcc, s77, v3
	v_add_u32_e32 v4, 0xffffff81, v3
	v_cndmask_b32_e32 v9, 0, v9, vcc
	v_cmp_eq_u32_e32 vcc, 0, v3
	v_mov_b32_e32 v3, 0xffffff82
	v_cndmask_b32_e32 v3, v4, v3, vcc
	v_cndmask_b32_e32 v4, v9, v20, vcc
	v_or_b32_e32 v14, 0x800000, v38
	v_add_u32_e32 v9, 20, v4
	v_cndmask_b32_e32 v38, v14, v38, vcc
	v_lshlrev_b64 v[14:15], v9, -1
	v_not_b32_e32 v9, v15
	v_and_b32_e32 v15, 0, v9
	v_add_u32_e32 v9, 19, v4
	v_lshrrev_b64 v[18:19], v4, v[38:39]
	v_not_b32_e32 v14, v14
	v_lshlrev_b64 v[16:17], v9, 1
	v_lshrrev_b32_e32 v9, 23, v18
	v_and_b32_e32 v14, v38, v14
	v_add3_u32 v9, v4, v3, v9
	v_bfe_u32 v3, v18, 20, 1
	v_add_u32_e32 v3, -1, v3
	v_cmp_eq_u64_e32 vcc, v[14:15], v[16:17]
	v_cndmask_b32_e32 v3, 0, v3, vcc
	v_add_u32_e32 v3, v3, v18
	v_and_b32_e32 v3, 0xfffff, v3
	v_add_co_u32_e32 v14, vcc, v3, v18
	v_add_u32_e32 v4, 6, v9
	v_addc_co_u32_e32 v15, vcc, 0, v19, vcc
	v_cmp_ne_u32_e32 vcc, 0, v4
                                        ; implicit-def: $vgpr3
	s_and_saveexec_b64 s[22:23], vcc
	s_xor_b64 s[22:23], exec, s[22:23]
; %bb.466:                              ;   in Loop: Header=BB6_124 Depth=2
	v_add_u32_e32 v3, 7, v9
	v_cmp_lt_u64_e32 vcc, s[48:49], v[14:15]
	v_cndmask_b32_e32 v3, v4, v3, vcc
	v_cndmask_b32_e64 v4, 0, 1, vcc
	v_lshrrev_b64 v[14:15], v4, v[14:15]
; %bb.467:                              ;   in Loop: Header=BB6_124 Depth=2
	s_andn2_saveexec_b64 s[22:23], s[22:23]
; %bb.468:                              ;   in Loop: Header=BB6_124 Depth=2
	v_bfe_u32 v3, v14, 23, 1
; %bb.469:                              ;   in Loop: Header=BB6_124 Depth=2
	s_or_b64 exec, exec, s[22:23]
	v_lshrrev_b64 v[14:15], 20, v[14:15]
	v_cmp_gt_i32_e32 vcc, 16, v3
	v_cndmask_b32_e32 v15, 0, v15, vcc
	v_cndmask_b32_e32 v14, 7, v14, vcc
	v_cmp_eq_u32_e32 vcc, 0, v3
	v_min_i32_e32 v3, 15, v3
	v_cmp_eq_u64_e64 s[22:23], 0, v[14:15]
	v_lshlrev_b32_e32 v3, 3, v3
	v_and_or_b32 v3, v14, 7, v3
	s_and_b64 s[22:23], vcc, s[22:23]
	v_cndmask_b32_e64 v3, v3, 0, s[22:23]
	v_or_b32_e32 v60, v3, v1
.LBB6_470:                              ;   in Loop: Header=BB6_124 Depth=2
	s_or_b64 exec, exec, s[60:61]
.LBB6_471:                              ;   in Loop: Header=BB6_124 Depth=2
	s_or_b64 exec, exec, s[58:59]
                                        ; implicit-def: $vgpr3
.LBB6_472:                              ;   in Loop: Header=BB6_124 Depth=2
	s_andn2_saveexec_b64 s[22:23], s[56:57]
; %bb.473:                              ;   in Loop: Header=BB6_124 Depth=2
	v_or_b32_sdwa v1, v3, s75 dst_sel:DWORD dst_unused:UNUSED_PAD src0_sel:BYTE_3 src1_sel:DWORD
	v_cmp_eq_u64_e32 vcc, 0, v[38:39]
	v_cndmask_b32_e32 v60, v1, v60, vcc
; %bb.474:                              ;   in Loop: Header=BB6_124 Depth=2
	s_or_b64 exec, exec, s[22:23]
	v_cmp_lt_u32_e32 vcc, s47, v10
	v_mov_b32_e32 v1, 0
	s_and_saveexec_b64 s[22:23], vcc
	s_cbranch_execz .LBB6_480
; %bb.475:                              ;   in Loop: Header=BB6_124 Depth=2
	v_lshrrev_b32_e32 v14, 24, v10
	v_cmp_ne_u32_e32 vcc, s76, v14
	v_bfrev_b32_e32 v1, 1
	s_and_saveexec_b64 s[56:57], vcc
	s_cbranch_execz .LBB6_479
; %bb.476:                              ;   in Loop: Header=BB6_124 Depth=2
	v_bfe_u32 v3, v10, 24, 7
	v_cmp_ne_u32_e32 vcc, s75, v3
	v_mov_b32_e32 v1, 0x7f800001
	s_and_saveexec_b64 s[58:59], vcc
	s_cbranch_execz .LBB6_478
; %bb.477:                              ;   in Loop: Header=BB6_124 Depth=2
	v_and_b32_e32 v1, 7, v14
	v_ffbh_u32_e32 v9, v1
	v_min_u32_e32 v9, 32, v9
	v_subrev_u32_e32 v15, 28, v9
	v_lshlrev_b64 v[16:17], v15, v[14:15]
	v_lshrrev_b32_e32 v4, 3, v3
	v_sub_u32_e32 v9, 29, v9
	v_and_b32_e32 v15, 7, v16
	v_cmp_gt_u32_e32 vcc, 8, v3
	v_cndmask_b32_e32 v3, v4, v9, vcc
	v_cndmask_b32_e32 v1, v1, v15, vcc
	v_lshlrev_b32_e32 v4, 24, v14
	v_lshlrev_b32_e32 v1, 20, v1
	v_and_b32_e32 v4, 0x80000000, v4
	v_lshl_add_u32 v3, v3, 23, v31
	v_or3_b32 v1, v4, v3, v1
.LBB6_478:                              ;   in Loop: Header=BB6_124 Depth=2
	s_or_b64 exec, exec, s[58:59]
.LBB6_479:                              ;   in Loop: Header=BB6_124 Depth=2
	s_or_b64 exec, exec, s[56:57]
.LBB6_480:                              ;   in Loop: Header=BB6_124 Depth=2
	s_or_b64 exec, exec, s[22:23]
	v_mul_f32_e32 v3, v5, v1
	v_and_b32_sdwa v1, v3, s76 dst_sel:DWORD dst_unused:UNUSED_PAD src0_sel:BYTE_3 src1_sel:DWORD
	v_and_b32_e32 v14, 0x7f800000, v3
	v_mov_b32_e32 v15, v39
	v_and_b32_e32 v38, 0x7fffff, v3
	v_or_b32_e32 v33, 0x7e, v1
	v_cmp_ne_u64_e32 vcc, s[42:43], v[14:15]
	s_and_saveexec_b64 s[22:23], vcc
	s_xor_b64 s[56:57], exec, s[22:23]
	s_cbranch_execz .LBB6_490
; %bb.481:                              ;   in Loop: Header=BB6_124 Depth=2
	v_and_b32_e32 v14, 0x7fffffff, v3
	v_mov_b32_e32 v15, v39
	v_cmp_gt_u64_e32 vcc, s[44:45], v[14:15]
	s_and_saveexec_b64 s[58:59], vcc
	s_cbranch_execz .LBB6_489
; %bb.482:                              ;   in Loop: Header=BB6_124 Depth=2
	v_cmp_ne_u32_e32 vcc, 0, v3
	v_mov_b32_e32 v33, 0
	s_and_saveexec_b64 s[60:61], vcc
	s_cbranch_execz .LBB6_488
; %bb.483:                              ;   in Loop: Header=BB6_124 Depth=2
	v_bfe_u32 v3, v3, 23, 8
	v_sub_u32_e32 v9, 0x79, v3
	v_cmp_gt_u32_e32 vcc, s77, v3
	v_add_u32_e32 v4, 0xffffff81, v3
	v_cndmask_b32_e32 v9, 0, v9, vcc
	v_cmp_eq_u32_e32 vcc, 0, v3
	v_mov_b32_e32 v3, 0xffffff82
	v_cndmask_b32_e32 v3, v4, v3, vcc
	v_cndmask_b32_e32 v4, v9, v20, vcc
	v_or_b32_e32 v14, 0x800000, v38
	v_add_u32_e32 v9, 20, v4
	v_cndmask_b32_e32 v38, v14, v38, vcc
	v_lshlrev_b64 v[14:15], v9, -1
	v_not_b32_e32 v9, v15
	v_and_b32_e32 v15, 0, v9
	v_add_u32_e32 v9, 19, v4
	v_lshrrev_b64 v[18:19], v4, v[38:39]
	v_not_b32_e32 v14, v14
	v_lshlrev_b64 v[16:17], v9, 1
	v_lshrrev_b32_e32 v9, 23, v18
	v_and_b32_e32 v14, v38, v14
	v_add3_u32 v9, v4, v3, v9
	v_bfe_u32 v3, v18, 20, 1
	v_add_u32_e32 v3, -1, v3
	v_cmp_eq_u64_e32 vcc, v[14:15], v[16:17]
	v_cndmask_b32_e32 v3, 0, v3, vcc
	v_add_u32_e32 v3, v3, v18
	v_and_b32_e32 v3, 0xfffff, v3
	v_add_co_u32_e32 v14, vcc, v3, v18
	v_add_u32_e32 v4, 6, v9
	v_addc_co_u32_e32 v15, vcc, 0, v19, vcc
	v_cmp_ne_u32_e32 vcc, 0, v4
                                        ; implicit-def: $vgpr3
	s_and_saveexec_b64 s[22:23], vcc
	s_xor_b64 s[22:23], exec, s[22:23]
; %bb.484:                              ;   in Loop: Header=BB6_124 Depth=2
	v_add_u32_e32 v3, 7, v9
	v_cmp_lt_u64_e32 vcc, s[48:49], v[14:15]
	v_cndmask_b32_e32 v3, v4, v3, vcc
	v_cndmask_b32_e64 v4, 0, 1, vcc
	v_lshrrev_b64 v[14:15], v4, v[14:15]
; %bb.485:                              ;   in Loop: Header=BB6_124 Depth=2
	s_andn2_saveexec_b64 s[22:23], s[22:23]
; %bb.486:                              ;   in Loop: Header=BB6_124 Depth=2
	v_bfe_u32 v3, v14, 23, 1
; %bb.487:                              ;   in Loop: Header=BB6_124 Depth=2
	s_or_b64 exec, exec, s[22:23]
	v_lshrrev_b64 v[14:15], 20, v[14:15]
	v_cmp_gt_i32_e32 vcc, 16, v3
	v_cndmask_b32_e32 v15, 0, v15, vcc
	v_cndmask_b32_e32 v14, 7, v14, vcc
	v_cmp_eq_u32_e32 vcc, 0, v3
	v_min_i32_e32 v3, 15, v3
	v_cmp_eq_u64_e64 s[22:23], 0, v[14:15]
	v_lshlrev_b32_e32 v3, 3, v3
	v_and_or_b32 v3, v14, 7, v3
	s_and_b64 s[22:23], vcc, s[22:23]
	v_cndmask_b32_e64 v3, v3, 0, s[22:23]
	v_or_b32_e32 v33, v3, v1
.LBB6_488:                              ;   in Loop: Header=BB6_124 Depth=2
	s_or_b64 exec, exec, s[60:61]
.LBB6_489:                              ;   in Loop: Header=BB6_124 Depth=2
	s_or_b64 exec, exec, s[58:59]
                                        ; implicit-def: $vgpr3
.LBB6_490:                              ;   in Loop: Header=BB6_124 Depth=2
	s_andn2_saveexec_b64 s[22:23], s[56:57]
; %bb.491:                              ;   in Loop: Header=BB6_124 Depth=2
	v_or_b32_sdwa v1, v3, s75 dst_sel:DWORD dst_unused:UNUSED_PAD src0_sel:BYTE_3 src1_sel:DWORD
	v_cmp_eq_u64_e32 vcc, 0, v[38:39]
	v_cndmask_b32_e32 v33, v1, v33, vcc
; %bb.492:                              ;   in Loop: Header=BB6_124 Depth=2
	s_or_b64 exec, exec, s[22:23]
	v_mov_b32_e32 v38, v11
	v_cmp_ne_u16_sdwa vcc, v11, v39 src0_sel:BYTE_0 src1_sel:DWORD
	v_mov_b32_e32 v1, 0
	s_and_saveexec_b64 s[22:23], vcc
	s_cbranch_execz .LBB6_498
; %bb.493:                              ;   in Loop: Header=BB6_124 Depth=2
	v_cmp_ne_u16_sdwa vcc, v11, s76 src0_sel:BYTE_0 src1_sel:DWORD
	v_bfrev_b32_e32 v1, 1
	s_and_saveexec_b64 s[56:57], vcc
	s_cbranch_execz .LBB6_497
; %bb.494:                              ;   in Loop: Header=BB6_124 Depth=2
	v_and_b32_e32 v3, 0x7f, v11
	v_cmp_ne_u32_e32 vcc, s75, v3
	v_mov_b32_e32 v1, 0x7f800001
	s_and_saveexec_b64 s[58:59], vcc
	s_cbranch_execz .LBB6_496
; %bb.495:                              ;   in Loop: Header=BB6_124 Depth=2
	v_and_b32_e32 v1, 7, v11
	v_ffbh_u32_e32 v1, v1
	v_min_u32_e32 v1, 32, v1
	v_subrev_u32_e32 v9, 28, v1
	v_cmp_gt_u32_e32 vcc, 8, v3
	v_lshrrev_b32_e32 v4, 3, v3
	v_cndmask_b32_e32 v3, 0, v9, vcc
	v_sub_u32_e32 v1, 29, v1
	v_lshlrev_b64 v[14:15], v3, v[38:39]
	v_cndmask_b32_e32 v1, v4, v1, vcc
	v_lshlrev_b32_e32 v3, 20, v14
	v_lshlrev_b32_e32 v4, 24, v38
	v_and_b32_e32 v3, 0x700000, v3
	v_and_b32_e32 v4, 0x80000000, v4
	v_lshl_add_u32 v1, v1, 23, v31
	v_or3_b32 v1, v4, v1, v3
.LBB6_496:                              ;   in Loop: Header=BB6_124 Depth=2
	s_or_b64 exec, exec, s[58:59]
.LBB6_497:                              ;   in Loop: Header=BB6_124 Depth=2
	s_or_b64 exec, exec, s[56:57]
.LBB6_498:                              ;   in Loop: Header=BB6_124 Depth=2
	s_or_b64 exec, exec, s[22:23]
	v_mul_f32_e32 v3, v5, v1
	v_and_b32_sdwa v1, v3, s76 dst_sel:DWORD dst_unused:UNUSED_PAD src0_sel:BYTE_3 src1_sel:DWORD
	v_and_b32_e32 v16, 0x7f800000, v3
	v_mov_b32_e32 v17, v39
	v_and_b32_e32 v14, 0x7fffff, v3
	v_mov_b32_e32 v15, v39
	v_or_b32_e32 v26, 0x7e, v1
	v_cmp_ne_u64_e32 vcc, s[42:43], v[16:17]
	s_and_saveexec_b64 s[22:23], vcc
	s_xor_b64 s[56:57], exec, s[22:23]
	s_cbranch_execz .LBB6_508
; %bb.499:                              ;   in Loop: Header=BB6_124 Depth=2
	v_and_b32_e32 v16, 0x7fffffff, v3
	v_mov_b32_e32 v17, v39
	v_cmp_gt_u64_e32 vcc, s[44:45], v[16:17]
	s_and_saveexec_b64 s[58:59], vcc
	s_cbranch_execz .LBB6_507
; %bb.500:                              ;   in Loop: Header=BB6_124 Depth=2
	v_cmp_ne_u32_e32 vcc, 0, v3
	v_mov_b32_e32 v26, 0
	s_and_saveexec_b64 s[60:61], vcc
	s_cbranch_execz .LBB6_506
; %bb.501:                              ;   in Loop: Header=BB6_124 Depth=2
	v_bfe_u32 v3, v3, 23, 8
	v_sub_u32_e32 v9, 0x79, v3
	v_cmp_gt_u32_e32 vcc, s77, v3
	v_add_u32_e32 v4, 0xffffff81, v3
	v_cndmask_b32_e32 v9, 0, v9, vcc
	v_cmp_eq_u32_e32 vcc, 0, v3
	v_mov_b32_e32 v3, 0xffffff82
	v_cndmask_b32_e32 v3, v4, v3, vcc
	v_cndmask_b32_e32 v4, v9, v20, vcc
	v_or_b32_e32 v16, 0x800000, v14
	v_add_u32_e32 v9, 20, v4
	v_cndmask_b32_e32 v14, v16, v14, vcc
	v_lshlrev_b64 v[16:17], v9, -1
	v_not_b32_e32 v9, v17
	v_not_b32_e32 v16, v16
	v_and_b32_e32 v17, 0, v9
	v_and_b32_e32 v16, v14, v16
	v_add_u32_e32 v9, 19, v4
	v_lshrrev_b64 v[14:15], v4, v[14:15]
	v_lshlrev_b64 v[18:19], v9, 1
	v_lshrrev_b32_e32 v9, 23, v14
	v_add3_u32 v9, v4, v3, v9
	v_bfe_u32 v3, v14, 20, 1
	v_add_u32_e32 v3, -1, v3
	v_cmp_eq_u64_e32 vcc, v[16:17], v[18:19]
	v_cndmask_b32_e32 v3, 0, v3, vcc
	v_add_u32_e32 v3, v3, v14
	v_and_b32_e32 v3, 0xfffff, v3
	v_add_co_u32_e32 v14, vcc, v3, v14
	v_add_u32_e32 v4, 6, v9
	v_addc_co_u32_e32 v15, vcc, 0, v15, vcc
	v_cmp_ne_u32_e32 vcc, 0, v4
                                        ; implicit-def: $vgpr3
	s_and_saveexec_b64 s[22:23], vcc
	s_xor_b64 s[22:23], exec, s[22:23]
; %bb.502:                              ;   in Loop: Header=BB6_124 Depth=2
	v_add_u32_e32 v3, 7, v9
	v_cmp_lt_u64_e32 vcc, s[48:49], v[14:15]
	v_cndmask_b32_e32 v3, v4, v3, vcc
	v_cndmask_b32_e64 v4, 0, 1, vcc
	v_lshrrev_b64 v[14:15], v4, v[14:15]
; %bb.503:                              ;   in Loop: Header=BB6_124 Depth=2
	s_andn2_saveexec_b64 s[22:23], s[22:23]
; %bb.504:                              ;   in Loop: Header=BB6_124 Depth=2
	v_bfe_u32 v3, v14, 23, 1
; %bb.505:                              ;   in Loop: Header=BB6_124 Depth=2
	s_or_b64 exec, exec, s[22:23]
	v_lshrrev_b64 v[14:15], 20, v[14:15]
	v_cmp_gt_i32_e32 vcc, 16, v3
	v_cndmask_b32_e32 v15, 0, v15, vcc
	v_cndmask_b32_e32 v14, 7, v14, vcc
	v_cmp_eq_u32_e32 vcc, 0, v3
	v_min_i32_e32 v3, 15, v3
	v_cmp_eq_u64_e64 s[22:23], 0, v[14:15]
	v_lshlrev_b32_e32 v3, 3, v3
	v_and_or_b32 v3, v14, 7, v3
	s_and_b64 s[22:23], vcc, s[22:23]
	v_cndmask_b32_e64 v3, v3, 0, s[22:23]
	v_or_b32_e32 v26, v3, v1
.LBB6_506:                              ;   in Loop: Header=BB6_124 Depth=2
	s_or_b64 exec, exec, s[60:61]
.LBB6_507:                              ;   in Loop: Header=BB6_124 Depth=2
	s_or_b64 exec, exec, s[58:59]
                                        ; implicit-def: $vgpr3
                                        ; implicit-def: $vgpr14_vgpr15
.LBB6_508:                              ;   in Loop: Header=BB6_124 Depth=2
	s_andn2_saveexec_b64 s[22:23], s[56:57]
; %bb.509:                              ;   in Loop: Header=BB6_124 Depth=2
	v_or_b32_sdwa v1, v3, s75 dst_sel:DWORD dst_unused:UNUSED_PAD src0_sel:BYTE_3 src1_sel:DWORD
	v_cmp_eq_u64_e32 vcc, 0, v[14:15]
	v_cndmask_b32_e32 v26, v1, v26, vcc
; %bb.510:                              ;   in Loop: Header=BB6_124 Depth=2
	s_or_b64 exec, exec, s[22:23]
	v_lshrrev_b16_e32 v14, 8, v38
	v_cmp_ne_u16_e32 vcc, 0, v14
	v_mov_b32_e32 v1, 0
	s_and_saveexec_b64 s[22:23], vcc
	s_cbranch_execz .LBB6_516
; %bb.511:                              ;   in Loop: Header=BB6_124 Depth=2
	v_cmp_ne_u16_e32 vcc, s76, v14
	v_bfrev_b32_e32 v1, 1
	s_and_saveexec_b64 s[56:57], vcc
	s_cbranch_execz .LBB6_515
; %bb.512:                              ;   in Loop: Header=BB6_124 Depth=2
	v_and_b32_e32 v3, 0x7f, v14
	v_cmp_ne_u32_e32 vcc, s75, v3
	v_mov_b32_e32 v1, 0x7f800001
	s_and_saveexec_b64 s[58:59], vcc
	s_cbranch_execz .LBB6_514
; %bb.513:                              ;   in Loop: Header=BB6_124 Depth=2
	v_and_b32_e32 v1, 7, v14
	v_ffbh_u32_e32 v9, v1
	v_min_u32_e32 v9, 32, v9
	v_subrev_u32_e32 v15, 28, v9
	v_lshlrev_b64 v[14:15], v15, v[14:15]
	v_lshrrev_b32_e32 v4, 3, v3
	v_sub_u32_e32 v9, 29, v9
	v_and_b32_e32 v14, 7, v14
	v_cmp_gt_u32_e32 vcc, 8, v3
	v_cndmask_b32_e32 v3, v4, v9, vcc
	v_cndmask_b32_e32 v1, v1, v14, vcc
	v_lshlrev_b32_e32 v4, 16, v38
	v_lshlrev_b32_e32 v1, 20, v1
	v_and_b32_e32 v4, 0x80000000, v4
	v_lshl_add_u32 v3, v3, 23, v31
	v_or3_b32 v1, v4, v3, v1
.LBB6_514:                              ;   in Loop: Header=BB6_124 Depth=2
	s_or_b64 exec, exec, s[58:59]
.LBB6_515:                              ;   in Loop: Header=BB6_124 Depth=2
	s_or_b64 exec, exec, s[56:57]
.LBB6_516:                              ;   in Loop: Header=BB6_124 Depth=2
	s_or_b64 exec, exec, s[22:23]
	v_mul_f32_e32 v3, v5, v1
	v_and_b32_sdwa v1, v3, s76 dst_sel:DWORD dst_unused:UNUSED_PAD src0_sel:BYTE_3 src1_sel:DWORD
	v_and_b32_e32 v14, 0x7f800000, v3
	v_mov_b32_e32 v15, v39
	v_and_b32_e32 v38, 0x7fffff, v3
	v_or_b32_e32 v55, 0x7e, v1
	v_cmp_ne_u64_e32 vcc, s[42:43], v[14:15]
	s_and_saveexec_b64 s[22:23], vcc
	s_xor_b64 s[56:57], exec, s[22:23]
	s_cbranch_execz .LBB6_526
; %bb.517:                              ;   in Loop: Header=BB6_124 Depth=2
	v_and_b32_e32 v14, 0x7fffffff, v3
	v_mov_b32_e32 v15, v39
	v_cmp_gt_u64_e32 vcc, s[44:45], v[14:15]
	s_and_saveexec_b64 s[58:59], vcc
	s_cbranch_execz .LBB6_525
; %bb.518:                              ;   in Loop: Header=BB6_124 Depth=2
	v_cmp_ne_u32_e32 vcc, 0, v3
	v_mov_b32_e32 v55, 0
	s_and_saveexec_b64 s[60:61], vcc
	s_cbranch_execz .LBB6_524
; %bb.519:                              ;   in Loop: Header=BB6_124 Depth=2
	v_bfe_u32 v3, v3, 23, 8
	v_sub_u32_e32 v9, 0x79, v3
	v_cmp_gt_u32_e32 vcc, s77, v3
	v_add_u32_e32 v4, 0xffffff81, v3
	v_cndmask_b32_e32 v9, 0, v9, vcc
	v_cmp_eq_u32_e32 vcc, 0, v3
	v_mov_b32_e32 v3, 0xffffff82
	v_cndmask_b32_e32 v3, v4, v3, vcc
	v_cndmask_b32_e32 v4, v9, v20, vcc
	v_or_b32_e32 v14, 0x800000, v38
	v_add_u32_e32 v9, 20, v4
	v_cndmask_b32_e32 v38, v14, v38, vcc
	v_lshlrev_b64 v[14:15], v9, -1
	v_not_b32_e32 v9, v15
	v_and_b32_e32 v15, 0, v9
	v_add_u32_e32 v9, 19, v4
	v_lshrrev_b64 v[18:19], v4, v[38:39]
	v_not_b32_e32 v14, v14
	v_lshlrev_b64 v[16:17], v9, 1
	v_lshrrev_b32_e32 v9, 23, v18
	v_and_b32_e32 v14, v38, v14
	v_add3_u32 v9, v4, v3, v9
	v_bfe_u32 v3, v18, 20, 1
	v_add_u32_e32 v3, -1, v3
	v_cmp_eq_u64_e32 vcc, v[14:15], v[16:17]
	v_cndmask_b32_e32 v3, 0, v3, vcc
	v_add_u32_e32 v3, v3, v18
	v_and_b32_e32 v3, 0xfffff, v3
	v_add_co_u32_e32 v14, vcc, v3, v18
	v_add_u32_e32 v4, 6, v9
	v_addc_co_u32_e32 v15, vcc, 0, v19, vcc
	v_cmp_ne_u32_e32 vcc, 0, v4
                                        ; implicit-def: $vgpr3
	s_and_saveexec_b64 s[22:23], vcc
	s_xor_b64 s[22:23], exec, s[22:23]
; %bb.520:                              ;   in Loop: Header=BB6_124 Depth=2
	v_add_u32_e32 v3, 7, v9
	v_cmp_lt_u64_e32 vcc, s[48:49], v[14:15]
	v_cndmask_b32_e32 v3, v4, v3, vcc
	v_cndmask_b32_e64 v4, 0, 1, vcc
	v_lshrrev_b64 v[14:15], v4, v[14:15]
; %bb.521:                              ;   in Loop: Header=BB6_124 Depth=2
	s_andn2_saveexec_b64 s[22:23], s[22:23]
; %bb.522:                              ;   in Loop: Header=BB6_124 Depth=2
	v_bfe_u32 v3, v14, 23, 1
; %bb.523:                              ;   in Loop: Header=BB6_124 Depth=2
	s_or_b64 exec, exec, s[22:23]
	v_lshrrev_b64 v[14:15], 20, v[14:15]
	v_cmp_gt_i32_e32 vcc, 16, v3
	v_cndmask_b32_e32 v15, 0, v15, vcc
	v_cndmask_b32_e32 v14, 7, v14, vcc
	v_cmp_eq_u32_e32 vcc, 0, v3
	v_min_i32_e32 v3, 15, v3
	v_lshlrev_b32_e32 v3, 3, v3
	v_cmp_eq_u64_e64 s[22:23], 0, v[14:15]
	v_and_b32_e32 v3, 0xf8, v3
	v_and_or_b32 v3, v14, 7, v3
	s_and_b64 s[22:23], vcc, s[22:23]
	v_cndmask_b32_e64 v3, v3, 0, s[22:23]
	v_or_b32_e32 v55, v3, v1
.LBB6_524:                              ;   in Loop: Header=BB6_124 Depth=2
	s_or_b64 exec, exec, s[60:61]
.LBB6_525:                              ;   in Loop: Header=BB6_124 Depth=2
	s_or_b64 exec, exec, s[58:59]
                                        ; implicit-def: $vgpr3
.LBB6_526:                              ;   in Loop: Header=BB6_124 Depth=2
	s_andn2_saveexec_b64 s[22:23], s[56:57]
; %bb.527:                              ;   in Loop: Header=BB6_124 Depth=2
	v_or_b32_sdwa v1, v3, s75 dst_sel:DWORD dst_unused:UNUSED_PAD src0_sel:BYTE_3 src1_sel:DWORD
	v_cmp_eq_u64_e32 vcc, 0, v[38:39]
	v_cndmask_b32_e32 v55, v1, v55, vcc
; %bb.528:                              ;   in Loop: Header=BB6_124 Depth=2
	s_or_b64 exec, exec, s[22:23]
	v_lshrrev_b32_e32 v14, 16, v11
	v_cmp_ne_u16_sdwa vcc, v14, v39 src0_sel:BYTE_0 src1_sel:DWORD
	v_mov_b32_e32 v1, 0
	s_and_saveexec_b64 s[22:23], vcc
	s_cbranch_execz .LBB6_534
; %bb.529:                              ;   in Loop: Header=BB6_124 Depth=2
	v_cmp_ne_u16_sdwa vcc, v14, s76 src0_sel:BYTE_0 src1_sel:DWORD
	v_bfrev_b32_e32 v1, 1
	s_and_saveexec_b64 s[56:57], vcc
	s_cbranch_execz .LBB6_533
; %bb.530:                              ;   in Loop: Header=BB6_124 Depth=2
	v_bfe_u32 v3, v11, 16, 7
	v_cmp_ne_u32_e32 vcc, s75, v3
	v_mov_b32_e32 v1, 0x7f800001
	s_and_saveexec_b64 s[58:59], vcc
	s_cbranch_execz .LBB6_532
; %bb.531:                              ;   in Loop: Header=BB6_124 Depth=2
	v_and_b32_e32 v1, 7, v14
	v_ffbh_u32_e32 v9, v1
	v_min_u32_e32 v9, 32, v9
	v_subrev_u32_e32 v15, 28, v9
	v_lshlrev_b64 v[16:17], v15, v[14:15]
	v_lshrrev_b32_e32 v4, 3, v3
	v_sub_u32_e32 v9, 29, v9
	v_and_b32_e32 v15, 7, v16
	v_cmp_gt_u32_e32 vcc, 8, v3
	v_cndmask_b32_e32 v3, v4, v9, vcc
	v_cndmask_b32_e32 v1, v1, v15, vcc
	v_lshlrev_b32_e32 v4, 24, v14
	v_lshlrev_b32_e32 v1, 20, v1
	v_and_b32_e32 v4, 0x80000000, v4
	v_lshl_add_u32 v3, v3, 23, v31
	v_or3_b32 v1, v4, v3, v1
.LBB6_532:                              ;   in Loop: Header=BB6_124 Depth=2
	s_or_b64 exec, exec, s[58:59]
.LBB6_533:                              ;   in Loop: Header=BB6_124 Depth=2
	s_or_b64 exec, exec, s[56:57]
.LBB6_534:                              ;   in Loop: Header=BB6_124 Depth=2
	s_or_b64 exec, exec, s[22:23]
	v_mul_f32_e32 v3, v5, v1
	v_and_b32_sdwa v1, v3, s76 dst_sel:DWORD dst_unused:UNUSED_PAD src0_sel:BYTE_3 src1_sel:DWORD
	v_and_b32_e32 v14, 0x7f800000, v3
	v_mov_b32_e32 v15, v39
	v_and_b32_e32 v38, 0x7fffff, v3
	v_or_b32_e32 v51, 0x7e, v1
	v_cmp_ne_u64_e32 vcc, s[42:43], v[14:15]
	s_and_saveexec_b64 s[22:23], vcc
	s_xor_b64 s[56:57], exec, s[22:23]
	s_cbranch_execz .LBB6_544
; %bb.535:                              ;   in Loop: Header=BB6_124 Depth=2
	v_and_b32_e32 v14, 0x7fffffff, v3
	v_mov_b32_e32 v15, v39
	v_cmp_gt_u64_e32 vcc, s[44:45], v[14:15]
	s_and_saveexec_b64 s[58:59], vcc
	s_cbranch_execz .LBB6_543
; %bb.536:                              ;   in Loop: Header=BB6_124 Depth=2
	v_cmp_ne_u32_e32 vcc, 0, v3
	v_mov_b32_e32 v51, 0
	s_and_saveexec_b64 s[60:61], vcc
	s_cbranch_execz .LBB6_542
; %bb.537:                              ;   in Loop: Header=BB6_124 Depth=2
	v_bfe_u32 v3, v3, 23, 8
	v_sub_u32_e32 v9, 0x79, v3
	v_cmp_gt_u32_e32 vcc, s77, v3
	v_add_u32_e32 v4, 0xffffff81, v3
	v_cndmask_b32_e32 v9, 0, v9, vcc
	v_cmp_eq_u32_e32 vcc, 0, v3
	v_mov_b32_e32 v3, 0xffffff82
	v_cndmask_b32_e32 v3, v4, v3, vcc
	v_cndmask_b32_e32 v4, v9, v20, vcc
	v_or_b32_e32 v14, 0x800000, v38
	v_add_u32_e32 v9, 20, v4
	v_cndmask_b32_e32 v38, v14, v38, vcc
	v_lshlrev_b64 v[14:15], v9, -1
	v_not_b32_e32 v9, v15
	v_and_b32_e32 v15, 0, v9
	v_add_u32_e32 v9, 19, v4
	v_lshrrev_b64 v[18:19], v4, v[38:39]
	v_not_b32_e32 v14, v14
	v_lshlrev_b64 v[16:17], v9, 1
	v_lshrrev_b32_e32 v9, 23, v18
	v_and_b32_e32 v14, v38, v14
	v_add3_u32 v9, v4, v3, v9
	v_bfe_u32 v3, v18, 20, 1
	v_add_u32_e32 v3, -1, v3
	v_cmp_eq_u64_e32 vcc, v[14:15], v[16:17]
	v_cndmask_b32_e32 v3, 0, v3, vcc
	v_add_u32_e32 v3, v3, v18
	v_and_b32_e32 v3, 0xfffff, v3
	v_add_co_u32_e32 v14, vcc, v3, v18
	v_add_u32_e32 v4, 6, v9
	v_addc_co_u32_e32 v15, vcc, 0, v19, vcc
	v_cmp_ne_u32_e32 vcc, 0, v4
                                        ; implicit-def: $vgpr3
	s_and_saveexec_b64 s[22:23], vcc
	s_xor_b64 s[22:23], exec, s[22:23]
; %bb.538:                              ;   in Loop: Header=BB6_124 Depth=2
	v_add_u32_e32 v3, 7, v9
	v_cmp_lt_u64_e32 vcc, s[48:49], v[14:15]
	v_cndmask_b32_e32 v3, v4, v3, vcc
	v_cndmask_b32_e64 v4, 0, 1, vcc
	v_lshrrev_b64 v[14:15], v4, v[14:15]
; %bb.539:                              ;   in Loop: Header=BB6_124 Depth=2
	s_andn2_saveexec_b64 s[22:23], s[22:23]
; %bb.540:                              ;   in Loop: Header=BB6_124 Depth=2
	v_bfe_u32 v3, v14, 23, 1
; %bb.541:                              ;   in Loop: Header=BB6_124 Depth=2
	s_or_b64 exec, exec, s[22:23]
	v_lshrrev_b64 v[14:15], 20, v[14:15]
	v_cmp_gt_i32_e32 vcc, 16, v3
	v_cndmask_b32_e32 v15, 0, v15, vcc
	v_cndmask_b32_e32 v14, 7, v14, vcc
	v_cmp_eq_u32_e32 vcc, 0, v3
	v_min_i32_e32 v3, 15, v3
	v_lshlrev_b32_e32 v3, 3, v3
	v_cmp_eq_u64_e64 s[22:23], 0, v[14:15]
	v_and_b32_e32 v3, 0xf8, v3
	v_and_or_b32 v3, v14, 7, v3
	s_and_b64 s[22:23], vcc, s[22:23]
	v_cndmask_b32_e64 v3, v3, 0, s[22:23]
	v_or_b32_e32 v51, v3, v1
.LBB6_542:                              ;   in Loop: Header=BB6_124 Depth=2
	s_or_b64 exec, exec, s[60:61]
.LBB6_543:                              ;   in Loop: Header=BB6_124 Depth=2
	s_or_b64 exec, exec, s[58:59]
                                        ; implicit-def: $vgpr3
.LBB6_544:                              ;   in Loop: Header=BB6_124 Depth=2
	s_andn2_saveexec_b64 s[22:23], s[56:57]
; %bb.545:                              ;   in Loop: Header=BB6_124 Depth=2
	v_or_b32_sdwa v1, v3, s75 dst_sel:DWORD dst_unused:UNUSED_PAD src0_sel:BYTE_3 src1_sel:DWORD
	v_cmp_eq_u64_e32 vcc, 0, v[38:39]
	v_cndmask_b32_e32 v51, v1, v51, vcc
; %bb.546:                              ;   in Loop: Header=BB6_124 Depth=2
	s_or_b64 exec, exec, s[22:23]
	v_cmp_lt_u64_e32 vcc, s[46:47], v[10:11]
	v_mov_b32_e32 v1, 0
	s_and_saveexec_b64 s[22:23], vcc
	s_cbranch_execz .LBB6_552
; %bb.547:                              ;   in Loop: Header=BB6_124 Depth=2
	v_lshrrev_b32_e32 v10, 24, v11
	v_cmp_ne_u32_e32 vcc, s76, v10
	v_bfrev_b32_e32 v1, 1
	s_and_saveexec_b64 s[56:57], vcc
	s_cbranch_execz .LBB6_551
; %bb.548:                              ;   in Loop: Header=BB6_124 Depth=2
	v_bfe_u32 v3, v11, 24, 7
	v_cmp_ne_u32_e32 vcc, s75, v3
	v_mov_b32_e32 v1, 0x7f800001
	s_and_saveexec_b64 s[58:59], vcc
	s_cbranch_execz .LBB6_550
; %bb.549:                              ;   in Loop: Header=BB6_124 Depth=2
	v_and_b32_e32 v1, 7, v10
	v_ffbh_u32_e32 v9, v1
	v_min_u32_e32 v9, 32, v9
	v_subrev_u32_e32 v11, 28, v9
	v_lshlrev_b64 v[14:15], v11, v[10:11]
	v_lshrrev_b32_e32 v4, 3, v3
	v_sub_u32_e32 v9, 29, v9
	v_and_b32_e32 v11, 7, v14
	v_cmp_gt_u32_e32 vcc, 8, v3
	v_cndmask_b32_e32 v3, v4, v9, vcc
	v_cndmask_b32_e32 v1, v1, v11, vcc
	v_lshlrev_b32_e32 v4, 24, v10
	v_lshlrev_b32_e32 v1, 20, v1
	v_and_b32_e32 v4, 0x80000000, v4
	v_lshl_add_u32 v3, v3, 23, v31
	v_or3_b32 v1, v4, v3, v1
.LBB6_550:                              ;   in Loop: Header=BB6_124 Depth=2
	s_or_b64 exec, exec, s[58:59]
.LBB6_551:                              ;   in Loop: Header=BB6_124 Depth=2
	s_or_b64 exec, exec, s[56:57]
.LBB6_552:                              ;   in Loop: Header=BB6_124 Depth=2
	s_or_b64 exec, exec, s[22:23]
	v_mul_f32_e32 v3, v5, v1
	v_and_b32_sdwa v1, v3, s76 dst_sel:DWORD dst_unused:UNUSED_PAD src0_sel:BYTE_3 src1_sel:DWORD
	v_and_b32_e32 v10, 0x7f800000, v3
	v_mov_b32_e32 v11, v39
	v_and_b32_e32 v38, 0x7fffff, v3
	v_or_b32_e32 v9, 0x7e, v1
	v_cmp_ne_u64_e32 vcc, s[42:43], v[10:11]
	s_and_saveexec_b64 s[22:23], vcc
	s_xor_b64 s[56:57], exec, s[22:23]
	s_cbranch_execz .LBB6_562
; %bb.553:                              ;   in Loop: Header=BB6_124 Depth=2
	v_and_b32_e32 v10, 0x7fffffff, v3
	v_mov_b32_e32 v11, v39
	v_cmp_gt_u64_e32 vcc, s[44:45], v[10:11]
	s_and_saveexec_b64 s[58:59], vcc
	s_cbranch_execz .LBB6_561
; %bb.554:                              ;   in Loop: Header=BB6_124 Depth=2
	v_cmp_ne_u32_e32 vcc, 0, v3
	v_mov_b32_e32 v9, 0
	s_and_saveexec_b64 s[60:61], vcc
	s_cbranch_execz .LBB6_560
; %bb.555:                              ;   in Loop: Header=BB6_124 Depth=2
	v_bfe_u32 v3, v3, 23, 8
	v_sub_u32_e32 v9, 0x79, v3
	v_cmp_gt_u32_e32 vcc, s77, v3
	v_add_u32_e32 v4, 0xffffff81, v3
	v_cndmask_b32_e32 v9, 0, v9, vcc
	v_cmp_eq_u32_e32 vcc, 0, v3
	v_mov_b32_e32 v3, 0xffffff82
	v_cndmask_b32_e32 v3, v4, v3, vcc
	v_cndmask_b32_e32 v4, v9, v20, vcc
	v_or_b32_e32 v10, 0x800000, v38
	v_add_u32_e32 v9, 20, v4
	v_cndmask_b32_e32 v38, v10, v38, vcc
	v_lshlrev_b64 v[10:11], v9, -1
	v_not_b32_e32 v9, v11
	v_and_b32_e32 v11, 0, v9
	v_add_u32_e32 v9, 19, v4
	v_lshrrev_b64 v[16:17], v4, v[38:39]
	v_not_b32_e32 v10, v10
	v_lshlrev_b64 v[14:15], v9, 1
	v_lshrrev_b32_e32 v9, 23, v16
	v_and_b32_e32 v10, v38, v10
	v_add3_u32 v9, v4, v3, v9
	v_bfe_u32 v3, v16, 20, 1
	v_add_u32_e32 v3, -1, v3
	v_cmp_eq_u64_e32 vcc, v[10:11], v[14:15]
	v_cndmask_b32_e32 v3, 0, v3, vcc
	v_add_u32_e32 v3, v3, v16
	v_and_b32_e32 v3, 0xfffff, v3
	v_add_co_u32_e32 v10, vcc, v3, v16
	v_add_u32_e32 v4, 6, v9
	v_addc_co_u32_e32 v11, vcc, 0, v17, vcc
	v_cmp_ne_u32_e32 vcc, 0, v4
                                        ; implicit-def: $vgpr3
	s_and_saveexec_b64 s[22:23], vcc
	s_xor_b64 s[22:23], exec, s[22:23]
; %bb.556:                              ;   in Loop: Header=BB6_124 Depth=2
	v_add_u32_e32 v3, 7, v9
	v_cmp_lt_u64_e32 vcc, s[48:49], v[10:11]
	v_cndmask_b32_e32 v3, v4, v3, vcc
	v_cndmask_b32_e64 v4, 0, 1, vcc
	v_lshrrev_b64 v[10:11], v4, v[10:11]
; %bb.557:                              ;   in Loop: Header=BB6_124 Depth=2
	s_andn2_saveexec_b64 s[22:23], s[22:23]
; %bb.558:                              ;   in Loop: Header=BB6_124 Depth=2
	v_bfe_u32 v3, v10, 23, 1
; %bb.559:                              ;   in Loop: Header=BB6_124 Depth=2
	s_or_b64 exec, exec, s[22:23]
	v_lshrrev_b64 v[10:11], 20, v[10:11]
	v_cmp_gt_i32_e32 vcc, 16, v3
	v_cndmask_b32_e32 v11, 0, v11, vcc
	v_cndmask_b32_e32 v10, 7, v10, vcc
	v_cmp_eq_u32_e32 vcc, 0, v3
	v_min_i32_e32 v3, 15, v3
	v_lshlrev_b32_e32 v3, 3, v3
	v_cmp_eq_u64_e64 s[22:23], 0, v[10:11]
	v_and_b32_e32 v3, 0xf8, v3
	v_and_or_b32 v3, v10, 7, v3
	s_and_b64 s[22:23], vcc, s[22:23]
	v_cndmask_b32_e64 v3, v3, 0, s[22:23]
	v_or_b32_e32 v9, v3, v1
.LBB6_560:                              ;   in Loop: Header=BB6_124 Depth=2
	s_or_b64 exec, exec, s[60:61]
.LBB6_561:                              ;   in Loop: Header=BB6_124 Depth=2
	s_or_b64 exec, exec, s[58:59]
                                        ; implicit-def: $vgpr3
.LBB6_562:                              ;   in Loop: Header=BB6_124 Depth=2
	s_andn2_saveexec_b64 s[22:23], s[56:57]
; %bb.563:                              ;   in Loop: Header=BB6_124 Depth=2
	v_or_b32_sdwa v1, v3, s75 dst_sel:DWORD dst_unused:UNUSED_PAD src0_sel:BYTE_3 src1_sel:DWORD
	v_cmp_eq_u64_e32 vcc, 0, v[38:39]
	v_cndmask_b32_e32 v9, v1, v9, vcc
; %bb.564:                              ;   in Loop: Header=BB6_124 Depth=2
	s_or_b64 exec, exec, s[22:23]
	v_cmp_ne_u16_sdwa vcc, v12, v39 src0_sel:BYTE_0 src1_sel:DWORD
	v_mov_b32_e32 v1, 0
	s_and_saveexec_b64 s[22:23], vcc
	s_cbranch_execz .LBB6_570
; %bb.565:                              ;   in Loop: Header=BB6_124 Depth=2
	v_cmp_ne_u16_sdwa vcc, v12, s76 src0_sel:BYTE_0 src1_sel:DWORD
	v_bfrev_b32_e32 v1, 1
	s_and_saveexec_b64 s[56:57], vcc
	s_cbranch_execz .LBB6_569
; %bb.566:                              ;   in Loop: Header=BB6_124 Depth=2
	v_and_b32_e32 v3, 0x7f, v12
	v_cmp_ne_u32_e32 vcc, s75, v3
	v_mov_b32_e32 v1, 0x7f800001
	s_and_saveexec_b64 s[58:59], vcc
	s_cbranch_execz .LBB6_568
; %bb.567:                              ;   in Loop: Header=BB6_124 Depth=2
	v_and_b32_e32 v1, 7, v12
	v_ffbh_u32_e32 v1, v1
	v_min_u32_e32 v1, 32, v1
	v_subrev_u32_e32 v10, 28, v1
	v_cmp_gt_u32_e32 vcc, 8, v3
	v_lshrrev_b32_e32 v4, 3, v3
	v_cndmask_b32_e32 v3, 0, v10, vcc
	v_sub_u32_e32 v1, 29, v1
	v_lshlrev_b64 v[10:11], v3, v[12:13]
	v_cndmask_b32_e32 v1, v4, v1, vcc
	v_lshlrev_b32_e32 v3, 20, v10
	v_lshlrev_b32_e32 v4, 24, v12
	v_and_b32_e32 v3, 0x700000, v3
	v_and_b32_e32 v4, 0x80000000, v4
	v_lshl_add_u32 v1, v1, 23, v31
	v_or3_b32 v1, v4, v1, v3
.LBB6_568:                              ;   in Loop: Header=BB6_124 Depth=2
	s_or_b64 exec, exec, s[58:59]
.LBB6_569:                              ;   in Loop: Header=BB6_124 Depth=2
	s_or_b64 exec, exec, s[56:57]
.LBB6_570:                              ;   in Loop: Header=BB6_124 Depth=2
	s_or_b64 exec, exec, s[22:23]
	v_mul_f32_e32 v3, v5, v1
	v_and_b32_sdwa v1, v3, s76 dst_sel:DWORD dst_unused:UNUSED_PAD src0_sel:BYTE_3 src1_sel:DWORD
	v_and_b32_e32 v10, 0x7f800000, v3
	v_mov_b32_e32 v11, v39
	v_and_b32_e32 v38, 0x7fffff, v3
	v_or_b32_e32 v18, 0x7e, v1
	v_cmp_ne_u64_e32 vcc, s[42:43], v[10:11]
	s_and_saveexec_b64 s[22:23], vcc
	s_xor_b64 s[56:57], exec, s[22:23]
	s_cbranch_execz .LBB6_580
; %bb.571:                              ;   in Loop: Header=BB6_124 Depth=2
	v_and_b32_e32 v10, 0x7fffffff, v3
	v_mov_b32_e32 v11, v39
	v_cmp_gt_u64_e32 vcc, s[44:45], v[10:11]
	s_and_saveexec_b64 s[58:59], vcc
	s_cbranch_execz .LBB6_579
; %bb.572:                              ;   in Loop: Header=BB6_124 Depth=2
	v_cmp_ne_u32_e32 vcc, 0, v3
	v_mov_b32_e32 v18, 0
	s_and_saveexec_b64 s[60:61], vcc
	s_cbranch_execz .LBB6_578
; %bb.573:                              ;   in Loop: Header=BB6_124 Depth=2
	v_bfe_u32 v3, v3, 23, 8
	v_sub_u32_e32 v10, 0x79, v3
	v_cmp_gt_u32_e32 vcc, s77, v3
	v_add_u32_e32 v4, 0xffffff81, v3
	v_cndmask_b32_e32 v10, 0, v10, vcc
	v_cmp_eq_u32_e32 vcc, 0, v3
	v_mov_b32_e32 v3, 0xffffff82
	v_or_b32_e32 v11, 0x800000, v38
	v_cndmask_b32_e32 v3, v4, v3, vcc
	v_cndmask_b32_e32 v4, v10, v20, vcc
	;; [unrolled: 1-line block ×3, first 2 shown]
	v_add_u32_e32 v10, 20, v4
	v_lshlrev_b64 v[10:11], v10, -1
	v_add_u32_e32 v14, 19, v4
	v_lshrrev_b64 v[18:19], v4, v[38:39]
	v_not_b32_e32 v11, v11
	v_not_b32_e32 v10, v10
	v_lshlrev_b64 v[16:17], v14, 1
	v_lshrrev_b32_e32 v14, 23, v18
	v_and_b32_e32 v11, 0, v11
	v_and_b32_e32 v10, v38, v10
	v_add3_u32 v14, v4, v3, v14
	v_bfe_u32 v3, v18, 20, 1
	v_add_u32_e32 v3, -1, v3
	v_cmp_eq_u64_e32 vcc, v[10:11], v[16:17]
	v_cndmask_b32_e32 v3, 0, v3, vcc
	v_add_u32_e32 v3, v3, v18
	v_and_b32_e32 v3, 0xfffff, v3
	v_add_co_u32_e32 v10, vcc, v3, v18
	v_add_u32_e32 v4, 6, v14
	v_addc_co_u32_e32 v11, vcc, 0, v19, vcc
	v_cmp_ne_u32_e32 vcc, 0, v4
                                        ; implicit-def: $vgpr3
	s_and_saveexec_b64 s[22:23], vcc
	s_xor_b64 s[22:23], exec, s[22:23]
; %bb.574:                              ;   in Loop: Header=BB6_124 Depth=2
	v_add_u32_e32 v3, 7, v14
	v_cmp_lt_u64_e32 vcc, s[48:49], v[10:11]
	v_cndmask_b32_e32 v3, v4, v3, vcc
	v_cndmask_b32_e64 v4, 0, 1, vcc
	v_lshrrev_b64 v[10:11], v4, v[10:11]
; %bb.575:                              ;   in Loop: Header=BB6_124 Depth=2
	s_andn2_saveexec_b64 s[22:23], s[22:23]
; %bb.576:                              ;   in Loop: Header=BB6_124 Depth=2
	v_bfe_u32 v3, v10, 23, 1
; %bb.577:                              ;   in Loop: Header=BB6_124 Depth=2
	s_or_b64 exec, exec, s[22:23]
	v_lshrrev_b64 v[10:11], 20, v[10:11]
	v_cmp_gt_i32_e32 vcc, 16, v3
	v_cndmask_b32_e32 v11, 0, v11, vcc
	v_cndmask_b32_e32 v10, 7, v10, vcc
	v_cmp_eq_u32_e32 vcc, 0, v3
	v_min_i32_e32 v3, 15, v3
	v_cmp_eq_u64_e64 s[22:23], 0, v[10:11]
	v_lshlrev_b32_e32 v3, 3, v3
	v_and_or_b32 v3, v10, 7, v3
	s_and_b64 s[22:23], vcc, s[22:23]
	v_cndmask_b32_e64 v3, v3, 0, s[22:23]
	v_or_b32_e32 v18, v3, v1
.LBB6_578:                              ;   in Loop: Header=BB6_124 Depth=2
	s_or_b64 exec, exec, s[60:61]
.LBB6_579:                              ;   in Loop: Header=BB6_124 Depth=2
	s_or_b64 exec, exec, s[58:59]
                                        ; implicit-def: $vgpr3
.LBB6_580:                              ;   in Loop: Header=BB6_124 Depth=2
	s_andn2_saveexec_b64 s[22:23], s[56:57]
; %bb.581:                              ;   in Loop: Header=BB6_124 Depth=2
	v_or_b32_sdwa v1, v3, s75 dst_sel:DWORD dst_unused:UNUSED_PAD src0_sel:BYTE_3 src1_sel:DWORD
	v_cmp_eq_u64_e32 vcc, 0, v[38:39]
	v_cndmask_b32_e32 v18, v1, v18, vcc
; %bb.582:                              ;   in Loop: Header=BB6_124 Depth=2
	s_or_b64 exec, exec, s[22:23]
	v_lshrrev_b16_e32 v10, 8, v12
	v_cmp_ne_u16_e32 vcc, 0, v10
	v_mov_b32_e32 v1, 0
	s_and_saveexec_b64 s[22:23], vcc
	s_cbranch_execz .LBB6_588
; %bb.583:                              ;   in Loop: Header=BB6_124 Depth=2
	v_cmp_ne_u16_e32 vcc, s76, v10
	v_bfrev_b32_e32 v1, 1
	s_and_saveexec_b64 s[56:57], vcc
	s_cbranch_execz .LBB6_587
; %bb.584:                              ;   in Loop: Header=BB6_124 Depth=2
	v_and_b32_e32 v3, 0x7f, v10
	v_cmp_ne_u32_e32 vcc, s75, v3
	v_mov_b32_e32 v1, 0x7f800001
	s_and_saveexec_b64 s[58:59], vcc
	s_cbranch_execz .LBB6_586
; %bb.585:                              ;   in Loop: Header=BB6_124 Depth=2
	v_and_b32_e32 v1, 7, v10
	v_ffbh_u32_e32 v11, v1
	v_min_u32_e32 v14, 32, v11
	v_subrev_u32_e32 v11, 28, v14
	v_lshlrev_b64 v[10:11], v11, v[10:11]
	v_lshrrev_b32_e32 v4, 3, v3
	v_sub_u32_e32 v11, 29, v14
	v_and_b32_e32 v10, 7, v10
	v_cmp_gt_u32_e32 vcc, 8, v3
	v_cndmask_b32_e32 v3, v4, v11, vcc
	v_cndmask_b32_e32 v1, v1, v10, vcc
	v_lshlrev_b32_e32 v4, 16, v12
	v_lshlrev_b32_e32 v1, 20, v1
	v_and_b32_e32 v4, 0x80000000, v4
	v_lshl_add_u32 v3, v3, 23, v31
	v_or3_b32 v1, v4, v3, v1
.LBB6_586:                              ;   in Loop: Header=BB6_124 Depth=2
	s_or_b64 exec, exec, s[58:59]
.LBB6_587:                              ;   in Loop: Header=BB6_124 Depth=2
	s_or_b64 exec, exec, s[56:57]
.LBB6_588:                              ;   in Loop: Header=BB6_124 Depth=2
	s_or_b64 exec, exec, s[22:23]
	v_mul_f32_e32 v3, v5, v1
	v_and_b32_sdwa v1, v3, s76 dst_sel:DWORD dst_unused:UNUSED_PAD src0_sel:BYTE_3 src1_sel:DWORD
	v_and_b32_e32 v10, 0x7f800000, v3
	v_mov_b32_e32 v11, v39
	v_and_b32_e32 v38, 0x7fffff, v3
	v_or_b32_e32 v32, 0x7e, v1
	v_cmp_ne_u64_e32 vcc, s[42:43], v[10:11]
	s_and_saveexec_b64 s[22:23], vcc
	s_xor_b64 s[56:57], exec, s[22:23]
	s_cbranch_execz .LBB6_598
; %bb.589:                              ;   in Loop: Header=BB6_124 Depth=2
	v_and_b32_e32 v10, 0x7fffffff, v3
	v_mov_b32_e32 v11, v39
	v_cmp_gt_u64_e32 vcc, s[44:45], v[10:11]
	s_and_saveexec_b64 s[58:59], vcc
	s_cbranch_execz .LBB6_597
; %bb.590:                              ;   in Loop: Header=BB6_124 Depth=2
	v_cmp_ne_u32_e32 vcc, 0, v3
	v_mov_b32_e32 v32, 0
	s_and_saveexec_b64 s[60:61], vcc
	s_cbranch_execz .LBB6_596
; %bb.591:                              ;   in Loop: Header=BB6_124 Depth=2
	v_bfe_u32 v3, v3, 23, 8
	v_sub_u32_e32 v10, 0x79, v3
	v_cmp_gt_u32_e32 vcc, s77, v3
	v_add_u32_e32 v4, 0xffffff81, v3
	v_cndmask_b32_e32 v10, 0, v10, vcc
	v_cmp_eq_u32_e32 vcc, 0, v3
	v_mov_b32_e32 v3, 0xffffff82
	v_or_b32_e32 v11, 0x800000, v38
	v_cndmask_b32_e32 v3, v4, v3, vcc
	v_cndmask_b32_e32 v4, v10, v20, vcc
	;; [unrolled: 1-line block ×3, first 2 shown]
	v_add_u32_e32 v10, 20, v4
	v_lshlrev_b64 v[10:11], v10, -1
	v_add_u32_e32 v14, 19, v4
	v_lshrrev_b64 v[22:23], v4, v[38:39]
	v_not_b32_e32 v11, v11
	v_not_b32_e32 v10, v10
	v_lshlrev_b64 v[16:17], v14, 1
	v_lshrrev_b32_e32 v14, 23, v22
	v_and_b32_e32 v11, 0, v11
	v_and_b32_e32 v10, v38, v10
	v_add3_u32 v14, v4, v3, v14
	v_bfe_u32 v3, v22, 20, 1
	v_add_u32_e32 v3, -1, v3
	v_cmp_eq_u64_e32 vcc, v[10:11], v[16:17]
	v_cndmask_b32_e32 v3, 0, v3, vcc
	v_add_u32_e32 v3, v3, v22
	v_and_b32_e32 v3, 0xfffff, v3
	v_add_co_u32_e32 v10, vcc, v3, v22
	v_add_u32_e32 v4, 6, v14
	v_addc_co_u32_e32 v11, vcc, 0, v23, vcc
	v_cmp_ne_u32_e32 vcc, 0, v4
                                        ; implicit-def: $vgpr3
	s_and_saveexec_b64 s[22:23], vcc
	s_xor_b64 s[22:23], exec, s[22:23]
; %bb.592:                              ;   in Loop: Header=BB6_124 Depth=2
	v_add_u32_e32 v3, 7, v14
	v_cmp_lt_u64_e32 vcc, s[48:49], v[10:11]
	v_cndmask_b32_e32 v3, v4, v3, vcc
	v_cndmask_b32_e64 v4, 0, 1, vcc
	v_lshrrev_b64 v[10:11], v4, v[10:11]
; %bb.593:                              ;   in Loop: Header=BB6_124 Depth=2
	s_andn2_saveexec_b64 s[22:23], s[22:23]
; %bb.594:                              ;   in Loop: Header=BB6_124 Depth=2
	v_bfe_u32 v3, v10, 23, 1
; %bb.595:                              ;   in Loop: Header=BB6_124 Depth=2
	s_or_b64 exec, exec, s[22:23]
	v_lshrrev_b64 v[10:11], 20, v[10:11]
	v_cmp_gt_i32_e32 vcc, 16, v3
	v_cndmask_b32_e32 v11, 0, v11, vcc
	v_cndmask_b32_e32 v10, 7, v10, vcc
	v_cmp_eq_u32_e32 vcc, 0, v3
	v_min_i32_e32 v3, 15, v3
	v_cmp_eq_u64_e64 s[22:23], 0, v[10:11]
	v_lshlrev_b32_e32 v3, 3, v3
	v_and_or_b32 v3, v10, 7, v3
	s_and_b64 s[22:23], vcc, s[22:23]
	v_cndmask_b32_e64 v3, v3, 0, s[22:23]
	v_or_b32_e32 v32, v3, v1
.LBB6_596:                              ;   in Loop: Header=BB6_124 Depth=2
	s_or_b64 exec, exec, s[60:61]
.LBB6_597:                              ;   in Loop: Header=BB6_124 Depth=2
	s_or_b64 exec, exec, s[58:59]
                                        ; implicit-def: $vgpr3
.LBB6_598:                              ;   in Loop: Header=BB6_124 Depth=2
	s_andn2_saveexec_b64 s[22:23], s[56:57]
; %bb.599:                              ;   in Loop: Header=BB6_124 Depth=2
	v_or_b32_sdwa v1, v3, s75 dst_sel:DWORD dst_unused:UNUSED_PAD src0_sel:BYTE_3 src1_sel:DWORD
	v_cmp_eq_u64_e32 vcc, 0, v[38:39]
	v_cndmask_b32_e32 v32, v1, v32, vcc
; %bb.600:                              ;   in Loop: Header=BB6_124 Depth=2
	s_or_b64 exec, exec, s[22:23]
	v_lshrrev_b32_e32 v10, 16, v12
	v_cmp_ne_u16_sdwa vcc, v10, v39 src0_sel:BYTE_0 src1_sel:DWORD
	v_mov_b32_e32 v1, 0
	s_and_saveexec_b64 s[22:23], vcc
	s_cbranch_execz .LBB6_606
; %bb.601:                              ;   in Loop: Header=BB6_124 Depth=2
	v_cmp_ne_u16_sdwa vcc, v10, s76 src0_sel:BYTE_0 src1_sel:DWORD
	v_bfrev_b32_e32 v1, 1
	s_and_saveexec_b64 s[56:57], vcc
	s_cbranch_execz .LBB6_605
; %bb.602:                              ;   in Loop: Header=BB6_124 Depth=2
	v_bfe_u32 v3, v12, 16, 7
	v_cmp_ne_u32_e32 vcc, s75, v3
	v_mov_b32_e32 v1, 0x7f800001
	s_and_saveexec_b64 s[58:59], vcc
	s_cbranch_execz .LBB6_604
; %bb.603:                              ;   in Loop: Header=BB6_124 Depth=2
	v_and_b32_e32 v1, 7, v10
	v_ffbh_u32_e32 v11, v1
	v_min_u32_e32 v11, 32, v11
	v_subrev_u32_e32 v14, 28, v11
	v_lshlrev_b64 v[14:15], v14, v[10:11]
	v_lshrrev_b32_e32 v4, 3, v3
	v_sub_u32_e32 v11, 29, v11
	v_and_b32_e32 v14, 7, v14
	v_cmp_gt_u32_e32 vcc, 8, v3
	v_cndmask_b32_e32 v3, v4, v11, vcc
	v_cndmask_b32_e32 v1, v1, v14, vcc
	v_lshlrev_b32_e32 v4, 24, v10
	v_lshlrev_b32_e32 v1, 20, v1
	v_and_b32_e32 v4, 0x80000000, v4
	v_lshl_add_u32 v3, v3, 23, v31
	v_or3_b32 v1, v4, v3, v1
.LBB6_604:                              ;   in Loop: Header=BB6_124 Depth=2
	s_or_b64 exec, exec, s[58:59]
.LBB6_605:                              ;   in Loop: Header=BB6_124 Depth=2
	s_or_b64 exec, exec, s[56:57]
.LBB6_606:                              ;   in Loop: Header=BB6_124 Depth=2
	s_or_b64 exec, exec, s[22:23]
	v_mul_f32_e32 v3, v5, v1
	v_and_b32_sdwa v1, v3, s76 dst_sel:DWORD dst_unused:UNUSED_PAD src0_sel:BYTE_3 src1_sel:DWORD
	v_and_b32_e32 v10, 0x7f800000, v3
	v_mov_b32_e32 v11, v39
	v_and_b32_e32 v38, 0x7fffff, v3
	v_or_b32_e32 v58, 0x7e, v1
	v_cmp_ne_u64_e32 vcc, s[42:43], v[10:11]
	s_and_saveexec_b64 s[22:23], vcc
	s_xor_b64 s[56:57], exec, s[22:23]
	s_cbranch_execz .LBB6_616
; %bb.607:                              ;   in Loop: Header=BB6_124 Depth=2
	v_and_b32_e32 v10, 0x7fffffff, v3
	v_mov_b32_e32 v11, v39
	v_cmp_gt_u64_e32 vcc, s[44:45], v[10:11]
	s_and_saveexec_b64 s[58:59], vcc
	s_cbranch_execz .LBB6_615
; %bb.608:                              ;   in Loop: Header=BB6_124 Depth=2
	v_cmp_ne_u32_e32 vcc, 0, v3
	v_mov_b32_e32 v58, 0
	s_and_saveexec_b64 s[60:61], vcc
	s_cbranch_execz .LBB6_614
; %bb.609:                              ;   in Loop: Header=BB6_124 Depth=2
	v_bfe_u32 v3, v3, 23, 8
	v_sub_u32_e32 v10, 0x79, v3
	v_cmp_gt_u32_e32 vcc, s77, v3
	v_add_u32_e32 v4, 0xffffff81, v3
	v_cndmask_b32_e32 v10, 0, v10, vcc
	v_cmp_eq_u32_e32 vcc, 0, v3
	v_mov_b32_e32 v3, 0xffffff82
	v_or_b32_e32 v11, 0x800000, v38
	v_cndmask_b32_e32 v3, v4, v3, vcc
	v_cndmask_b32_e32 v4, v10, v20, vcc
	;; [unrolled: 1-line block ×3, first 2 shown]
	v_add_u32_e32 v10, 20, v4
	v_lshlrev_b64 v[10:11], v10, -1
	v_add_u32_e32 v14, 19, v4
	v_lshrrev_b64 v[22:23], v4, v[38:39]
	v_not_b32_e32 v11, v11
	v_not_b32_e32 v10, v10
	v_lshlrev_b64 v[16:17], v14, 1
	v_lshrrev_b32_e32 v14, 23, v22
	v_and_b32_e32 v11, 0, v11
	v_and_b32_e32 v10, v38, v10
	v_add3_u32 v14, v4, v3, v14
	v_bfe_u32 v3, v22, 20, 1
	v_add_u32_e32 v3, -1, v3
	v_cmp_eq_u64_e32 vcc, v[10:11], v[16:17]
	v_cndmask_b32_e32 v3, 0, v3, vcc
	v_add_u32_e32 v3, v3, v22
	v_and_b32_e32 v3, 0xfffff, v3
	v_add_co_u32_e32 v10, vcc, v3, v22
	v_add_u32_e32 v4, 6, v14
	v_addc_co_u32_e32 v11, vcc, 0, v23, vcc
	v_cmp_ne_u32_e32 vcc, 0, v4
                                        ; implicit-def: $vgpr3
	s_and_saveexec_b64 s[22:23], vcc
	s_xor_b64 s[22:23], exec, s[22:23]
; %bb.610:                              ;   in Loop: Header=BB6_124 Depth=2
	v_add_u32_e32 v3, 7, v14
	v_cmp_lt_u64_e32 vcc, s[48:49], v[10:11]
	v_cndmask_b32_e32 v3, v4, v3, vcc
	v_cndmask_b32_e64 v4, 0, 1, vcc
	v_lshrrev_b64 v[10:11], v4, v[10:11]
; %bb.611:                              ;   in Loop: Header=BB6_124 Depth=2
	s_andn2_saveexec_b64 s[22:23], s[22:23]
; %bb.612:                              ;   in Loop: Header=BB6_124 Depth=2
	v_bfe_u32 v3, v10, 23, 1
; %bb.613:                              ;   in Loop: Header=BB6_124 Depth=2
	s_or_b64 exec, exec, s[22:23]
	v_lshrrev_b64 v[10:11], 20, v[10:11]
	v_cmp_gt_i32_e32 vcc, 16, v3
	v_cndmask_b32_e32 v11, 0, v11, vcc
	v_cndmask_b32_e32 v10, 7, v10, vcc
	v_cmp_eq_u32_e32 vcc, 0, v3
	v_min_i32_e32 v3, 15, v3
	v_cmp_eq_u64_e64 s[22:23], 0, v[10:11]
	v_lshlrev_b32_e32 v3, 3, v3
	v_and_or_b32 v3, v10, 7, v3
	s_and_b64 s[22:23], vcc, s[22:23]
	v_cndmask_b32_e64 v3, v3, 0, s[22:23]
	v_or_b32_e32 v58, v3, v1
.LBB6_614:                              ;   in Loop: Header=BB6_124 Depth=2
	s_or_b64 exec, exec, s[60:61]
.LBB6_615:                              ;   in Loop: Header=BB6_124 Depth=2
	s_or_b64 exec, exec, s[58:59]
                                        ; implicit-def: $vgpr3
.LBB6_616:                              ;   in Loop: Header=BB6_124 Depth=2
	s_andn2_saveexec_b64 s[22:23], s[56:57]
; %bb.617:                              ;   in Loop: Header=BB6_124 Depth=2
	v_or_b32_sdwa v1, v3, s75 dst_sel:DWORD dst_unused:UNUSED_PAD src0_sel:BYTE_3 src1_sel:DWORD
	v_cmp_eq_u64_e32 vcc, 0, v[38:39]
	v_cndmask_b32_e32 v58, v1, v58, vcc
; %bb.618:                              ;   in Loop: Header=BB6_124 Depth=2
	s_or_b64 exec, exec, s[22:23]
	v_cmp_lt_u32_e32 vcc, s47, v12
	v_mov_b32_e32 v1, 0
	s_and_saveexec_b64 s[22:23], vcc
	s_cbranch_execz .LBB6_624
; %bb.619:                              ;   in Loop: Header=BB6_124 Depth=2
	v_lshrrev_b32_e32 v10, 24, v12
	v_cmp_ne_u32_e32 vcc, s76, v10
	v_bfrev_b32_e32 v1, 1
	s_and_saveexec_b64 s[56:57], vcc
	s_cbranch_execz .LBB6_623
; %bb.620:                              ;   in Loop: Header=BB6_124 Depth=2
	v_bfe_u32 v3, v12, 24, 7
	v_cmp_ne_u32_e32 vcc, s75, v3
	v_mov_b32_e32 v1, 0x7f800001
	s_and_saveexec_b64 s[58:59], vcc
	s_cbranch_execz .LBB6_622
; %bb.621:                              ;   in Loop: Header=BB6_124 Depth=2
	v_and_b32_e32 v1, 7, v10
	v_ffbh_u32_e32 v11, v1
	v_min_u32_e32 v11, 32, v11
	v_subrev_u32_e32 v14, 28, v11
	v_lshlrev_b64 v[14:15], v14, v[10:11]
	v_lshrrev_b32_e32 v4, 3, v3
	v_sub_u32_e32 v11, 29, v11
	v_and_b32_e32 v14, 7, v14
	v_cmp_gt_u32_e32 vcc, 8, v3
	v_cndmask_b32_e32 v3, v4, v11, vcc
	v_cndmask_b32_e32 v1, v1, v14, vcc
	v_lshlrev_b32_e32 v4, 24, v10
	v_lshlrev_b32_e32 v1, 20, v1
	v_and_b32_e32 v4, 0x80000000, v4
	v_lshl_add_u32 v3, v3, 23, v31
	v_or3_b32 v1, v4, v3, v1
.LBB6_622:                              ;   in Loop: Header=BB6_124 Depth=2
	s_or_b64 exec, exec, s[58:59]
.LBB6_623:                              ;   in Loop: Header=BB6_124 Depth=2
	s_or_b64 exec, exec, s[56:57]
.LBB6_624:                              ;   in Loop: Header=BB6_124 Depth=2
	s_or_b64 exec, exec, s[22:23]
	v_mul_f32_e32 v3, v5, v1
	v_and_b32_sdwa v1, v3, s76 dst_sel:DWORD dst_unused:UNUSED_PAD src0_sel:BYTE_3 src1_sel:DWORD
	v_and_b32_e32 v10, 0x7f800000, v3
	v_mov_b32_e32 v11, v39
	v_and_b32_e32 v38, 0x7fffff, v3
	v_or_b32_e32 v4, 0x7e, v1
	v_cmp_ne_u64_e32 vcc, s[42:43], v[10:11]
	s_and_saveexec_b64 s[22:23], vcc
	s_xor_b64 s[56:57], exec, s[22:23]
	s_cbranch_execz .LBB6_634
; %bb.625:                              ;   in Loop: Header=BB6_124 Depth=2
	v_and_b32_e32 v10, 0x7fffffff, v3
	v_mov_b32_e32 v11, v39
	v_cmp_gt_u64_e32 vcc, s[44:45], v[10:11]
	s_and_saveexec_b64 s[58:59], vcc
	s_cbranch_execz .LBB6_633
; %bb.626:                              ;   in Loop: Header=BB6_124 Depth=2
	v_cmp_ne_u32_e32 vcc, 0, v3
	v_mov_b32_e32 v4, 0
	s_and_saveexec_b64 s[60:61], vcc
	s_cbranch_execz .LBB6_632
; %bb.627:                              ;   in Loop: Header=BB6_124 Depth=2
	v_bfe_u32 v3, v3, 23, 8
	v_sub_u32_e32 v10, 0x79, v3
	v_cmp_gt_u32_e32 vcc, s77, v3
	v_add_u32_e32 v4, 0xffffff81, v3
	v_cndmask_b32_e32 v10, 0, v10, vcc
	v_cmp_eq_u32_e32 vcc, 0, v3
	v_mov_b32_e32 v3, 0xffffff82
	v_or_b32_e32 v11, 0x800000, v38
	v_cndmask_b32_e32 v3, v4, v3, vcc
	v_cndmask_b32_e32 v4, v10, v20, vcc
	;; [unrolled: 1-line block ×3, first 2 shown]
	v_add_u32_e32 v10, 20, v4
	v_lshlrev_b64 v[10:11], v10, -1
	v_add_u32_e32 v14, 19, v4
	v_lshrrev_b64 v[22:23], v4, v[38:39]
	v_not_b32_e32 v11, v11
	v_not_b32_e32 v10, v10
	v_lshlrev_b64 v[16:17], v14, 1
	v_lshrrev_b32_e32 v14, 23, v22
	v_and_b32_e32 v11, 0, v11
	v_and_b32_e32 v10, v38, v10
	v_add3_u32 v14, v4, v3, v14
	v_bfe_u32 v3, v22, 20, 1
	v_add_u32_e32 v3, -1, v3
	v_cmp_eq_u64_e32 vcc, v[10:11], v[16:17]
	v_cndmask_b32_e32 v3, 0, v3, vcc
	v_add_u32_e32 v3, v3, v22
	v_and_b32_e32 v3, 0xfffff, v3
	v_add_co_u32_e32 v10, vcc, v3, v22
	v_add_u32_e32 v4, 6, v14
	v_addc_co_u32_e32 v11, vcc, 0, v23, vcc
	v_cmp_ne_u32_e32 vcc, 0, v4
                                        ; implicit-def: $vgpr3
	s_and_saveexec_b64 s[22:23], vcc
	s_xor_b64 s[22:23], exec, s[22:23]
; %bb.628:                              ;   in Loop: Header=BB6_124 Depth=2
	v_add_u32_e32 v3, 7, v14
	v_cmp_lt_u64_e32 vcc, s[48:49], v[10:11]
	v_cndmask_b32_e32 v3, v4, v3, vcc
	v_cndmask_b32_e64 v4, 0, 1, vcc
	v_lshrrev_b64 v[10:11], v4, v[10:11]
; %bb.629:                              ;   in Loop: Header=BB6_124 Depth=2
	s_andn2_saveexec_b64 s[22:23], s[22:23]
; %bb.630:                              ;   in Loop: Header=BB6_124 Depth=2
	v_bfe_u32 v3, v10, 23, 1
; %bb.631:                              ;   in Loop: Header=BB6_124 Depth=2
	s_or_b64 exec, exec, s[22:23]
	v_lshrrev_b64 v[10:11], 20, v[10:11]
	v_cmp_gt_i32_e32 vcc, 16, v3
	v_cndmask_b32_e32 v11, 0, v11, vcc
	v_cndmask_b32_e32 v10, 7, v10, vcc
	v_cmp_eq_u32_e32 vcc, 0, v3
	v_min_i32_e32 v3, 15, v3
	v_cmp_eq_u64_e64 s[22:23], 0, v[10:11]
	v_lshlrev_b32_e32 v3, 3, v3
	v_and_or_b32 v3, v10, 7, v3
	s_and_b64 s[22:23], vcc, s[22:23]
	v_cndmask_b32_e64 v3, v3, 0, s[22:23]
	v_or_b32_e32 v4, v3, v1
.LBB6_632:                              ;   in Loop: Header=BB6_124 Depth=2
	s_or_b64 exec, exec, s[60:61]
.LBB6_633:                              ;   in Loop: Header=BB6_124 Depth=2
	s_or_b64 exec, exec, s[58:59]
                                        ; implicit-def: $vgpr3
.LBB6_634:                              ;   in Loop: Header=BB6_124 Depth=2
	s_andn2_saveexec_b64 s[22:23], s[56:57]
; %bb.635:                              ;   in Loop: Header=BB6_124 Depth=2
	v_or_b32_sdwa v1, v3, s75 dst_sel:DWORD dst_unused:UNUSED_PAD src0_sel:BYTE_3 src1_sel:DWORD
	v_cmp_eq_u64_e32 vcc, 0, v[38:39]
	v_cndmask_b32_e32 v4, v1, v4, vcc
; %bb.636:                              ;   in Loop: Header=BB6_124 Depth=2
	s_or_b64 exec, exec, s[22:23]
	v_mov_b32_e32 v38, v13
	v_cmp_ne_u16_sdwa vcc, v13, v39 src0_sel:BYTE_0 src1_sel:DWORD
	v_mov_b32_e32 v1, 0
	s_and_saveexec_b64 s[22:23], vcc
	s_cbranch_execz .LBB6_642
; %bb.637:                              ;   in Loop: Header=BB6_124 Depth=2
	v_cmp_ne_u16_sdwa vcc, v13, s76 src0_sel:BYTE_0 src1_sel:DWORD
	v_bfrev_b32_e32 v1, 1
	s_and_saveexec_b64 s[56:57], vcc
	s_cbranch_execz .LBB6_641
; %bb.638:                              ;   in Loop: Header=BB6_124 Depth=2
	v_and_b32_e32 v3, 0x7f, v13
	v_cmp_ne_u32_e32 vcc, s75, v3
	v_mov_b32_e32 v1, 0x7f800001
	s_and_saveexec_b64 s[58:59], vcc
	s_cbranch_execz .LBB6_640
; %bb.639:                              ;   in Loop: Header=BB6_124 Depth=2
	v_and_b32_e32 v1, 7, v13
	v_ffbh_u32_e32 v1, v1
	v_min_u32_e32 v1, 32, v1
	v_subrev_u32_e32 v11, 28, v1
	v_cmp_gt_u32_e32 vcc, 8, v3
	v_lshrrev_b32_e32 v10, 3, v3
	v_sub_u32_e32 v1, 29, v1
	v_cndmask_b32_e32 v3, 0, v11, vcc
	v_cndmask_b32_e32 v1, v10, v1, vcc
	v_lshlrev_b64 v[10:11], v3, v[38:39]
	v_lshlrev_b32_e32 v3, 20, v10
	v_lshlrev_b32_e32 v10, 24, v38
	v_and_b32_e32 v3, 0x700000, v3
	v_and_b32_e32 v10, 0x80000000, v10
	v_lshl_add_u32 v1, v1, 23, v31
	v_or3_b32 v1, v10, v1, v3
.LBB6_640:                              ;   in Loop: Header=BB6_124 Depth=2
	s_or_b64 exec, exec, s[58:59]
.LBB6_641:                              ;   in Loop: Header=BB6_124 Depth=2
	s_or_b64 exec, exec, s[56:57]
.LBB6_642:                              ;   in Loop: Header=BB6_124 Depth=2
	s_or_b64 exec, exec, s[22:23]
	v_mul_f32_e32 v14, v5, v1
	v_and_b32_sdwa v3, v14, s76 dst_sel:DWORD dst_unused:UNUSED_PAD src0_sel:BYTE_3 src1_sel:DWORD
	v_and_b32_e32 v16, 0x7f800000, v14
	v_mov_b32_e32 v17, v39
	v_and_b32_e32 v10, 0x7fffff, v14
	v_mov_b32_e32 v11, v39
	v_or_b32_e32 v1, 0x7e, v3
	v_cmp_ne_u64_e32 vcc, s[42:43], v[16:17]
	s_and_saveexec_b64 s[22:23], vcc
	s_xor_b64 s[56:57], exec, s[22:23]
	s_cbranch_execz .LBB6_652
; %bb.643:                              ;   in Loop: Header=BB6_124 Depth=2
	v_and_b32_e32 v16, 0x7fffffff, v14
	v_mov_b32_e32 v17, v39
	v_cmp_gt_u64_e32 vcc, s[44:45], v[16:17]
	s_and_saveexec_b64 s[58:59], vcc
	s_cbranch_execz .LBB6_651
; %bb.644:                              ;   in Loop: Header=BB6_124 Depth=2
	v_cmp_ne_u32_e32 vcc, 0, v14
	v_mov_b32_e32 v1, 0
	s_and_saveexec_b64 s[60:61], vcc
	s_cbranch_execz .LBB6_650
; %bb.645:                              ;   in Loop: Header=BB6_124 Depth=2
	v_bfe_u32 v1, v14, 23, 8
	v_sub_u32_e32 v15, 0x79, v1
	v_cmp_gt_u32_e32 vcc, s77, v1
	v_cndmask_b32_e32 v15, 0, v15, vcc
	v_cmp_eq_u32_e32 vcc, 0, v1
	v_add_u32_e32 v14, 0xffffff81, v1
	v_mov_b32_e32 v1, 0xffffff82
	v_cndmask_b32_e32 v19, v15, v20, vcc
	v_cndmask_b32_e32 v1, v14, v1, vcc
	v_add_u32_e32 v14, 20, v19
	v_or_b32_e32 v16, 0x800000, v10
	v_lshlrev_b64 v[14:15], v14, -1
	v_cndmask_b32_e32 v10, v16, v10, vcc
	v_not_b32_e32 v14, v14
	v_and_b32_e32 v16, v10, v14
	v_add_u32_e32 v14, 19, v19
	v_lshrrev_b64 v[10:11], v19, v[10:11]
	v_not_b32_e32 v15, v15
	v_lshlrev_b64 v[22:23], v14, 1
	v_lshrrev_b32_e32 v14, 23, v10
	v_and_b32_e32 v17, 0, v15
	v_add3_u32 v15, v19, v1, v14
	v_bfe_u32 v1, v10, 20, 1
	v_add_u32_e32 v1, -1, v1
	v_cmp_eq_u64_e32 vcc, v[16:17], v[22:23]
	v_cndmask_b32_e32 v1, 0, v1, vcc
	v_add_u32_e32 v1, v1, v10
	v_and_b32_e32 v1, 0xfffff, v1
	v_add_co_u32_e32 v10, vcc, v1, v10
	v_add_u32_e32 v14, 6, v15
	v_addc_co_u32_e32 v11, vcc, 0, v11, vcc
	v_cmp_ne_u32_e32 vcc, 0, v14
                                        ; implicit-def: $vgpr1
	s_and_saveexec_b64 s[22:23], vcc
	s_xor_b64 s[22:23], exec, s[22:23]
; %bb.646:                              ;   in Loop: Header=BB6_124 Depth=2
	v_add_u32_e32 v1, 7, v15
	v_cmp_lt_u64_e32 vcc, s[48:49], v[10:11]
	v_cndmask_b32_e32 v1, v14, v1, vcc
	v_cndmask_b32_e64 v14, 0, 1, vcc
	v_lshrrev_b64 v[10:11], v14, v[10:11]
; %bb.647:                              ;   in Loop: Header=BB6_124 Depth=2
	s_andn2_saveexec_b64 s[22:23], s[22:23]
; %bb.648:                              ;   in Loop: Header=BB6_124 Depth=2
	v_bfe_u32 v1, v10, 23, 1
; %bb.649:                              ;   in Loop: Header=BB6_124 Depth=2
	s_or_b64 exec, exec, s[22:23]
	v_lshrrev_b64 v[10:11], 20, v[10:11]
	v_cmp_gt_i32_e32 vcc, 16, v1
	v_cndmask_b32_e32 v11, 0, v11, vcc
	v_cndmask_b32_e32 v10, 7, v10, vcc
	v_cmp_eq_u32_e32 vcc, 0, v1
	v_min_i32_e32 v1, 15, v1
	v_cmp_eq_u64_e64 s[22:23], 0, v[10:11]
	v_lshlrev_b32_e32 v1, 3, v1
	v_and_or_b32 v1, v10, 7, v1
	s_and_b64 s[22:23], vcc, s[22:23]
	v_cndmask_b32_e64 v1, v1, 0, s[22:23]
	v_or_b32_e32 v1, v1, v3
.LBB6_650:                              ;   in Loop: Header=BB6_124 Depth=2
	s_or_b64 exec, exec, s[60:61]
.LBB6_651:                              ;   in Loop: Header=BB6_124 Depth=2
	s_or_b64 exec, exec, s[58:59]
                                        ; implicit-def: $vgpr14
                                        ; implicit-def: $vgpr10_vgpr11
.LBB6_652:                              ;   in Loop: Header=BB6_124 Depth=2
	s_andn2_saveexec_b64 s[22:23], s[56:57]
; %bb.653:                              ;   in Loop: Header=BB6_124 Depth=2
	v_or_b32_sdwa v3, v14, s75 dst_sel:DWORD dst_unused:UNUSED_PAD src0_sel:BYTE_3 src1_sel:DWORD
	v_cmp_eq_u64_e32 vcc, 0, v[10:11]
	v_cndmask_b32_e32 v1, v3, v1, vcc
; %bb.654:                              ;   in Loop: Header=BB6_124 Depth=2
	s_or_b64 exec, exec, s[22:23]
	v_lshrrev_b16_e32 v10, 8, v38
	v_cmp_ne_u16_e32 vcc, 0, v10
	v_mov_b32_e32 v3, 0
	s_and_saveexec_b64 s[22:23], vcc
	s_cbranch_execz .LBB6_660
; %bb.655:                              ;   in Loop: Header=BB6_124 Depth=2
	v_cmp_ne_u16_e32 vcc, s76, v10
	v_bfrev_b32_e32 v3, 1
	s_and_saveexec_b64 s[56:57], vcc
	s_cbranch_execz .LBB6_659
; %bb.656:                              ;   in Loop: Header=BB6_124 Depth=2
	v_and_b32_e32 v11, 0x7f, v10
	v_cmp_ne_u32_e32 vcc, s75, v11
	v_mov_b32_e32 v3, 0x7f800001
	s_and_saveexec_b64 s[58:59], vcc
	s_cbranch_execz .LBB6_658
; %bb.657:                              ;   in Loop: Header=BB6_124 Depth=2
	v_and_b32_e32 v3, 7, v10
	v_ffbh_u32_e32 v14, v3
	v_min_u32_e32 v17, 32, v14
	v_subrev_u32_e32 v14, 28, v17
	v_lshlrev_b64 v[14:15], v14, v[10:11]
	v_lshrrev_b32_e32 v16, 3, v11
	v_sub_u32_e32 v10, 29, v17
	v_and_b32_e32 v14, 7, v14
	v_cmp_gt_u32_e32 vcc, 8, v11
	v_cndmask_b32_e32 v10, v16, v10, vcc
	v_cndmask_b32_e32 v3, v3, v14, vcc
	v_lshlrev_b32_e32 v11, 16, v38
	v_lshlrev_b32_e32 v3, 20, v3
	v_and_b32_e32 v11, 0x80000000, v11
	v_lshl_add_u32 v10, v10, 23, v31
	v_or3_b32 v3, v11, v10, v3
.LBB6_658:                              ;   in Loop: Header=BB6_124 Depth=2
	s_or_b64 exec, exec, s[58:59]
.LBB6_659:                              ;   in Loop: Header=BB6_124 Depth=2
	s_or_b64 exec, exec, s[56:57]
.LBB6_660:                              ;   in Loop: Header=BB6_124 Depth=2
	s_or_b64 exec, exec, s[22:23]
	v_mul_f32_e32 v10, v5, v3
	v_and_b32_sdwa v3, v10, s76 dst_sel:DWORD dst_unused:UNUSED_PAD src0_sel:BYTE_3 src1_sel:DWORD
	v_and_b32_e32 v14, 0x7f800000, v10
	v_mov_b32_e32 v15, v39
	v_and_b32_e32 v38, 0x7fffff, v10
	v_or_b32_e32 v19, 0x7e, v3
	v_cmp_ne_u64_e32 vcc, s[42:43], v[14:15]
	s_and_saveexec_b64 s[22:23], vcc
	s_xor_b64 s[56:57], exec, s[22:23]
	s_cbranch_execz .LBB6_670
; %bb.661:                              ;   in Loop: Header=BB6_124 Depth=2
	v_and_b32_e32 v14, 0x7fffffff, v10
	v_mov_b32_e32 v15, v39
	v_cmp_gt_u64_e32 vcc, s[44:45], v[14:15]
	s_and_saveexec_b64 s[58:59], vcc
	s_cbranch_execz .LBB6_669
; %bb.662:                              ;   in Loop: Header=BB6_124 Depth=2
	v_cmp_ne_u32_e32 vcc, 0, v10
	v_mov_b32_e32 v19, 0
	s_and_saveexec_b64 s[60:61], vcc
	s_cbranch_execz .LBB6_668
; %bb.663:                              ;   in Loop: Header=BB6_124 Depth=2
	v_bfe_u32 v10, v10, 23, 8
	v_sub_u32_e32 v14, 0x79, v10
	v_cmp_gt_u32_e32 vcc, s77, v10
	v_cndmask_b32_e32 v14, 0, v14, vcc
	v_cmp_eq_u32_e32 vcc, 0, v10
	v_add_u32_e32 v11, 0xffffff81, v10
	v_or_b32_e32 v15, 0x800000, v38
	v_mov_b32_e32 v10, 0xffffff82
	v_cndmask_b32_e32 v14, v14, v20, vcc
	v_cndmask_b32_e32 v16, v11, v10, vcc
	;; [unrolled: 1-line block ×3, first 2 shown]
	v_add_u32_e32 v10, 20, v14
	v_lshlrev_b64 v[10:11], v10, -1
	v_add_u32_e32 v15, 19, v14
	v_lshrrev_b64 v[28:29], v14, v[38:39]
	v_not_b32_e32 v11, v11
	v_not_b32_e32 v10, v10
	v_lshlrev_b64 v[22:23], v15, 1
	v_lshrrev_b32_e32 v15, 23, v28
	v_and_b32_e32 v11, 0, v11
	v_and_b32_e32 v10, v38, v10
	v_add3_u32 v16, v14, v16, v15
	v_bfe_u32 v14, v28, 20, 1
	v_add_u32_e32 v14, -1, v14
	v_cmp_eq_u64_e32 vcc, v[10:11], v[22:23]
	v_cndmask_b32_e32 v10, 0, v14, vcc
	v_add_u32_e32 v10, v10, v28
	v_and_b32_e32 v10, 0xfffff, v10
	v_add_co_u32_e32 v10, vcc, v10, v28
	v_add_u32_e32 v15, 6, v16
	v_addc_co_u32_e32 v11, vcc, 0, v29, vcc
	v_cmp_ne_u32_e32 vcc, 0, v15
                                        ; implicit-def: $vgpr14
	s_and_saveexec_b64 s[22:23], vcc
	s_xor_b64 s[22:23], exec, s[22:23]
; %bb.664:                              ;   in Loop: Header=BB6_124 Depth=2
	v_add_u32_e32 v14, 7, v16
	v_cmp_lt_u64_e32 vcc, s[48:49], v[10:11]
	v_cndmask_b32_e32 v14, v15, v14, vcc
	v_cndmask_b32_e64 v15, 0, 1, vcc
	v_lshrrev_b64 v[10:11], v15, v[10:11]
; %bb.665:                              ;   in Loop: Header=BB6_124 Depth=2
	s_andn2_saveexec_b64 s[22:23], s[22:23]
; %bb.666:                              ;   in Loop: Header=BB6_124 Depth=2
	v_bfe_u32 v14, v10, 23, 1
; %bb.667:                              ;   in Loop: Header=BB6_124 Depth=2
	s_or_b64 exec, exec, s[22:23]
	v_lshrrev_b64 v[10:11], 20, v[10:11]
	v_cmp_gt_i32_e32 vcc, 16, v14
	v_cndmask_b32_e32 v11, 0, v11, vcc
	v_cndmask_b32_e32 v10, 7, v10, vcc
	v_cmp_eq_u64_e64 s[22:23], 0, v[10:11]
	v_min_i32_e32 v11, 15, v14
	v_lshlrev_b32_e32 v11, 3, v11
	v_cmp_eq_u32_e32 vcc, 0, v14
	v_and_b32_e32 v11, 0xf8, v11
	v_and_or_b32 v10, v10, 7, v11
	s_and_b64 s[22:23], vcc, s[22:23]
	v_cndmask_b32_e64 v10, v10, 0, s[22:23]
	v_or_b32_e32 v19, v10, v3
.LBB6_668:                              ;   in Loop: Header=BB6_124 Depth=2
	s_or_b64 exec, exec, s[60:61]
.LBB6_669:                              ;   in Loop: Header=BB6_124 Depth=2
	s_or_b64 exec, exec, s[58:59]
                                        ; implicit-def: $vgpr10
.LBB6_670:                              ;   in Loop: Header=BB6_124 Depth=2
	s_andn2_saveexec_b64 s[22:23], s[56:57]
; %bb.671:                              ;   in Loop: Header=BB6_124 Depth=2
	v_or_b32_sdwa v3, v10, s75 dst_sel:DWORD dst_unused:UNUSED_PAD src0_sel:BYTE_3 src1_sel:DWORD
	v_cmp_eq_u64_e32 vcc, 0, v[38:39]
	v_cndmask_b32_e32 v19, v3, v19, vcc
; %bb.672:                              ;   in Loop: Header=BB6_124 Depth=2
	s_or_b64 exec, exec, s[22:23]
	v_lshrrev_b32_e32 v10, 16, v13
	v_cmp_ne_u16_sdwa vcc, v10, v39 src0_sel:BYTE_0 src1_sel:DWORD
	v_mov_b32_e32 v3, 0
	s_and_saveexec_b64 s[22:23], vcc
	s_cbranch_execz .LBB6_678
; %bb.673:                              ;   in Loop: Header=BB6_124 Depth=2
	v_cmp_ne_u16_sdwa vcc, v10, s76 src0_sel:BYTE_0 src1_sel:DWORD
	v_bfrev_b32_e32 v3, 1
	s_and_saveexec_b64 s[56:57], vcc
	s_cbranch_execz .LBB6_677
; %bb.674:                              ;   in Loop: Header=BB6_124 Depth=2
	v_bfe_u32 v11, v13, 16, 7
	v_cmp_ne_u32_e32 vcc, s75, v11
	v_mov_b32_e32 v3, 0x7f800001
	s_and_saveexec_b64 s[58:59], vcc
	s_cbranch_execz .LBB6_676
; %bb.675:                              ;   in Loop: Header=BB6_124 Depth=2
	v_and_b32_e32 v3, 7, v10
	v_ffbh_u32_e32 v14, v3
	v_min_u32_e32 v17, 32, v14
	v_subrev_u32_e32 v14, 28, v17
	v_lshlrev_b64 v[14:15], v14, v[10:11]
	v_lshrrev_b32_e32 v16, 3, v11
	v_sub_u32_e32 v15, 29, v17
	v_and_b32_e32 v14, 7, v14
	v_cmp_gt_u32_e32 vcc, 8, v11
	v_cndmask_b32_e32 v11, v16, v15, vcc
	v_cndmask_b32_e32 v3, v3, v14, vcc
	v_lshlrev_b32_e32 v10, 24, v10
	v_lshlrev_b32_e32 v3, 20, v3
	v_and_b32_e32 v10, 0x80000000, v10
	v_lshl_add_u32 v11, v11, 23, v31
	v_or3_b32 v3, v10, v11, v3
.LBB6_676:                              ;   in Loop: Header=BB6_124 Depth=2
	s_or_b64 exec, exec, s[58:59]
.LBB6_677:                              ;   in Loop: Header=BB6_124 Depth=2
	s_or_b64 exec, exec, s[56:57]
.LBB6_678:                              ;   in Loop: Header=BB6_124 Depth=2
	s_or_b64 exec, exec, s[22:23]
	v_mul_f32_e32 v10, v5, v3
	v_and_b32_sdwa v3, v10, s76 dst_sel:DWORD dst_unused:UNUSED_PAD src0_sel:BYTE_3 src1_sel:DWORD
	v_and_b32_e32 v14, 0x7f800000, v10
	v_mov_b32_e32 v15, v39
	v_and_b32_e32 v38, 0x7fffff, v10
	v_or_b32_e32 v27, 0x7e, v3
	v_cmp_ne_u64_e32 vcc, s[42:43], v[14:15]
	s_and_saveexec_b64 s[22:23], vcc
	s_xor_b64 s[56:57], exec, s[22:23]
	s_cbranch_execz .LBB6_688
; %bb.679:                              ;   in Loop: Header=BB6_124 Depth=2
	v_and_b32_e32 v14, 0x7fffffff, v10
	v_mov_b32_e32 v15, v39
	v_cmp_gt_u64_e32 vcc, s[44:45], v[14:15]
	s_and_saveexec_b64 s[58:59], vcc
	s_cbranch_execz .LBB6_687
; %bb.680:                              ;   in Loop: Header=BB6_124 Depth=2
	v_cmp_ne_u32_e32 vcc, 0, v10
	v_mov_b32_e32 v27, 0
	s_and_saveexec_b64 s[60:61], vcc
	s_cbranch_execz .LBB6_686
; %bb.681:                              ;   in Loop: Header=BB6_124 Depth=2
	v_bfe_u32 v10, v10, 23, 8
	v_sub_u32_e32 v14, 0x79, v10
	v_cmp_gt_u32_e32 vcc, s77, v10
	v_cndmask_b32_e32 v14, 0, v14, vcc
	v_cmp_eq_u32_e32 vcc, 0, v10
	v_add_u32_e32 v11, 0xffffff81, v10
	v_or_b32_e32 v15, 0x800000, v38
	v_mov_b32_e32 v10, 0xffffff82
	v_cndmask_b32_e32 v14, v14, v20, vcc
	v_cndmask_b32_e32 v16, v11, v10, vcc
	;; [unrolled: 1-line block ×3, first 2 shown]
	v_add_u32_e32 v10, 20, v14
	v_lshlrev_b64 v[10:11], v10, -1
	v_add_u32_e32 v15, 19, v14
	v_lshrrev_b64 v[28:29], v14, v[38:39]
	v_not_b32_e32 v11, v11
	v_not_b32_e32 v10, v10
	v_lshlrev_b64 v[22:23], v15, 1
	v_lshrrev_b32_e32 v15, 23, v28
	v_and_b32_e32 v11, 0, v11
	v_and_b32_e32 v10, v38, v10
	v_add3_u32 v16, v14, v16, v15
	v_bfe_u32 v14, v28, 20, 1
	v_add_u32_e32 v14, -1, v14
	v_cmp_eq_u64_e32 vcc, v[10:11], v[22:23]
	v_cndmask_b32_e32 v10, 0, v14, vcc
	v_add_u32_e32 v10, v10, v28
	v_and_b32_e32 v10, 0xfffff, v10
	v_add_co_u32_e32 v10, vcc, v10, v28
	v_add_u32_e32 v15, 6, v16
	v_addc_co_u32_e32 v11, vcc, 0, v29, vcc
	v_cmp_ne_u32_e32 vcc, 0, v15
                                        ; implicit-def: $vgpr14
	s_and_saveexec_b64 s[22:23], vcc
	s_xor_b64 s[22:23], exec, s[22:23]
; %bb.682:                              ;   in Loop: Header=BB6_124 Depth=2
	v_add_u32_e32 v14, 7, v16
	v_cmp_lt_u64_e32 vcc, s[48:49], v[10:11]
	v_cndmask_b32_e32 v14, v15, v14, vcc
	v_cndmask_b32_e64 v15, 0, 1, vcc
	v_lshrrev_b64 v[10:11], v15, v[10:11]
; %bb.683:                              ;   in Loop: Header=BB6_124 Depth=2
	s_andn2_saveexec_b64 s[22:23], s[22:23]
; %bb.684:                              ;   in Loop: Header=BB6_124 Depth=2
	v_bfe_u32 v14, v10, 23, 1
; %bb.685:                              ;   in Loop: Header=BB6_124 Depth=2
	s_or_b64 exec, exec, s[22:23]
	v_lshrrev_b64 v[10:11], 20, v[10:11]
	v_cmp_gt_i32_e32 vcc, 16, v14
	v_cndmask_b32_e32 v11, 0, v11, vcc
	v_cndmask_b32_e32 v10, 7, v10, vcc
	v_cmp_eq_u64_e64 s[22:23], 0, v[10:11]
	v_min_i32_e32 v11, 15, v14
	v_lshlrev_b32_e32 v11, 3, v11
	v_cmp_eq_u32_e32 vcc, 0, v14
	v_and_b32_e32 v11, 0xf8, v11
	v_and_or_b32 v10, v10, 7, v11
	s_and_b64 s[22:23], vcc, s[22:23]
	v_cndmask_b32_e64 v10, v10, 0, s[22:23]
	v_or_b32_e32 v27, v10, v3
.LBB6_686:                              ;   in Loop: Header=BB6_124 Depth=2
	s_or_b64 exec, exec, s[60:61]
.LBB6_687:                              ;   in Loop: Header=BB6_124 Depth=2
	s_or_b64 exec, exec, s[58:59]
                                        ; implicit-def: $vgpr10
.LBB6_688:                              ;   in Loop: Header=BB6_124 Depth=2
	s_andn2_saveexec_b64 s[22:23], s[56:57]
; %bb.689:                              ;   in Loop: Header=BB6_124 Depth=2
	v_or_b32_sdwa v3, v10, s75 dst_sel:DWORD dst_unused:UNUSED_PAD src0_sel:BYTE_3 src1_sel:DWORD
	v_cmp_eq_u64_e32 vcc, 0, v[38:39]
	v_cndmask_b32_e32 v27, v3, v27, vcc
; %bb.690:                              ;   in Loop: Header=BB6_124 Depth=2
	s_or_b64 exec, exec, s[22:23]
	v_cmp_lt_u64_e32 vcc, s[46:47], v[12:13]
	v_mov_b32_e32 v3, 0
	s_and_saveexec_b64 s[22:23], vcc
	s_cbranch_execz .LBB6_696
; %bb.691:                              ;   in Loop: Header=BB6_124 Depth=2
	v_lshrrev_b32_e32 v10, 24, v13
	v_cmp_ne_u32_e32 vcc, s76, v10
	v_bfrev_b32_e32 v3, 1
	s_and_saveexec_b64 s[56:57], vcc
	s_cbranch_execz .LBB6_695
; %bb.692:                              ;   in Loop: Header=BB6_124 Depth=2
	v_bfe_u32 v11, v13, 24, 7
	v_cmp_ne_u32_e32 vcc, s75, v11
	v_mov_b32_e32 v3, 0x7f800001
	s_and_saveexec_b64 s[58:59], vcc
	s_cbranch_execz .LBB6_694
; %bb.693:                              ;   in Loop: Header=BB6_124 Depth=2
	v_and_b32_e32 v3, 7, v10
	v_ffbh_u32_e32 v12, v3
	v_min_u32_e32 v15, 32, v12
	v_subrev_u32_e32 v12, 28, v15
	v_lshlrev_b64 v[12:13], v12, v[10:11]
	v_lshrrev_b32_e32 v14, 3, v11
	v_sub_u32_e32 v13, 29, v15
	v_and_b32_e32 v12, 7, v12
	v_cmp_gt_u32_e32 vcc, 8, v11
	v_cndmask_b32_e32 v11, v14, v13, vcc
	v_cndmask_b32_e32 v3, v3, v12, vcc
	v_lshlrev_b32_e32 v10, 24, v10
	v_lshlrev_b32_e32 v3, 20, v3
	v_and_b32_e32 v10, 0x80000000, v10
	v_lshl_add_u32 v11, v11, 23, v31
	v_or3_b32 v3, v10, v11, v3
.LBB6_694:                              ;   in Loop: Header=BB6_124 Depth=2
	s_or_b64 exec, exec, s[58:59]
.LBB6_695:                              ;   in Loop: Header=BB6_124 Depth=2
	s_or_b64 exec, exec, s[56:57]
.LBB6_696:                              ;   in Loop: Header=BB6_124 Depth=2
	s_or_b64 exec, exec, s[22:23]
	v_mul_f32_e32 v5, v5, v3
	v_and_b32_sdwa v3, v5, s76 dst_sel:DWORD dst_unused:UNUSED_PAD src0_sel:BYTE_3 src1_sel:DWORD
	v_and_b32_e32 v10, 0x7f800000, v5
	v_mov_b32_e32 v11, v39
	v_and_b32_e32 v38, 0x7fffff, v5
	v_or_b32_e32 v21, 0x7e, v3
	v_cmp_ne_u64_e32 vcc, s[42:43], v[10:11]
	s_and_saveexec_b64 s[22:23], vcc
	s_xor_b64 s[56:57], exec, s[22:23]
	s_cbranch_execz .LBB6_706
; %bb.697:                              ;   in Loop: Header=BB6_124 Depth=2
	v_and_b32_e32 v10, 0x7fffffff, v5
	v_mov_b32_e32 v11, v39
	v_cmp_gt_u64_e32 vcc, s[44:45], v[10:11]
	s_and_saveexec_b64 s[58:59], vcc
	s_cbranch_execz .LBB6_705
; %bb.698:                              ;   in Loop: Header=BB6_124 Depth=2
	v_cmp_ne_u32_e32 vcc, 0, v5
	v_mov_b32_e32 v21, 0
	s_and_saveexec_b64 s[60:61], vcc
	s_cbranch_execz .LBB6_704
; %bb.699:                              ;   in Loop: Header=BB6_124 Depth=2
	v_bfe_u32 v5, v5, 23, 8
	v_sub_u32_e32 v11, 0x79, v5
	v_cmp_gt_u32_e32 vcc, s77, v5
	v_cndmask_b32_e32 v11, 0, v11, vcc
	v_cmp_eq_u32_e32 vcc, 0, v5
	v_add_u32_e32 v10, 0xffffff81, v5
	v_or_b32_e32 v12, 0x800000, v38
	v_mov_b32_e32 v5, 0xffffff82
	v_cndmask_b32_e32 v13, v11, v20, vcc
	v_cndmask_b32_e32 v5, v10, v5, vcc
	;; [unrolled: 1-line block ×3, first 2 shown]
	v_add_u32_e32 v10, 20, v13
	v_lshlrev_b64 v[10:11], v10, -1
	v_add_u32_e32 v12, 19, v13
	v_lshrrev_b64 v[16:17], v13, v[38:39]
	v_not_b32_e32 v11, v11
	v_not_b32_e32 v10, v10
	v_lshlrev_b64 v[14:15], v12, 1
	v_lshrrev_b32_e32 v12, 23, v16
	v_and_b32_e32 v11, 0, v11
	v_and_b32_e32 v10, v38, v10
	v_add3_u32 v13, v13, v5, v12
	v_bfe_u32 v5, v16, 20, 1
	v_add_u32_e32 v5, -1, v5
	v_cmp_eq_u64_e32 vcc, v[10:11], v[14:15]
	v_cndmask_b32_e32 v5, 0, v5, vcc
	v_add_u32_e32 v5, v5, v16
	v_and_b32_e32 v5, 0xfffff, v5
	v_add_co_u32_e32 v10, vcc, v5, v16
	v_add_u32_e32 v12, 6, v13
	v_addc_co_u32_e32 v11, vcc, 0, v17, vcc
	v_cmp_ne_u32_e32 vcc, 0, v12
                                        ; implicit-def: $vgpr5
	s_and_saveexec_b64 s[22:23], vcc
	s_xor_b64 s[22:23], exec, s[22:23]
; %bb.700:                              ;   in Loop: Header=BB6_124 Depth=2
	v_add_u32_e32 v5, 7, v13
	v_cmp_lt_u64_e32 vcc, s[48:49], v[10:11]
	v_cndmask_b32_e32 v5, v12, v5, vcc
	v_cndmask_b32_e64 v12, 0, 1, vcc
	v_lshrrev_b64 v[10:11], v12, v[10:11]
; %bb.701:                              ;   in Loop: Header=BB6_124 Depth=2
	s_andn2_saveexec_b64 s[22:23], s[22:23]
; %bb.702:                              ;   in Loop: Header=BB6_124 Depth=2
	v_bfe_u32 v5, v10, 23, 1
; %bb.703:                              ;   in Loop: Header=BB6_124 Depth=2
	s_or_b64 exec, exec, s[22:23]
	v_lshrrev_b64 v[10:11], 20, v[10:11]
	v_cmp_gt_i32_e32 vcc, 16, v5
	v_cndmask_b32_e32 v11, 0, v11, vcc
	v_cndmask_b32_e32 v10, 7, v10, vcc
	v_cmp_eq_u32_e32 vcc, 0, v5
	v_min_i32_e32 v5, 15, v5
	v_lshlrev_b32_e32 v5, 3, v5
	v_cmp_eq_u64_e64 s[22:23], 0, v[10:11]
	v_and_b32_e32 v5, 0xf8, v5
	v_and_or_b32 v5, v10, 7, v5
	s_and_b64 s[22:23], vcc, s[22:23]
	v_cndmask_b32_e64 v5, v5, 0, s[22:23]
	v_or_b32_e32 v21, v5, v3
.LBB6_704:                              ;   in Loop: Header=BB6_124 Depth=2
	s_or_b64 exec, exec, s[60:61]
.LBB6_705:                              ;   in Loop: Header=BB6_124 Depth=2
	s_or_b64 exec, exec, s[58:59]
                                        ; implicit-def: $vgpr5
.LBB6_706:                              ;   in Loop: Header=BB6_124 Depth=2
	s_andn2_saveexec_b64 s[22:23], s[56:57]
; %bb.707:                              ;   in Loop: Header=BB6_124 Depth=2
	v_or_b32_sdwa v3, v5, s75 dst_sel:DWORD dst_unused:UNUSED_PAD src0_sel:BYTE_3 src1_sel:DWORD
	v_cmp_eq_u64_e32 vcc, 0, v[38:39]
	v_cndmask_b32_e32 v21, v3, v21, vcc
; %bb.708:                              ;   in Loop: Header=BB6_124 Depth=2
	s_or_b64 exec, exec, s[22:23]
	global_load_dwordx4 v[14:17], v[46:47], off glc slc
	global_load_dwordx4 v[10:13], v[46:47], off offset:1024 glc slc
	v_lshlrev_b32_e32 v3, 8, v24
	v_cmp_ne_u16_sdwa vcc, v0, v39 src0_sel:BYTE_0 src1_sel:DWORD
	v_mov_b32_e32 v5, 0
	v_mov_b32_e32 v22, 0
	s_and_saveexec_b64 s[22:23], vcc
	s_cbranch_execz .LBB6_714
; %bb.709:                              ;   in Loop: Header=BB6_124 Depth=2
	v_cmp_ne_u16_sdwa vcc, v0, s76 src0_sel:BYTE_0 src1_sel:DWORD
	v_bfrev_b32_e32 v22, 1
	s_and_saveexec_b64 s[56:57], vcc
	s_cbranch_execz .LBB6_713
; %bb.710:                              ;   in Loop: Header=BB6_124 Depth=2
	v_and_b32_e32 v23, 0x7f, v0
	v_cmp_ne_u32_e32 vcc, s75, v23
	v_mov_b32_e32 v22, 0x7f800001
	s_and_saveexec_b64 s[58:59], vcc
	s_cbranch_execz .LBB6_712
; %bb.711:                              ;   in Loop: Header=BB6_124 Depth=2
	v_and_b32_e32 v24, 7, v0
	v_ffbh_u32_e32 v24, v24
	v_min_u32_e32 v24, 32, v24
	v_subrev_u32_e32 v28, 28, v24
	v_cmp_gt_u32_e32 vcc, 8, v23
	v_lshrrev_b32_e32 v25, 3, v23
	v_perm_b32 v22, v3, v0, s78
	v_cndmask_b32_e32 v23, 0, v28, vcc
	v_sub_u32_e32 v24, 29, v24
	v_lshlrev_b64 v[22:23], v23, v[22:23]
	v_cndmask_b32_e32 v24, v25, v24, vcc
	v_lshlrev_b32_e32 v22, 20, v22
	v_lshlrev_b32_e32 v0, 24, v0
	v_and_b32_e32 v22, 0x700000, v22
	v_and_b32_e32 v0, 0x80000000, v0
	v_lshl_add_u32 v23, v24, 23, v31
	v_or3_b32 v22, v0, v23, v22
.LBB6_712:                              ;   in Loop: Header=BB6_124 Depth=2
	s_or_b64 exec, exec, s[58:59]
.LBB6_713:                              ;   in Loop: Header=BB6_124 Depth=2
	s_or_b64 exec, exec, s[56:57]
.LBB6_714:                              ;   in Loop: Header=BB6_124 Depth=2
	s_or_b64 exec, exec, s[22:23]
	s_waitcnt vmcnt(1)
	v_cmp_ne_u16_sdwa vcc, v14, v39 src0_sel:BYTE_0 src1_sel:DWORD
	s_and_saveexec_b64 s[22:23], vcc
	s_cbranch_execz .LBB6_720
; %bb.715:                              ;   in Loop: Header=BB6_124 Depth=2
	v_cmp_ne_u16_sdwa vcc, v14, s76 src0_sel:BYTE_0 src1_sel:DWORD
	v_bfrev_b32_e32 v5, 1
	s_and_saveexec_b64 s[56:57], vcc
	s_cbranch_execz .LBB6_719
; %bb.716:                              ;   in Loop: Header=BB6_124 Depth=2
	v_and_b32_e32 v0, 0x7f, v14
	v_cmp_ne_u32_e32 vcc, s75, v0
	v_mov_b32_e32 v5, 0x7f800001
	s_and_saveexec_b64 s[58:59], vcc
	s_cbranch_execz .LBB6_718
; %bb.717:                              ;   in Loop: Header=BB6_124 Depth=2
	v_and_b32_e32 v5, 7, v14
	v_ffbh_u32_e32 v5, v5
	v_min_u32_e32 v5, 32, v5
	v_lshrrev_b32_e32 v23, 3, v0
	v_subrev_u32_e32 v24, 28, v5
	v_sub_u32_e32 v5, 29, v5
	v_cmp_gt_u32_e32 vcc, 8, v0
	v_cndmask_b32_e32 v0, v23, v5, vcc
	v_cndmask_b32_e32 v5, 0, v24, vcc
	v_lshlrev_b64 v[24:25], v5, v[14:15]
	v_lshlrev_b32_e32 v5, 20, v24
	v_lshlrev_b32_e32 v23, 24, v14
	v_and_b32_e32 v5, 0x700000, v5
	v_and_b32_e32 v23, 0x80000000, v23
	v_lshl_add_u32 v0, v0, 23, v31
	v_or3_b32 v5, v23, v0, v5
.LBB6_718:                              ;   in Loop: Header=BB6_124 Depth=2
	s_or_b64 exec, exec, s[58:59]
.LBB6_719:                              ;   in Loop: Header=BB6_124 Depth=2
	s_or_b64 exec, exec, s[56:57]
.LBB6_720:                              ;   in Loop: Header=BB6_124 Depth=2
	s_or_b64 exec, exec, s[22:23]
	v_add_f32_e32 v22, v22, v5
	v_and_b32_sdwa v5, v22, s76 dst_sel:DWORD dst_unused:UNUSED_PAD src0_sel:BYTE_3 src1_sel:DWORD
	v_and_b32_e32 v24, 0x7f800000, v22
	v_mov_b32_e32 v25, v39
	v_and_b32_e32 v38, 0x7fffff, v22
	v_or_b32_e32 v0, 0x7e, v5
	v_cmp_ne_u64_e32 vcc, s[42:43], v[24:25]
	s_and_saveexec_b64 s[22:23], vcc
	s_xor_b64 s[56:57], exec, s[22:23]
	s_cbranch_execz .LBB6_730
; %bb.721:                              ;   in Loop: Header=BB6_124 Depth=2
	v_and_b32_e32 v24, 0x7fffffff, v22
	v_mov_b32_e32 v25, v39
	v_cmp_gt_u64_e32 vcc, s[44:45], v[24:25]
	s_and_saveexec_b64 s[58:59], vcc
	s_cbranch_execz .LBB6_729
; %bb.722:                              ;   in Loop: Header=BB6_124 Depth=2
	v_cmp_ne_u32_e32 vcc, 0, v22
	v_mov_b32_e32 v0, 0
	s_and_saveexec_b64 s[60:61], vcc
	s_cbranch_execz .LBB6_728
; %bb.723:                              ;   in Loop: Header=BB6_124 Depth=2
	v_bfe_u32 v0, v22, 23, 8
	v_sub_u32_e32 v23, 0x79, v0
	v_cmp_gt_u32_e32 vcc, s77, v0
	v_cndmask_b32_e32 v23, 0, v23, vcc
	v_cmp_eq_u32_e32 vcc, 0, v0
	v_add_u32_e32 v22, 0xffffff81, v0
	v_mov_b32_e32 v0, 0xffffff82
	v_cndmask_b32_e32 v36, v23, v20, vcc
	v_cndmask_b32_e32 v0, v22, v0, vcc
	v_add_u32_e32 v22, 20, v36
	v_or_b32_e32 v24, 0x800000, v38
	v_lshlrev_b64 v[22:23], v22, -1
	v_cndmask_b32_e32 v38, v24, v38, vcc
	v_not_b32_e32 v22, v22
	v_and_b32_e32 v24, v38, v22
	v_add_u32_e32 v22, 19, v36
	v_lshrrev_b64 v[52:53], v36, v[38:39]
	v_not_b32_e32 v23, v23
	v_lshlrev_b64 v[28:29], v22, 1
	v_lshrrev_b32_e32 v22, 23, v52
	v_and_b32_e32 v25, 0, v23
	v_add3_u32 v23, v36, v0, v22
	v_bfe_u32 v0, v52, 20, 1
	v_add_u32_e32 v0, -1, v0
	v_cmp_eq_u64_e32 vcc, v[24:25], v[28:29]
	v_cndmask_b32_e32 v0, 0, v0, vcc
	v_add_u32_e32 v0, v0, v52
	v_and_b32_e32 v0, 0xfffff, v0
	v_add_co_u32_e32 v24, vcc, v0, v52
	v_add_u32_e32 v22, 6, v23
	v_addc_co_u32_e32 v25, vcc, 0, v53, vcc
	v_cmp_ne_u32_e32 vcc, 0, v22
                                        ; implicit-def: $vgpr0
	s_and_saveexec_b64 s[22:23], vcc
	s_xor_b64 s[22:23], exec, s[22:23]
; %bb.724:                              ;   in Loop: Header=BB6_124 Depth=2
	v_add_u32_e32 v0, 7, v23
	v_cmp_lt_u64_e32 vcc, s[48:49], v[24:25]
	v_cndmask_b32_e32 v0, v22, v0, vcc
	v_cndmask_b32_e64 v22, 0, 1, vcc
	v_lshrrev_b64 v[24:25], v22, v[24:25]
; %bb.725:                              ;   in Loop: Header=BB6_124 Depth=2
	s_andn2_saveexec_b64 s[22:23], s[22:23]
; %bb.726:                              ;   in Loop: Header=BB6_124 Depth=2
	v_bfe_u32 v0, v24, 23, 1
; %bb.727:                              ;   in Loop: Header=BB6_124 Depth=2
	s_or_b64 exec, exec, s[22:23]
	v_lshrrev_b64 v[22:23], 20, v[24:25]
	v_cmp_gt_i32_e32 vcc, 16, v0
	v_cndmask_b32_e32 v23, 0, v23, vcc
	v_cndmask_b32_e32 v22, 7, v22, vcc
	v_cmp_eq_u32_e32 vcc, 0, v0
	v_min_i32_e32 v0, 15, v0
	v_cmp_eq_u64_e64 s[22:23], 0, v[22:23]
	v_lshlrev_b32_e32 v0, 3, v0
	v_and_or_b32 v0, v22, 7, v0
	s_and_b64 s[22:23], vcc, s[22:23]
	v_cndmask_b32_e64 v0, v0, 0, s[22:23]
	v_accvgpr_read_b32 v53, a45
	v_or_b32_e32 v0, v0, v5
	v_accvgpr_read_b32 v52, a44
.LBB6_728:                              ;   in Loop: Header=BB6_124 Depth=2
	s_or_b64 exec, exec, s[60:61]
.LBB6_729:                              ;   in Loop: Header=BB6_124 Depth=2
	s_or_b64 exec, exec, s[58:59]
                                        ; implicit-def: $vgpr22
.LBB6_730:                              ;   in Loop: Header=BB6_124 Depth=2
	s_andn2_saveexec_b64 s[22:23], s[56:57]
; %bb.731:                              ;   in Loop: Header=BB6_124 Depth=2
	v_or_b32_sdwa v5, v22, s75 dst_sel:DWORD dst_unused:UNUSED_PAD src0_sel:BYTE_3 src1_sel:DWORD
	v_cmp_eq_u64_e32 vcc, 0, v[38:39]
	v_cndmask_b32_e32 v0, v5, v0, vcc
; %bb.732:                              ;   in Loop: Header=BB6_124 Depth=2
	s_or_b64 exec, exec, s[22:23]
	v_lshrrev_b16_e32 v24, 8, v3
	v_cmp_ne_u16_e32 vcc, 0, v24
	v_mov_b32_e32 v5, 0
	v_mov_b32_e32 v22, 0
	s_and_saveexec_b64 s[22:23], vcc
	s_cbranch_execz .LBB6_738
; %bb.733:                              ;   in Loop: Header=BB6_124 Depth=2
	v_cmp_ne_u16_e32 vcc, s76, v24
	v_bfrev_b32_e32 v22, 1
	s_and_saveexec_b64 s[56:57], vcc
	s_cbranch_execz .LBB6_737
; %bb.734:                              ;   in Loop: Header=BB6_124 Depth=2
	v_and_b32_e32 v23, 0x7f, v24
	v_cmp_ne_u32_e32 vcc, s75, v23
	v_mov_b32_e32 v22, 0x7f800001
	s_and_saveexec_b64 s[58:59], vcc
	s_cbranch_execz .LBB6_736
; %bb.735:                              ;   in Loop: Header=BB6_124 Depth=2
	v_and_b32_e32 v22, 7, v24
	v_ffbh_u32_e32 v25, v22
	v_min_u32_e32 v29, 32, v25
	v_subrev_u32_e32 v25, 28, v29
	v_lshlrev_b64 v[24:25], v25, v[24:25]
	v_lshrrev_b32_e32 v28, 3, v23
	v_sub_u32_e32 v25, 29, v29
	v_and_b32_e32 v24, 7, v24
	v_cmp_gt_u32_e32 vcc, 8, v23
	v_cndmask_b32_e32 v23, v28, v25, vcc
	v_cndmask_b32_e32 v22, v22, v24, vcc
	v_lshlrev_b32_e32 v3, 16, v3
	v_lshlrev_b32_e32 v22, 20, v22
	v_and_b32_e32 v3, 0x80000000, v3
	v_lshl_add_u32 v23, v23, 23, v31
	v_or3_b32 v22, v3, v23, v22
.LBB6_736:                              ;   in Loop: Header=BB6_124 Depth=2
	s_or_b64 exec, exec, s[58:59]
.LBB6_737:                              ;   in Loop: Header=BB6_124 Depth=2
	s_or_b64 exec, exec, s[56:57]
.LBB6_738:                              ;   in Loop: Header=BB6_124 Depth=2
	s_or_b64 exec, exec, s[22:23]
	v_lshrrev_b16_e32 v24, 8, v14
	v_cmp_ne_u16_e32 vcc, 0, v24
	s_and_saveexec_b64 s[22:23], vcc
	s_cbranch_execz .LBB6_744
; %bb.739:                              ;   in Loop: Header=BB6_124 Depth=2
	v_cmp_ne_u16_e32 vcc, s76, v24
	v_bfrev_b32_e32 v5, 1
	s_and_saveexec_b64 s[56:57], vcc
	s_cbranch_execz .LBB6_743
; %bb.740:                              ;   in Loop: Header=BB6_124 Depth=2
	v_and_b32_e32 v3, 0x7f, v24
	v_cmp_ne_u32_e32 vcc, s75, v3
	v_mov_b32_e32 v5, 0x7f800001
	s_and_saveexec_b64 s[58:59], vcc
	s_cbranch_execz .LBB6_742
; %bb.741:                              ;   in Loop: Header=BB6_124 Depth=2
	v_and_b32_e32 v5, 7, v24
	v_ffbh_u32_e32 v25, v5
	v_min_u32_e32 v28, 32, v25
	v_subrev_u32_e32 v25, 28, v28
	v_lshlrev_b64 v[24:25], v25, v[24:25]
	v_lshrrev_b32_e32 v23, 3, v3
	v_sub_u32_e32 v25, 29, v28
	v_and_b32_e32 v24, 7, v24
	v_cmp_gt_u32_e32 vcc, 8, v3
	v_cndmask_b32_e32 v3, v23, v25, vcc
	v_cndmask_b32_e32 v5, v5, v24, vcc
	v_lshlrev_b32_e32 v23, 16, v14
	v_lshlrev_b32_e32 v5, 20, v5
	v_and_b32_e32 v23, 0x80000000, v23
	v_lshl_add_u32 v3, v3, 23, v31
	v_or3_b32 v5, v23, v3, v5
.LBB6_742:                              ;   in Loop: Header=BB6_124 Depth=2
	s_or_b64 exec, exec, s[58:59]
.LBB6_743:                              ;   in Loop: Header=BB6_124 Depth=2
	s_or_b64 exec, exec, s[56:57]
.LBB6_744:                              ;   in Loop: Header=BB6_124 Depth=2
	s_or_b64 exec, exec, s[22:23]
	v_add_f32_e32 v22, v22, v5
	v_and_b32_sdwa v3, v22, s76 dst_sel:DWORD dst_unused:UNUSED_PAD src0_sel:BYTE_3 src1_sel:DWORD
	v_and_b32_e32 v24, 0x7f800000, v22
	v_mov_b32_e32 v25, v39
	v_and_b32_e32 v38, 0x7fffff, v22
	v_or_b32_e32 v5, 0x7e, v3
	v_cmp_ne_u64_e32 vcc, s[42:43], v[24:25]
	s_and_saveexec_b64 s[22:23], vcc
	s_xor_b64 s[56:57], exec, s[22:23]
	s_cbranch_execz .LBB6_754
; %bb.745:                              ;   in Loop: Header=BB6_124 Depth=2
	v_and_b32_e32 v24, 0x7fffffff, v22
	v_mov_b32_e32 v25, v39
	v_cmp_gt_u64_e32 vcc, s[44:45], v[24:25]
	s_and_saveexec_b64 s[58:59], vcc
	s_cbranch_execz .LBB6_753
; %bb.746:                              ;   in Loop: Header=BB6_124 Depth=2
	v_cmp_ne_u32_e32 vcc, 0, v22
	v_mov_b32_e32 v5, 0
	s_and_saveexec_b64 s[60:61], vcc
	s_cbranch_execz .LBB6_752
; %bb.747:                              ;   in Loop: Header=BB6_124 Depth=2
	v_bfe_u32 v5, v22, 23, 8
	v_sub_u32_e32 v23, 0x79, v5
	v_cmp_gt_u32_e32 vcc, s77, v5
	v_cndmask_b32_e32 v23, 0, v23, vcc
	v_cmp_eq_u32_e32 vcc, 0, v5
	v_add_u32_e32 v22, 0xffffff81, v5
	v_mov_b32_e32 v5, 0xffffff82
	v_cndmask_b32_e32 v36, v23, v20, vcc
	v_cndmask_b32_e32 v5, v22, v5, vcc
	v_add_u32_e32 v22, 20, v36
	v_or_b32_e32 v24, 0x800000, v38
	v_lshlrev_b64 v[22:23], v22, -1
	v_cndmask_b32_e32 v38, v24, v38, vcc
	v_not_b32_e32 v22, v22
	v_and_b32_e32 v24, v38, v22
	v_add_u32_e32 v22, 19, v36
	v_lshrrev_b64 v[52:53], v36, v[38:39]
	v_not_b32_e32 v23, v23
	v_lshlrev_b64 v[28:29], v22, 1
	v_lshrrev_b32_e32 v22, 23, v52
	v_and_b32_e32 v25, 0, v23
	v_add3_u32 v23, v36, v5, v22
	v_bfe_u32 v5, v52, 20, 1
	v_add_u32_e32 v5, -1, v5
	v_cmp_eq_u64_e32 vcc, v[24:25], v[28:29]
	v_cndmask_b32_e32 v5, 0, v5, vcc
	v_add_u32_e32 v5, v5, v52
	v_and_b32_e32 v5, 0xfffff, v5
	v_add_co_u32_e32 v24, vcc, v5, v52
	v_add_u32_e32 v22, 6, v23
	v_addc_co_u32_e32 v25, vcc, 0, v53, vcc
	v_cmp_ne_u32_e32 vcc, 0, v22
                                        ; implicit-def: $vgpr5
	s_and_saveexec_b64 s[22:23], vcc
	s_xor_b64 s[22:23], exec, s[22:23]
; %bb.748:                              ;   in Loop: Header=BB6_124 Depth=2
	v_add_u32_e32 v5, 7, v23
	v_cmp_lt_u64_e32 vcc, s[48:49], v[24:25]
	v_cndmask_b32_e32 v5, v22, v5, vcc
	v_cndmask_b32_e64 v22, 0, 1, vcc
	v_lshrrev_b64 v[24:25], v22, v[24:25]
; %bb.749:                              ;   in Loop: Header=BB6_124 Depth=2
	s_andn2_saveexec_b64 s[22:23], s[22:23]
; %bb.750:                              ;   in Loop: Header=BB6_124 Depth=2
	v_bfe_u32 v5, v24, 23, 1
; %bb.751:                              ;   in Loop: Header=BB6_124 Depth=2
	s_or_b64 exec, exec, s[22:23]
	v_lshrrev_b64 v[22:23], 20, v[24:25]
	v_cmp_gt_i32_e32 vcc, 16, v5
	v_cndmask_b32_e32 v23, 0, v23, vcc
	v_cndmask_b32_e32 v22, 7, v22, vcc
	v_cmp_eq_u32_e32 vcc, 0, v5
	v_min_i32_e32 v5, 15, v5
	v_cmp_eq_u64_e64 s[22:23], 0, v[22:23]
	v_lshlrev_b32_e32 v5, 3, v5
	v_and_or_b32 v5, v22, 7, v5
	s_and_b64 s[22:23], vcc, s[22:23]
	v_cndmask_b32_e64 v5, v5, 0, s[22:23]
	v_accvgpr_read_b32 v53, a45
	v_or_b32_e32 v5, v5, v3
	v_accvgpr_read_b32 v52, a44
.LBB6_752:                              ;   in Loop: Header=BB6_124 Depth=2
	s_or_b64 exec, exec, s[60:61]
.LBB6_753:                              ;   in Loop: Header=BB6_124 Depth=2
	s_or_b64 exec, exec, s[58:59]
                                        ; implicit-def: $vgpr22
.LBB6_754:                              ;   in Loop: Header=BB6_124 Depth=2
	s_andn2_saveexec_b64 s[22:23], s[56:57]
; %bb.755:                              ;   in Loop: Header=BB6_124 Depth=2
	v_or_b32_sdwa v3, v22, s75 dst_sel:DWORD dst_unused:UNUSED_PAD src0_sel:BYTE_3 src1_sel:DWORD
	v_cmp_eq_u64_e32 vcc, 0, v[38:39]
	v_cndmask_b32_e32 v5, v3, v5, vcc
; %bb.756:                              ;   in Loop: Header=BB6_124 Depth=2
	s_or_b64 exec, exec, s[22:23]
	v_cmp_ne_u16_sdwa vcc, v2, v39 src0_sel:BYTE_0 src1_sel:DWORD
	v_mov_b32_e32 v3, 0
	v_mov_b32_e32 v22, 0
	s_and_saveexec_b64 s[22:23], vcc
	s_cbranch_execz .LBB6_762
; %bb.757:                              ;   in Loop: Header=BB6_124 Depth=2
	v_cmp_ne_u16_sdwa vcc, v2, s76 src0_sel:BYTE_0 src1_sel:DWORD
	v_bfrev_b32_e32 v22, 1
	s_and_saveexec_b64 s[56:57], vcc
	s_cbranch_execz .LBB6_761
; %bb.758:                              ;   in Loop: Header=BB6_124 Depth=2
	v_and_b32_e32 v23, 0x7f, v2
	v_cmp_ne_u32_e32 vcc, s75, v23
	v_mov_b32_e32 v22, 0x7f800001
	s_and_saveexec_b64 s[58:59], vcc
	s_cbranch_execz .LBB6_760
; %bb.759:                              ;   in Loop: Header=BB6_124 Depth=2
	v_and_b32_e32 v22, 7, v2
	v_ffbh_u32_e32 v24, v22
	v_min_u32_e32 v29, 32, v24
	v_subrev_u32_e32 v24, 28, v29
	v_lshlrev_b64 v[24:25], v24, v[2:3]
	v_lshrrev_b32_e32 v28, 3, v23
	v_sub_u32_e32 v25, 29, v29
	v_and_b32_e32 v24, 7, v24
	v_cmp_gt_u32_e32 vcc, 8, v23
	v_cndmask_b32_e32 v23, v28, v25, vcc
	v_cndmask_b32_e32 v22, v22, v24, vcc
	v_lshlrev_b32_e32 v2, 24, v2
	v_lshlrev_b32_e32 v22, 20, v22
	v_and_b32_e32 v2, 0x80000000, v2
	v_lshl_add_u32 v23, v23, 23, v31
	v_or3_b32 v22, v2, v23, v22
.LBB6_760:                              ;   in Loop: Header=BB6_124 Depth=2
	s_or_b64 exec, exec, s[58:59]
.LBB6_761:                              ;   in Loop: Header=BB6_124 Depth=2
	s_or_b64 exec, exec, s[56:57]
.LBB6_762:                              ;   in Loop: Header=BB6_124 Depth=2
	s_or_b64 exec, exec, s[22:23]
	v_lshrrev_b32_e32 v2, 16, v14
	v_cmp_ne_u16_sdwa vcc, v2, v39 src0_sel:BYTE_0 src1_sel:DWORD
	s_and_saveexec_b64 s[22:23], vcc
	s_cbranch_execz .LBB6_768
; %bb.763:                              ;   in Loop: Header=BB6_124 Depth=2
	v_cmp_ne_u16_sdwa vcc, v2, s76 src0_sel:BYTE_0 src1_sel:DWORD
	v_bfrev_b32_e32 v3, 1
	s_and_saveexec_b64 s[56:57], vcc
	s_cbranch_execz .LBB6_767
; %bb.764:                              ;   in Loop: Header=BB6_124 Depth=2
	v_bfe_u32 v23, v14, 16, 7
	v_cmp_ne_u32_e32 vcc, s75, v23
	v_mov_b32_e32 v3, 0x7f800001
	s_and_saveexec_b64 s[58:59], vcc
	s_cbranch_execz .LBB6_766
; %bb.765:                              ;   in Loop: Header=BB6_124 Depth=2
	v_and_b32_e32 v24, 7, v2
	v_ffbh_u32_e32 v3, v24
	v_min_u32_e32 v28, 32, v3
	v_subrev_u32_e32 v3, 28, v28
	v_lshlrev_b64 v[2:3], v3, v[2:3]
	v_lshrrev_b32_e32 v25, 3, v23
	v_sub_u32_e32 v3, 29, v28
	v_and_b32_e32 v2, 7, v2
	v_cmp_gt_u32_e32 vcc, 8, v23
	v_cndmask_b32_e32 v3, v25, v3, vcc
	v_cndmask_b32_e32 v2, v24, v2, vcc
	v_lshlrev_b32_e32 v23, 8, v14
	v_lshlrev_b32_e32 v2, 20, v2
	v_and_b32_e32 v23, 0x80000000, v23
	v_lshl_add_u32 v3, v3, 23, v31
	v_or3_b32 v3, v23, v3, v2
.LBB6_766:                              ;   in Loop: Header=BB6_124 Depth=2
	s_or_b64 exec, exec, s[58:59]
.LBB6_767:                              ;   in Loop: Header=BB6_124 Depth=2
	s_or_b64 exec, exec, s[56:57]
.LBB6_768:                              ;   in Loop: Header=BB6_124 Depth=2
	s_or_b64 exec, exec, s[22:23]
	v_add_f32_e32 v2, v22, v3
	v_and_b32_sdwa v22, v2, s76 dst_sel:DWORD dst_unused:UNUSED_PAD src0_sel:BYTE_3 src1_sel:DWORD
	v_and_b32_e32 v28, 0x7f800000, v2
	v_mov_b32_e32 v29, v39
	v_and_b32_e32 v38, 0x7fffff, v2
	v_or_b32_e32 v25, 0x7e, v22
	v_cmp_ne_u64_e32 vcc, s[42:43], v[28:29]
	s_and_saveexec_b64 s[22:23], vcc
	s_xor_b64 s[56:57], exec, s[22:23]
	s_cbranch_execz .LBB6_778
; %bb.769:                              ;   in Loop: Header=BB6_124 Depth=2
	v_and_b32_e32 v28, 0x7fffffff, v2
	v_mov_b32_e32 v29, v39
	v_cmp_gt_u64_e32 vcc, s[44:45], v[28:29]
	s_and_saveexec_b64 s[58:59], vcc
	s_cbranch_execz .LBB6_777
; %bb.770:                              ;   in Loop: Header=BB6_124 Depth=2
	v_cmp_ne_u32_e32 vcc, 0, v2
	v_mov_b32_e32 v25, 0
	s_and_saveexec_b64 s[60:61], vcc
	s_cbranch_execz .LBB6_776
; %bb.771:                              ;   in Loop: Header=BB6_124 Depth=2
	v_bfe_u32 v2, v2, 23, 8
	v_sub_u32_e32 v23, 0x79, v2
	v_cmp_gt_u32_e32 vcc, s77, v2
	v_cndmask_b32_e32 v23, 0, v23, vcc
	v_cmp_eq_u32_e32 vcc, 0, v2
	v_add_u32_e32 v3, 0xffffff81, v2
	v_or_b32_e32 v24, 0x800000, v38
	v_mov_b32_e32 v2, 0xffffff82
	v_cndmask_b32_e32 v23, v23, v20, vcc
	v_cndmask_b32_e32 v25, v3, v2, vcc
	v_cndmask_b32_e32 v38, v24, v38, vcc
	v_add_u32_e32 v2, 20, v23
	v_lshlrev_b64 v[2:3], v2, -1
	v_add_u32_e32 v24, 19, v23
	v_lshrrev_b64 v[52:53], v23, v[38:39]
	v_not_b32_e32 v3, v3
	v_not_b32_e32 v2, v2
	v_lshlrev_b64 v[28:29], v24, 1
	v_lshrrev_b32_e32 v24, 23, v52
	v_and_b32_e32 v3, 0, v3
	v_and_b32_e32 v2, v38, v2
	v_add3_u32 v25, v23, v25, v24
	v_bfe_u32 v23, v52, 20, 1
	v_add_u32_e32 v23, -1, v23
	v_cmp_eq_u64_e32 vcc, v[2:3], v[28:29]
	v_cndmask_b32_e32 v2, 0, v23, vcc
	v_add_u32_e32 v2, v2, v52
	v_and_b32_e32 v2, 0xfffff, v2
	v_add_co_u32_e32 v2, vcc, v2, v52
	v_add_u32_e32 v24, 6, v25
	v_addc_co_u32_e32 v3, vcc, 0, v53, vcc
	v_cmp_ne_u32_e32 vcc, 0, v24
                                        ; implicit-def: $vgpr23
	s_and_saveexec_b64 s[22:23], vcc
	s_xor_b64 s[22:23], exec, s[22:23]
; %bb.772:                              ;   in Loop: Header=BB6_124 Depth=2
	v_add_u32_e32 v23, 7, v25
	v_cmp_lt_u64_e32 vcc, s[48:49], v[2:3]
	v_cndmask_b32_e32 v23, v24, v23, vcc
	v_cndmask_b32_e64 v24, 0, 1, vcc
	v_lshrrev_b64 v[2:3], v24, v[2:3]
; %bb.773:                              ;   in Loop: Header=BB6_124 Depth=2
	s_andn2_saveexec_b64 s[22:23], s[22:23]
; %bb.774:                              ;   in Loop: Header=BB6_124 Depth=2
	v_bfe_u32 v23, v2, 23, 1
; %bb.775:                              ;   in Loop: Header=BB6_124 Depth=2
	s_or_b64 exec, exec, s[22:23]
	v_lshrrev_b64 v[2:3], 20, v[2:3]
	v_cmp_gt_i32_e32 vcc, 16, v23
	v_cndmask_b32_e32 v3, 0, v3, vcc
	v_cndmask_b32_e32 v2, 7, v2, vcc
	v_cmp_eq_u64_e64 s[22:23], 0, v[2:3]
	v_min_i32_e32 v3, 15, v23
	v_cmp_eq_u32_e32 vcc, 0, v23
	v_lshlrev_b32_e32 v3, 3, v3
	v_and_or_b32 v2, v2, 7, v3
	s_and_b64 s[22:23], vcc, s[22:23]
	v_cndmask_b32_e64 v2, v2, 0, s[22:23]
	v_accvgpr_read_b32 v53, a45
	v_or_b32_e32 v25, v2, v22
	v_accvgpr_read_b32 v52, a44
.LBB6_776:                              ;   in Loop: Header=BB6_124 Depth=2
	s_or_b64 exec, exec, s[60:61]
.LBB6_777:                              ;   in Loop: Header=BB6_124 Depth=2
	s_or_b64 exec, exec, s[58:59]
                                        ; implicit-def: $vgpr2
.LBB6_778:                              ;   in Loop: Header=BB6_124 Depth=2
	s_andn2_saveexec_b64 s[22:23], s[56:57]
; %bb.779:                              ;   in Loop: Header=BB6_124 Depth=2
	v_or_b32_sdwa v2, v2, s75 dst_sel:DWORD dst_unused:UNUSED_PAD src0_sel:BYTE_3 src1_sel:DWORD
	v_cmp_eq_u64_e32 vcc, 0, v[38:39]
	v_cndmask_b32_e32 v25, v2, v25, vcc
; %bb.780:                              ;   in Loop: Header=BB6_124 Depth=2
	s_or_b64 exec, exec, s[22:23]
	v_lshlrev_b32_e32 v2, 8, v35
	v_and_b32_e32 v2, 0xff00, v2
	v_cmp_ne_u32_e32 vcc, 0, v2
	v_mov_b32_e32 v3, 0
	v_mov_b32_e32 v22, 0
	s_and_saveexec_b64 s[22:23], vcc
	s_cbranch_execz .LBB6_786
; %bb.781:                              ;   in Loop: Header=BB6_124 Depth=2
	v_cmp_ne_u32_e32 vcc, s79, v2
	v_bfrev_b32_e32 v22, 1
	s_and_saveexec_b64 s[56:57], vcc
	s_cbranch_execz .LBB6_785
; %bb.782:                              ;   in Loop: Header=BB6_124 Depth=2
	v_bfe_u32 v23, v2, 8, 7
	v_cmp_ne_u32_e32 vcc, s75, v23
	v_mov_b32_e32 v22, 0x7f800001
	s_and_saveexec_b64 s[58:59], vcc
	s_cbranch_execz .LBB6_784
; %bb.783:                              ;   in Loop: Header=BB6_124 Depth=2
	v_lshrrev_b32_e32 v22, 8, v2
	v_and_b32_e32 v24, 7, v22
	v_ffbh_u32_e32 v28, v24
	v_min_u32_e32 v36, 32, v28
	v_subrev_u32_e32 v28, 28, v36
	v_lshlrev_b64 v[28:29], v28, v[22:23]
	v_lshrrev_b32_e32 v35, 3, v23
	v_sub_u32_e32 v22, 29, v36
	v_and_b32_e32 v28, 7, v28
	v_cmp_gt_u32_e32 vcc, 8, v23
	v_cndmask_b32_e32 v22, v35, v22, vcc
	v_cndmask_b32_e32 v23, v24, v28, vcc
	v_lshlrev_b32_e32 v2, 16, v2
	v_lshlrev_b32_e32 v23, 20, v23
	v_and_b32_e32 v2, 0x80000000, v2
	v_lshl_add_u32 v22, v22, 23, v31
	v_or3_b32 v22, v2, v22, v23
.LBB6_784:                              ;   in Loop: Header=BB6_124 Depth=2
	s_or_b64 exec, exec, s[58:59]
.LBB6_785:                              ;   in Loop: Header=BB6_124 Depth=2
	s_or_b64 exec, exec, s[56:57]
.LBB6_786:                              ;   in Loop: Header=BB6_124 Depth=2
	s_or_b64 exec, exec, s[22:23]
	v_cmp_lt_u32_e32 vcc, s47, v14
	s_and_saveexec_b64 s[22:23], vcc
	s_cbranch_execz .LBB6_792
; %bb.787:                              ;   in Loop: Header=BB6_124 Depth=2
	v_lshrrev_b32_e32 v2, 24, v14
	v_cmp_ne_u32_e32 vcc, s76, v2
	v_bfrev_b32_e32 v3, 1
	s_and_saveexec_b64 s[56:57], vcc
	s_cbranch_execz .LBB6_791
; %bb.788:                              ;   in Loop: Header=BB6_124 Depth=2
	v_bfe_u32 v23, v14, 24, 7
	v_cmp_ne_u32_e32 vcc, s75, v23
	v_mov_b32_e32 v3, 0x7f800001
	s_and_saveexec_b64 s[58:59], vcc
	s_cbranch_execz .LBB6_790
; %bb.789:                              ;   in Loop: Header=BB6_124 Depth=2
	v_and_b32_e32 v3, 7, v2
	v_ffbh_u32_e32 v28, v3
	v_min_u32_e32 v35, 32, v28
	v_subrev_u32_e32 v28, 28, v35
	v_lshlrev_b64 v[28:29], v28, v[2:3]
	v_lshrrev_b32_e32 v24, 3, v23
	v_sub_u32_e32 v29, 29, v35
	v_and_b32_e32 v28, 7, v28
	v_cmp_gt_u32_e32 vcc, 8, v23
	v_cndmask_b32_e32 v23, v24, v29, vcc
	v_cndmask_b32_e32 v3, v3, v28, vcc
	v_lshlrev_b32_e32 v2, 24, v2
	v_lshlrev_b32_e32 v3, 20, v3
	v_and_b32_e32 v2, 0x80000000, v2
	v_lshl_add_u32 v23, v23, 23, v31
	v_or3_b32 v3, v2, v23, v3
.LBB6_790:                              ;   in Loop: Header=BB6_124 Depth=2
	s_or_b64 exec, exec, s[58:59]
.LBB6_791:                              ;   in Loop: Header=BB6_124 Depth=2
	s_or_b64 exec, exec, s[56:57]
.LBB6_792:                              ;   in Loop: Header=BB6_124 Depth=2
	s_or_b64 exec, exec, s[22:23]
	v_add_f32_e32 v2, v22, v3
	v_and_b32_sdwa v22, v2, s76 dst_sel:DWORD dst_unused:UNUSED_PAD src0_sel:BYTE_3 src1_sel:DWORD
	v_and_b32_e32 v28, 0x7f800000, v2
	v_mov_b32_e32 v29, v39
	v_and_b32_e32 v38, 0x7fffff, v2
	v_or_b32_e32 v35, 0x7e, v22
	v_cmp_ne_u64_e32 vcc, s[42:43], v[28:29]
	s_and_saveexec_b64 s[22:23], vcc
	s_xor_b64 s[56:57], exec, s[22:23]
	s_cbranch_execz .LBB6_802
; %bb.793:                              ;   in Loop: Header=BB6_124 Depth=2
	v_and_b32_e32 v28, 0x7fffffff, v2
	v_mov_b32_e32 v29, v39
	v_cmp_gt_u64_e32 vcc, s[44:45], v[28:29]
	s_and_saveexec_b64 s[58:59], vcc
	s_cbranch_execz .LBB6_801
; %bb.794:                              ;   in Loop: Header=BB6_124 Depth=2
	v_cmp_ne_u32_e32 vcc, 0, v2
	v_mov_b32_e32 v35, 0
	s_and_saveexec_b64 s[60:61], vcc
	s_cbranch_execz .LBB6_800
; %bb.795:                              ;   in Loop: Header=BB6_124 Depth=2
	v_bfe_u32 v2, v2, 23, 8
	v_sub_u32_e32 v23, 0x79, v2
	v_cmp_gt_u32_e32 vcc, s77, v2
	v_cndmask_b32_e32 v23, 0, v23, vcc
	v_cmp_eq_u32_e32 vcc, 0, v2
	v_add_u32_e32 v3, 0xffffff81, v2
	v_or_b32_e32 v24, 0x800000, v38
	v_mov_b32_e32 v2, 0xffffff82
	v_cndmask_b32_e32 v23, v23, v20, vcc
	v_cndmask_b32_e32 v28, v3, v2, vcc
	;; [unrolled: 1-line block ×3, first 2 shown]
	v_add_u32_e32 v2, 20, v23
	v_lshlrev_b64 v[2:3], v2, -1
	v_add_u32_e32 v24, 19, v23
	v_lshrrev_b64 v[36:37], v23, v[38:39]
	v_not_b32_e32 v3, v3
	v_not_b32_e32 v2, v2
	v_lshlrev_b64 v[52:53], v24, 1
	v_lshrrev_b32_e32 v24, 23, v36
	v_and_b32_e32 v3, 0, v3
	v_and_b32_e32 v2, v38, v2
	v_add3_u32 v28, v23, v28, v24
	v_bfe_u32 v23, v36, 20, 1
	v_add_u32_e32 v23, -1, v23
	v_cmp_eq_u64_e32 vcc, v[2:3], v[52:53]
	v_cndmask_b32_e32 v2, 0, v23, vcc
	v_add_u32_e32 v2, v2, v36
	v_and_b32_e32 v2, 0xfffff, v2
	v_add_co_u32_e32 v2, vcc, v2, v36
	v_add_u32_e32 v24, 6, v28
	v_addc_co_u32_e32 v3, vcc, 0, v37, vcc
	v_cmp_ne_u32_e32 vcc, 0, v24
                                        ; implicit-def: $vgpr23
	s_and_saveexec_b64 s[22:23], vcc
	s_xor_b64 s[22:23], exec, s[22:23]
; %bb.796:                              ;   in Loop: Header=BB6_124 Depth=2
	v_add_u32_e32 v23, 7, v28
	v_cmp_lt_u64_e32 vcc, s[48:49], v[2:3]
	v_cndmask_b32_e32 v23, v24, v23, vcc
	v_cndmask_b32_e64 v24, 0, 1, vcc
	v_lshrrev_b64 v[2:3], v24, v[2:3]
; %bb.797:                              ;   in Loop: Header=BB6_124 Depth=2
	s_andn2_saveexec_b64 s[22:23], s[22:23]
; %bb.798:                              ;   in Loop: Header=BB6_124 Depth=2
	v_bfe_u32 v23, v2, 23, 1
; %bb.799:                              ;   in Loop: Header=BB6_124 Depth=2
	s_or_b64 exec, exec, s[22:23]
	v_lshrrev_b64 v[2:3], 20, v[2:3]
	v_cmp_gt_i32_e32 vcc, 16, v23
	v_cndmask_b32_e32 v3, 0, v3, vcc
	v_cndmask_b32_e32 v2, 7, v2, vcc
	v_cmp_eq_u64_e64 s[22:23], 0, v[2:3]
	v_min_i32_e32 v3, 15, v23
	v_cmp_eq_u32_e32 vcc, 0, v23
	v_lshlrev_b32_e32 v3, 3, v3
	v_and_or_b32 v2, v2, 7, v3
	s_and_b64 s[22:23], vcc, s[22:23]
	v_cndmask_b32_e64 v2, v2, 0, s[22:23]
	v_accvgpr_read_b32 v53, a45
	v_or_b32_e32 v35, v2, v22
	v_accvgpr_read_b32 v52, a44
.LBB6_800:                              ;   in Loop: Header=BB6_124 Depth=2
	s_or_b64 exec, exec, s[60:61]
.LBB6_801:                              ;   in Loop: Header=BB6_124 Depth=2
	s_or_b64 exec, exec, s[58:59]
                                        ; implicit-def: $vgpr2
.LBB6_802:                              ;   in Loop: Header=BB6_124 Depth=2
	s_andn2_saveexec_b64 s[22:23], s[56:57]
; %bb.803:                              ;   in Loop: Header=BB6_124 Depth=2
	v_or_b32_sdwa v2, v2, s75 dst_sel:DWORD dst_unused:UNUSED_PAD src0_sel:BYTE_3 src1_sel:DWORD
	v_cmp_eq_u64_e32 vcc, 0, v[38:39]
	v_cndmask_b32_e32 v35, v2, v35, vcc
; %bb.804:                              ;   in Loop: Header=BB6_124 Depth=2
	s_or_b64 exec, exec, s[22:23]
	v_lshlrev_b32_e32 v22, 8, v61
	v_lshlrev_b32_e32 v2, 24, v49
	v_perm_b32 v3, v42, v6, s80
	v_or3_b32 v38, v3, v2, v22
	v_cmp_ne_u16_sdwa vcc, v6, v39 src0_sel:BYTE_0 src1_sel:DWORD
	v_mov_b32_e32 v3, 0
	v_mov_b32_e32 v2, 0
	s_and_saveexec_b64 s[22:23], vcc
	s_cbranch_execz .LBB6_810
; %bb.805:                              ;   in Loop: Header=BB6_124 Depth=2
	v_cmp_ne_u16_sdwa vcc, v6, s76 src0_sel:BYTE_0 src1_sel:DWORD
	v_bfrev_b32_e32 v2, 1
	s_and_saveexec_b64 s[56:57], vcc
	s_cbranch_execz .LBB6_809
; %bb.806:                              ;   in Loop: Header=BB6_124 Depth=2
	v_and_b32_e32 v23, 0x7f, v6
	v_cmp_ne_u32_e32 vcc, s75, v23
	v_mov_b32_e32 v2, 0x7f800001
	s_and_saveexec_b64 s[58:59], vcc
	s_cbranch_execz .LBB6_808
; %bb.807:                              ;   in Loop: Header=BB6_124 Depth=2
	v_and_b32_e32 v2, 7, v6
	v_ffbh_u32_e32 v2, v2
	v_min_u32_e32 v2, 32, v2
	v_lshrrev_b32_e32 v6, 3, v23
	v_subrev_u32_e32 v24, 28, v2
	v_sub_u32_e32 v2, 29, v2
	v_cmp_gt_u32_e32 vcc, 8, v23
	v_cndmask_b32_e32 v2, v6, v2, vcc
	v_cndmask_b32_e32 v6, 0, v24, vcc
	v_lshlrev_b64 v[28:29], v6, v[38:39]
	v_lshlrev_b32_e32 v6, 20, v28
	v_lshlrev_b32_e32 v23, 24, v38
	v_and_b32_e32 v6, 0x700000, v6
	v_and_b32_e32 v23, 0x80000000, v23
	v_lshl_add_u32 v2, v2, 23, v31
	v_or3_b32 v2, v23, v2, v6
.LBB6_808:                              ;   in Loop: Header=BB6_124 Depth=2
	s_or_b64 exec, exec, s[58:59]
.LBB6_809:                              ;   in Loop: Header=BB6_124 Depth=2
	s_or_b64 exec, exec, s[56:57]
.LBB6_810:                              ;   in Loop: Header=BB6_124 Depth=2
	s_or_b64 exec, exec, s[22:23]
	v_cmp_ne_u16_sdwa vcc, v15, v39 src0_sel:BYTE_0 src1_sel:DWORD
	s_and_saveexec_b64 s[22:23], vcc
	s_cbranch_execz .LBB6_816
; %bb.811:                              ;   in Loop: Header=BB6_124 Depth=2
	v_cmp_ne_u16_sdwa vcc, v15, s76 src0_sel:BYTE_0 src1_sel:DWORD
	v_bfrev_b32_e32 v3, 1
	s_and_saveexec_b64 s[56:57], vcc
	s_cbranch_execz .LBB6_815
; %bb.812:                              ;   in Loop: Header=BB6_124 Depth=2
	v_and_b32_e32 v6, 0x7f, v15
	v_cmp_ne_u32_e32 vcc, s75, v6
	v_mov_b32_e32 v3, 0x7f800001
	s_and_saveexec_b64 s[58:59], vcc
	s_cbranch_execz .LBB6_814
; %bb.813:                              ;   in Loop: Header=BB6_124 Depth=2
	v_and_b32_e32 v3, 7, v15
	v_ffbh_u32_e32 v3, v3
	v_min_u32_e32 v3, 32, v3
	v_subrev_u32_e32 v24, 28, v3
	v_cmp_gt_u32_e32 vcc, 8, v6
	v_mov_b32_e32 v28, v15
	v_mov_b32_e32 v29, v39
	v_lshrrev_b32_e32 v23, 3, v6
	v_cndmask_b32_e32 v6, 0, v24, vcc
	v_sub_u32_e32 v3, 29, v3
	v_lshlrev_b64 v[36:37], v6, v[28:29]
	v_cndmask_b32_e32 v3, v23, v3, vcc
	v_lshlrev_b32_e32 v6, 20, v36
	v_lshlrev_b32_e32 v23, 24, v28
	v_and_b32_e32 v6, 0x700000, v6
	v_and_b32_e32 v23, 0x80000000, v23
	v_lshl_add_u32 v3, v3, 23, v31
	v_or3_b32 v3, v23, v3, v6
.LBB6_814:                              ;   in Loop: Header=BB6_124 Depth=2
	s_or_b64 exec, exec, s[58:59]
.LBB6_815:                              ;   in Loop: Header=BB6_124 Depth=2
	s_or_b64 exec, exec, s[56:57]
.LBB6_816:                              ;   in Loop: Header=BB6_124 Depth=2
	s_or_b64 exec, exec, s[22:23]
	v_add_f32_e32 v24, v2, v3
	v_and_b32_sdwa v23, v24, s76 dst_sel:DWORD dst_unused:UNUSED_PAD src0_sel:BYTE_3 src1_sel:DWORD
	v_and_b32_e32 v28, 0x7f800000, v24
	v_mov_b32_e32 v29, v39
	v_and_b32_e32 v2, 0x7fffff, v24
	v_mov_b32_e32 v3, v39
	v_or_b32_e32 v6, 0x7e, v23
	v_cmp_ne_u64_e32 vcc, s[42:43], v[28:29]
	s_and_saveexec_b64 s[22:23], vcc
	s_xor_b64 s[56:57], exec, s[22:23]
	s_cbranch_execz .LBB6_826
; %bb.817:                              ;   in Loop: Header=BB6_124 Depth=2
	v_and_b32_e32 v28, 0x7fffffff, v24
	v_mov_b32_e32 v29, v39
	v_cmp_gt_u64_e32 vcc, s[44:45], v[28:29]
	s_and_saveexec_b64 s[58:59], vcc
	s_cbranch_execz .LBB6_825
; %bb.818:                              ;   in Loop: Header=BB6_124 Depth=2
	v_cmp_ne_u32_e32 vcc, 0, v24
	v_mov_b32_e32 v6, 0
	s_and_saveexec_b64 s[60:61], vcc
	s_cbranch_execz .LBB6_824
; %bb.819:                              ;   in Loop: Header=BB6_124 Depth=2
	v_bfe_u32 v6, v24, 23, 8
	v_sub_u32_e32 v28, 0x79, v6
	v_cmp_gt_u32_e32 vcc, s77, v6
	v_add_u32_e32 v24, 0xffffff81, v6
	v_cndmask_b32_e32 v28, 0, v28, vcc
	v_cmp_eq_u32_e32 vcc, 0, v6
	v_mov_b32_e32 v6, 0xffffff82
	v_cndmask_b32_e32 v6, v24, v6, vcc
	v_cndmask_b32_e32 v24, v28, v20, vcc
	v_or_b32_e32 v29, 0x800000, v2
	v_add_u32_e32 v28, 20, v24
	v_cndmask_b32_e32 v2, v29, v2, vcc
	v_lshlrev_b64 v[28:29], v28, -1
	v_not_b32_e32 v28, v28
	v_and_b32_e32 v36, v2, v28
	v_add_u32_e32 v28, 19, v24
	v_lshrrev_b64 v[2:3], v24, v[2:3]
	v_not_b32_e32 v29, v29
	v_lshlrev_b64 v[52:53], v28, 1
	v_lshrrev_b32_e32 v28, 23, v2
	v_and_b32_e32 v37, 0, v29
	v_add3_u32 v28, v24, v6, v28
	v_bfe_u32 v6, v2, 20, 1
	v_add_u32_e32 v6, -1, v6
	v_cmp_eq_u64_e32 vcc, v[36:37], v[52:53]
	v_cndmask_b32_e32 v6, 0, v6, vcc
	v_add_u32_e32 v6, v6, v2
	v_and_b32_e32 v6, 0xfffff, v6
	v_add_co_u32_e32 v2, vcc, v6, v2
	v_add_u32_e32 v24, 6, v28
	v_addc_co_u32_e32 v3, vcc, 0, v3, vcc
	v_cmp_ne_u32_e32 vcc, 0, v24
                                        ; implicit-def: $vgpr6
	s_and_saveexec_b64 s[22:23], vcc
	s_xor_b64 s[22:23], exec, s[22:23]
; %bb.820:                              ;   in Loop: Header=BB6_124 Depth=2
	v_add_u32_e32 v6, 7, v28
	v_cmp_lt_u64_e32 vcc, s[48:49], v[2:3]
	v_cndmask_b32_e32 v6, v24, v6, vcc
	v_cndmask_b32_e64 v24, 0, 1, vcc
	v_lshrrev_b64 v[2:3], v24, v[2:3]
; %bb.821:                              ;   in Loop: Header=BB6_124 Depth=2
	s_andn2_saveexec_b64 s[22:23], s[22:23]
; %bb.822:                              ;   in Loop: Header=BB6_124 Depth=2
	v_bfe_u32 v6, v2, 23, 1
; %bb.823:                              ;   in Loop: Header=BB6_124 Depth=2
	s_or_b64 exec, exec, s[22:23]
	v_lshrrev_b64 v[2:3], 20, v[2:3]
	v_cmp_gt_i32_e32 vcc, 16, v6
	v_cndmask_b32_e32 v3, 0, v3, vcc
	v_cndmask_b32_e32 v2, 7, v2, vcc
	v_cmp_eq_u64_e64 s[22:23], 0, v[2:3]
	v_min_i32_e32 v3, 15, v6
	v_cmp_eq_u32_e32 vcc, 0, v6
	v_lshlrev_b32_e32 v3, 3, v3
	v_and_or_b32 v2, v2, 7, v3
	s_and_b64 s[22:23], vcc, s[22:23]
	v_cndmask_b32_e64 v2, v2, 0, s[22:23]
	v_accvgpr_read_b32 v53, a45
	v_or_b32_e32 v6, v2, v23
	v_accvgpr_read_b32 v52, a44
.LBB6_824:                              ;   in Loop: Header=BB6_124 Depth=2
	s_or_b64 exec, exec, s[60:61]
.LBB6_825:                              ;   in Loop: Header=BB6_124 Depth=2
	s_or_b64 exec, exec, s[58:59]
                                        ; implicit-def: $vgpr24
                                        ; implicit-def: $vgpr2_vgpr3
.LBB6_826:                              ;   in Loop: Header=BB6_124 Depth=2
	s_andn2_saveexec_b64 s[22:23], s[56:57]
; %bb.827:                              ;   in Loop: Header=BB6_124 Depth=2
	v_or_b32_sdwa v23, v24, s75 dst_sel:DWORD dst_unused:UNUSED_PAD src0_sel:BYTE_3 src1_sel:DWORD
	v_cmp_eq_u64_e32 vcc, 0, v[2:3]
	v_cndmask_b32_e32 v6, v23, v6, vcc
; %bb.828:                              ;   in Loop: Header=BB6_124 Depth=2
	s_or_b64 exec, exec, s[22:23]
	v_lshrrev_b16_e32 v2, 8, v22
	v_cmp_ne_u16_e32 vcc, 0, v2
	v_mov_b32_e32 v3, 0
	v_mov_b32_e32 v23, 0
	s_and_saveexec_b64 s[22:23], vcc
	s_cbranch_execz .LBB6_834
; %bb.829:                              ;   in Loop: Header=BB6_124 Depth=2
	v_cmp_ne_u16_e32 vcc, s76, v2
	v_bfrev_b32_e32 v23, 1
	s_and_saveexec_b64 s[56:57], vcc
	s_cbranch_execz .LBB6_833
; %bb.830:                              ;   in Loop: Header=BB6_124 Depth=2
	v_and_b32_e32 v24, 0x7f, v2
	v_cmp_ne_u32_e32 vcc, s75, v24
	v_mov_b32_e32 v23, 0x7f800001
	s_and_saveexec_b64 s[58:59], vcc
	s_cbranch_execz .LBB6_832
; %bb.831:                              ;   in Loop: Header=BB6_124 Depth=2
	v_and_b32_e32 v23, 7, v2
	v_ffbh_u32_e32 v28, v23
	v_min_u32_e32 v37, 32, v28
	v_subrev_u32_e32 v28, 28, v37
	v_lshlrev_b64 v[28:29], v28, v[2:3]
	v_lshrrev_b32_e32 v36, 3, v24
	v_sub_u32_e32 v2, 29, v37
	v_and_b32_e32 v28, 7, v28
	v_cmp_gt_u32_e32 vcc, 8, v24
	v_cndmask_b32_e32 v2, v36, v2, vcc
	v_cndmask_b32_e32 v23, v23, v28, vcc
	v_lshlrev_b32_e32 v22, 16, v22
	v_lshlrev_b32_e32 v23, 20, v23
	v_and_b32_e32 v22, 0x80000000, v22
	v_lshl_add_u32 v2, v2, 23, v31
	v_or3_b32 v23, v22, v2, v23
.LBB6_832:                              ;   in Loop: Header=BB6_124 Depth=2
	s_or_b64 exec, exec, s[58:59]
.LBB6_833:                              ;   in Loop: Header=BB6_124 Depth=2
	s_or_b64 exec, exec, s[56:57]
.LBB6_834:                              ;   in Loop: Header=BB6_124 Depth=2
	s_or_b64 exec, exec, s[22:23]
	v_mov_b32_e32 v2, v15
	v_lshrrev_b16_e32 v24, 8, v2
	v_cmp_ne_u16_e32 vcc, 0, v24
	s_and_saveexec_b64 s[22:23], vcc
	s_cbranch_execz .LBB6_840
; %bb.835:                              ;   in Loop: Header=BB6_124 Depth=2
	v_cmp_ne_u16_e32 vcc, s76, v24
	v_bfrev_b32_e32 v3, 1
	s_and_saveexec_b64 s[56:57], vcc
	s_cbranch_execz .LBB6_839
; %bb.836:                              ;   in Loop: Header=BB6_124 Depth=2
	v_and_b32_e32 v22, 0x7f, v24
	v_cmp_ne_u32_e32 vcc, s75, v22
	v_mov_b32_e32 v3, 0x7f800001
	s_and_saveexec_b64 s[58:59], vcc
	s_cbranch_execz .LBB6_838
; %bb.837:                              ;   in Loop: Header=BB6_124 Depth=2
	v_and_b32_e32 v3, 7, v24
	v_ffbh_u32_e32 v28, v3
	v_min_u32_e32 v37, 32, v28
	v_subrev_u32_e32 v28, 28, v37
	v_lshlrev_b64 v[28:29], v28, v[24:25]
	v_lshrrev_b32_e32 v36, 3, v22
	v_sub_u32_e32 v24, 29, v37
	v_and_b32_e32 v28, 7, v28
	v_cmp_gt_u32_e32 vcc, 8, v22
	v_cndmask_b32_e32 v22, v36, v24, vcc
	v_cndmask_b32_e32 v3, v3, v28, vcc
	v_lshlrev_b32_e32 v2, 16, v2
	v_lshlrev_b32_e32 v3, 20, v3
	v_and_b32_e32 v2, 0x80000000, v2
	v_lshl_add_u32 v22, v22, 23, v31
	v_or3_b32 v3, v2, v22, v3
.LBB6_838:                              ;   in Loop: Header=BB6_124 Depth=2
	s_or_b64 exec, exec, s[58:59]
.LBB6_839:                              ;   in Loop: Header=BB6_124 Depth=2
	s_or_b64 exec, exec, s[56:57]
.LBB6_840:                              ;   in Loop: Header=BB6_124 Depth=2
	s_or_b64 exec, exec, s[22:23]
	v_add_f32_e32 v23, v23, v3
	v_and_b32_sdwa v22, v23, s76 dst_sel:DWORD dst_unused:UNUSED_PAD src0_sel:BYTE_3 src1_sel:DWORD
	v_and_b32_e32 v28, 0x7f800000, v23
	v_mov_b32_e32 v29, v39
	v_and_b32_e32 v2, 0x7fffff, v23
	v_mov_b32_e32 v3, v39
	v_or_b32_e32 v24, 0x7e, v22
	v_cmp_ne_u64_e32 vcc, s[42:43], v[28:29]
	s_and_saveexec_b64 s[22:23], vcc
	s_xor_b64 s[56:57], exec, s[22:23]
	s_cbranch_execz .LBB6_850
; %bb.841:                              ;   in Loop: Header=BB6_124 Depth=2
	v_and_b32_e32 v28, 0x7fffffff, v23
	v_mov_b32_e32 v29, v39
	v_cmp_gt_u64_e32 vcc, s[44:45], v[28:29]
	s_and_saveexec_b64 s[58:59], vcc
	s_cbranch_execz .LBB6_849
; %bb.842:                              ;   in Loop: Header=BB6_124 Depth=2
	v_cmp_ne_u32_e32 vcc, 0, v23
	v_mov_b32_e32 v24, 0
	s_and_saveexec_b64 s[60:61], vcc
	s_cbranch_execz .LBB6_848
; %bb.843:                              ;   in Loop: Header=BB6_124 Depth=2
	v_bfe_u32 v23, v23, 23, 8
	v_sub_u32_e32 v28, 0x79, v23
	v_cmp_gt_u32_e32 vcc, s77, v23
	v_add_u32_e32 v24, 0xffffff81, v23
	v_cndmask_b32_e32 v28, 0, v28, vcc
	v_cmp_eq_u32_e32 vcc, 0, v23
	v_mov_b32_e32 v23, 0xffffff82
	v_cndmask_b32_e32 v23, v24, v23, vcc
	v_cndmask_b32_e32 v24, v28, v20, vcc
	v_or_b32_e32 v29, 0x800000, v2
	v_add_u32_e32 v28, 20, v24
	v_cndmask_b32_e32 v2, v29, v2, vcc
	v_lshlrev_b64 v[28:29], v28, -1
	v_not_b32_e32 v28, v28
	v_and_b32_e32 v36, v2, v28
	v_add_u32_e32 v28, 19, v24
	v_lshrrev_b64 v[2:3], v24, v[2:3]
	v_not_b32_e32 v29, v29
	v_lshlrev_b64 v[52:53], v28, 1
	v_lshrrev_b32_e32 v28, 23, v2
	v_and_b32_e32 v37, 0, v29
	v_add3_u32 v28, v24, v23, v28
	v_bfe_u32 v23, v2, 20, 1
	v_add_u32_e32 v23, -1, v23
	v_cmp_eq_u64_e32 vcc, v[36:37], v[52:53]
	v_cndmask_b32_e32 v23, 0, v23, vcc
	v_add_u32_e32 v23, v23, v2
	v_and_b32_e32 v23, 0xfffff, v23
	v_add_co_u32_e32 v2, vcc, v23, v2
	v_add_u32_e32 v24, 6, v28
	v_addc_co_u32_e32 v3, vcc, 0, v3, vcc
	v_cmp_ne_u32_e32 vcc, 0, v24
                                        ; implicit-def: $vgpr23
	s_and_saveexec_b64 s[22:23], vcc
	s_xor_b64 s[22:23], exec, s[22:23]
; %bb.844:                              ;   in Loop: Header=BB6_124 Depth=2
	v_add_u32_e32 v23, 7, v28
	v_cmp_lt_u64_e32 vcc, s[48:49], v[2:3]
	v_cndmask_b32_e32 v23, v24, v23, vcc
	v_cndmask_b32_e64 v24, 0, 1, vcc
	v_lshrrev_b64 v[2:3], v24, v[2:3]
; %bb.845:                              ;   in Loop: Header=BB6_124 Depth=2
	s_andn2_saveexec_b64 s[22:23], s[22:23]
; %bb.846:                              ;   in Loop: Header=BB6_124 Depth=2
	v_bfe_u32 v23, v2, 23, 1
; %bb.847:                              ;   in Loop: Header=BB6_124 Depth=2
	s_or_b64 exec, exec, s[22:23]
	v_lshrrev_b64 v[2:3], 20, v[2:3]
	v_cmp_gt_i32_e32 vcc, 16, v23
	v_cndmask_b32_e32 v3, 0, v3, vcc
	v_cndmask_b32_e32 v2, 7, v2, vcc
	v_cmp_eq_u64_e64 s[22:23], 0, v[2:3]
	v_min_i32_e32 v3, 15, v23
	v_cmp_eq_u32_e32 vcc, 0, v23
	v_lshlrev_b32_e32 v3, 3, v3
	v_and_or_b32 v2, v2, 7, v3
	s_and_b64 s[22:23], vcc, s[22:23]
	v_cndmask_b32_e64 v2, v2, 0, s[22:23]
	v_accvgpr_read_b32 v53, a45
	v_or_b32_e32 v24, v2, v22
	v_accvgpr_read_b32 v52, a44
.LBB6_848:                              ;   in Loop: Header=BB6_124 Depth=2
	s_or_b64 exec, exec, s[60:61]
.LBB6_849:                              ;   in Loop: Header=BB6_124 Depth=2
	s_or_b64 exec, exec, s[58:59]
                                        ; implicit-def: $vgpr23
                                        ; implicit-def: $vgpr2_vgpr3
.LBB6_850:                              ;   in Loop: Header=BB6_124 Depth=2
	s_andn2_saveexec_b64 s[22:23], s[56:57]
; %bb.851:                              ;   in Loop: Header=BB6_124 Depth=2
	v_or_b32_sdwa v22, v23, s75 dst_sel:DWORD dst_unused:UNUSED_PAD src0_sel:BYTE_3 src1_sel:DWORD
	v_cmp_eq_u64_e32 vcc, 0, v[2:3]
	v_cndmask_b32_e32 v24, v22, v24, vcc
; %bb.852:                              ;   in Loop: Header=BB6_124 Depth=2
	s_or_b64 exec, exec, s[22:23]
	v_lshrrev_b32_e32 v2, 16, v38
	v_cmp_ne_u16_sdwa vcc, v2, v39 src0_sel:BYTE_0 src1_sel:DWORD
	v_mov_b32_e32 v3, 0
	v_mov_b32_e32 v22, 0
	s_and_saveexec_b64 s[22:23], vcc
	s_cbranch_execz .LBB6_858
; %bb.853:                              ;   in Loop: Header=BB6_124 Depth=2
	v_cmp_ne_u16_sdwa vcc, v2, s76 src0_sel:BYTE_0 src1_sel:DWORD
	v_bfrev_b32_e32 v22, 1
	s_and_saveexec_b64 s[56:57], vcc
	s_cbranch_execz .LBB6_857
; %bb.854:                              ;   in Loop: Header=BB6_124 Depth=2
	v_bfe_u32 v23, v38, 16, 7
	v_cmp_ne_u32_e32 vcc, s75, v23
	v_mov_b32_e32 v22, 0x7f800001
	s_and_saveexec_b64 s[58:59], vcc
	s_cbranch_execz .LBB6_856
; %bb.855:                              ;   in Loop: Header=BB6_124 Depth=2
	v_and_b32_e32 v22, 7, v2
	v_ffbh_u32_e32 v28, v22
	v_min_u32_e32 v37, 32, v28
	v_subrev_u32_e32 v28, 28, v37
	v_lshlrev_b64 v[28:29], v28, v[2:3]
	v_lshrrev_b32_e32 v36, 3, v23
	v_sub_u32_e32 v29, 29, v37
	v_and_b32_e32 v28, 7, v28
	v_cmp_gt_u32_e32 vcc, 8, v23
	v_cndmask_b32_e32 v23, v36, v29, vcc
	v_cndmask_b32_e32 v22, v22, v28, vcc
	v_lshlrev_b32_e32 v2, 24, v2
	v_lshlrev_b32_e32 v22, 20, v22
	v_and_b32_e32 v2, 0x80000000, v2
	v_lshl_add_u32 v23, v23, 23, v31
	v_or3_b32 v22, v2, v23, v22
.LBB6_856:                              ;   in Loop: Header=BB6_124 Depth=2
	s_or_b64 exec, exec, s[58:59]
.LBB6_857:                              ;   in Loop: Header=BB6_124 Depth=2
	s_or_b64 exec, exec, s[56:57]
.LBB6_858:                              ;   in Loop: Header=BB6_124 Depth=2
	s_or_b64 exec, exec, s[22:23]
	v_lshrrev_b32_e32 v2, 16, v15
	v_cmp_ne_u16_sdwa vcc, v2, v39 src0_sel:BYTE_0 src1_sel:DWORD
	s_and_saveexec_b64 s[22:23], vcc
	s_cbranch_execz .LBB6_864
; %bb.859:                              ;   in Loop: Header=BB6_124 Depth=2
	v_cmp_ne_u16_sdwa vcc, v2, s76 src0_sel:BYTE_0 src1_sel:DWORD
	v_bfrev_b32_e32 v3, 1
	s_and_saveexec_b64 s[56:57], vcc
	s_cbranch_execz .LBB6_863
; %bb.860:                              ;   in Loop: Header=BB6_124 Depth=2
	v_bfe_u32 v23, v15, 16, 7
	v_cmp_ne_u32_e32 vcc, s75, v23
	v_mov_b32_e32 v3, 0x7f800001
	s_and_saveexec_b64 s[58:59], vcc
	s_cbranch_execz .LBB6_862
; %bb.861:                              ;   in Loop: Header=BB6_124 Depth=2
	v_and_b32_e32 v28, 7, v2
	v_ffbh_u32_e32 v3, v28
	v_min_u32_e32 v36, 32, v3
	v_subrev_u32_e32 v3, 28, v36
	v_lshlrev_b64 v[2:3], v3, v[2:3]
	v_lshrrev_b32_e32 v29, 3, v23
	v_sub_u32_e32 v3, 29, v36
	v_and_b32_e32 v2, 7, v2
	v_cmp_gt_u32_e32 vcc, 8, v23
	v_cndmask_b32_e32 v3, v29, v3, vcc
	v_cndmask_b32_e32 v2, v28, v2, vcc
	v_lshlrev_b32_e32 v23, 8, v15
	v_lshlrev_b32_e32 v2, 20, v2
	v_and_b32_e32 v23, 0x80000000, v23
	v_lshl_add_u32 v3, v3, 23, v31
	v_or3_b32 v3, v23, v3, v2
.LBB6_862:                              ;   in Loop: Header=BB6_124 Depth=2
	s_or_b64 exec, exec, s[58:59]
.LBB6_863:                              ;   in Loop: Header=BB6_124 Depth=2
	s_or_b64 exec, exec, s[56:57]
.LBB6_864:                              ;   in Loop: Header=BB6_124 Depth=2
	s_or_b64 exec, exec, s[22:23]
	v_add_f32_e32 v23, v22, v3
	v_and_b32_sdwa v22, v23, s76 dst_sel:DWORD dst_unused:UNUSED_PAD src0_sel:BYTE_3 src1_sel:DWORD
	v_and_b32_e32 v28, 0x7f800000, v23
	v_mov_b32_e32 v29, v39
	v_and_b32_e32 v2, 0x7fffff, v23
	v_mov_b32_e32 v3, v39
	v_or_b32_e32 v61, 0x7e, v22
	v_cmp_ne_u64_e32 vcc, s[42:43], v[28:29]
	s_and_saveexec_b64 s[22:23], vcc
	s_xor_b64 s[56:57], exec, s[22:23]
	s_cbranch_execz .LBB6_874
; %bb.865:                              ;   in Loop: Header=BB6_124 Depth=2
	v_and_b32_e32 v28, 0x7fffffff, v23
	v_mov_b32_e32 v29, v39
	v_cmp_gt_u64_e32 vcc, s[44:45], v[28:29]
	s_and_saveexec_b64 s[58:59], vcc
	s_cbranch_execz .LBB6_873
; %bb.866:                              ;   in Loop: Header=BB6_124 Depth=2
	v_cmp_ne_u32_e32 vcc, 0, v23
	v_mov_b32_e32 v61, 0
	s_and_saveexec_b64 s[60:61], vcc
	s_cbranch_execz .LBB6_872
; %bb.867:                              ;   in Loop: Header=BB6_124 Depth=2
	v_bfe_u32 v23, v23, 23, 8
	v_sub_u32_e32 v29, 0x79, v23
	v_cmp_gt_u32_e32 vcc, s77, v23
	v_cndmask_b32_e32 v29, 0, v29, vcc
	v_cmp_eq_u32_e32 vcc, 0, v23
	v_add_u32_e32 v28, 0xffffff81, v23
	v_mov_b32_e32 v23, 0xffffff82
	v_cndmask_b32_e32 v49, v29, v20, vcc
	v_cndmask_b32_e32 v23, v28, v23, vcc
	v_add_u32_e32 v28, 20, v49
	v_or_b32_e32 v36, 0x800000, v2
	v_lshlrev_b64 v[28:29], v28, -1
	v_cndmask_b32_e32 v2, v36, v2, vcc
	v_not_b32_e32 v28, v28
	v_and_b32_e32 v36, v2, v28
	v_add_u32_e32 v28, 19, v49
	v_lshrrev_b64 v[2:3], v49, v[2:3]
	v_not_b32_e32 v29, v29
	v_lshlrev_b64 v[52:53], v28, 1
	v_lshrrev_b32_e32 v28, 23, v2
	v_and_b32_e32 v37, 0, v29
	v_add3_u32 v29, v49, v23, v28
	v_bfe_u32 v23, v2, 20, 1
	v_add_u32_e32 v23, -1, v23
	v_cmp_eq_u64_e32 vcc, v[36:37], v[52:53]
	v_cndmask_b32_e32 v23, 0, v23, vcc
	v_add_u32_e32 v23, v23, v2
	v_and_b32_e32 v23, 0xfffff, v23
	v_add_co_u32_e32 v2, vcc, v23, v2
	v_add_u32_e32 v28, 6, v29
	v_addc_co_u32_e32 v3, vcc, 0, v3, vcc
	v_cmp_ne_u32_e32 vcc, 0, v28
                                        ; implicit-def: $vgpr23
	s_and_saveexec_b64 s[22:23], vcc
	s_xor_b64 s[22:23], exec, s[22:23]
; %bb.868:                              ;   in Loop: Header=BB6_124 Depth=2
	v_add_u32_e32 v23, 7, v29
	v_cmp_lt_u64_e32 vcc, s[48:49], v[2:3]
	v_cndmask_b32_e32 v23, v28, v23, vcc
	v_cndmask_b32_e64 v28, 0, 1, vcc
	v_lshrrev_b64 v[2:3], v28, v[2:3]
; %bb.869:                              ;   in Loop: Header=BB6_124 Depth=2
	s_andn2_saveexec_b64 s[22:23], s[22:23]
; %bb.870:                              ;   in Loop: Header=BB6_124 Depth=2
	v_bfe_u32 v23, v2, 23, 1
; %bb.871:                              ;   in Loop: Header=BB6_124 Depth=2
	s_or_b64 exec, exec, s[22:23]
	v_lshrrev_b64 v[2:3], 20, v[2:3]
	v_cmp_gt_i32_e32 vcc, 16, v23
	v_cndmask_b32_e32 v3, 0, v3, vcc
	v_cndmask_b32_e32 v2, 7, v2, vcc
	v_cmp_eq_u64_e64 s[22:23], 0, v[2:3]
	v_min_i32_e32 v3, 15, v23
	v_lshlrev_b32_e32 v3, 3, v3
	v_cmp_eq_u32_e32 vcc, 0, v23
	v_and_b32_e32 v3, 0xf8, v3
	v_and_or_b32 v2, v2, 7, v3
	s_and_b64 s[22:23], vcc, s[22:23]
	v_cndmask_b32_e64 v2, v2, 0, s[22:23]
	v_accvgpr_read_b32 v53, a45
	v_or_b32_e32 v61, v2, v22
	v_accvgpr_read_b32 v52, a44
.LBB6_872:                              ;   in Loop: Header=BB6_124 Depth=2
	s_or_b64 exec, exec, s[60:61]
.LBB6_873:                              ;   in Loop: Header=BB6_124 Depth=2
	s_or_b64 exec, exec, s[58:59]
                                        ; implicit-def: $vgpr23
                                        ; implicit-def: $vgpr2_vgpr3
.LBB6_874:                              ;   in Loop: Header=BB6_124 Depth=2
	s_andn2_saveexec_b64 s[22:23], s[56:57]
; %bb.875:                              ;   in Loop: Header=BB6_124 Depth=2
	v_or_b32_sdwa v22, v23, s75 dst_sel:DWORD dst_unused:UNUSED_PAD src0_sel:BYTE_3 src1_sel:DWORD
	v_cmp_eq_u64_e32 vcc, 0, v[2:3]
	v_cndmask_b32_e32 v61, v22, v61, vcc
; %bb.876:                              ;   in Loop: Header=BB6_124 Depth=2
	s_or_b64 exec, exec, s[22:23]
	v_cmp_lt_u32_e32 vcc, s47, v38
	v_mov_b32_e32 v3, 0
	v_mov_b32_e32 v22, 0
	s_and_saveexec_b64 s[22:23], vcc
	s_cbranch_execz .LBB6_882
; %bb.877:                              ;   in Loop: Header=BB6_124 Depth=2
	v_lshrrev_b32_e32 v2, 24, v38
	v_cmp_ne_u32_sdwa vcc, v38, s76 src0_sel:BYTE_3 src1_sel:DWORD
	v_bfrev_b32_e32 v22, 1
	s_and_saveexec_b64 s[56:57], vcc
	s_cbranch_execz .LBB6_881
; %bb.878:                              ;   in Loop: Header=BB6_124 Depth=2
	v_bfe_u32 v23, v38, 24, 7
	v_cmp_ne_u32_e32 vcc, s75, v23
	v_mov_b32_e32 v22, 0x7f800001
	s_and_saveexec_b64 s[58:59], vcc
	s_cbranch_execz .LBB6_880
; %bb.879:                              ;   in Loop: Header=BB6_124 Depth=2
	v_and_b32_e32 v22, 7, v2
	v_ffbh_u32_e32 v28, v22
	v_min_u32_e32 v37, 32, v28
	v_subrev_u32_e32 v28, 28, v37
	v_lshlrev_b64 v[28:29], v28, v[2:3]
	v_lshrrev_b32_e32 v36, 3, v23
	v_sub_u32_e32 v2, 29, v37
	v_and_b32_e32 v28, 7, v28
	v_cmp_gt_u32_e32 vcc, 8, v23
	v_mov_b32_e32 v23, 24
	v_cndmask_b32_e32 v2, v36, v2, vcc
	v_cndmask_b32_e32 v22, v22, v28, vcc
	v_lshlrev_b32_sdwa v23, v23, v38 dst_sel:DWORD dst_unused:UNUSED_PAD src0_sel:DWORD src1_sel:BYTE_3
	v_lshlrev_b32_e32 v22, 20, v22
	v_and_b32_e32 v23, 0x80000000, v23
	v_lshl_add_u32 v2, v2, 23, v31
	v_or3_b32 v22, v23, v2, v22
.LBB6_880:                              ;   in Loop: Header=BB6_124 Depth=2
	s_or_b64 exec, exec, s[58:59]
.LBB6_881:                              ;   in Loop: Header=BB6_124 Depth=2
	s_or_b64 exec, exec, s[56:57]
.LBB6_882:                              ;   in Loop: Header=BB6_124 Depth=2
	s_or_b64 exec, exec, s[22:23]
	v_cmp_lt_u64_e32 vcc, s[46:47], v[14:15]
	s_and_saveexec_b64 s[22:23], vcc
	s_cbranch_execz .LBB6_888
; %bb.883:                              ;   in Loop: Header=BB6_124 Depth=2
	v_lshrrev_b32_e32 v2, 24, v15
	v_cmp_ne_u32_e32 vcc, s76, v2
	v_bfrev_b32_e32 v3, 1
	s_and_saveexec_b64 s[56:57], vcc
	s_cbranch_execz .LBB6_887
; %bb.884:                              ;   in Loop: Header=BB6_124 Depth=2
	v_bfe_u32 v14, v15, 24, 7
	v_cmp_ne_u32_e32 vcc, s75, v14
	v_mov_b32_e32 v3, 0x7f800001
	s_and_saveexec_b64 s[58:59], vcc
	s_cbranch_execz .LBB6_886
; %bb.885:                              ;   in Loop: Header=BB6_124 Depth=2
	v_and_b32_e32 v3, 7, v2
	v_ffbh_u32_e32 v23, v3
	v_min_u32_e32 v23, 32, v23
	v_subrev_u32_e32 v28, 28, v23
	v_lshlrev_b64 v[28:29], v28, v[2:3]
	v_lshrrev_b32_e32 v15, 3, v14
	v_sub_u32_e32 v23, 29, v23
	v_and_b32_e32 v28, 7, v28
	v_cmp_gt_u32_e32 vcc, 8, v14
	v_cndmask_b32_e32 v14, v15, v23, vcc
	v_cndmask_b32_e32 v3, v3, v28, vcc
	v_lshlrev_b32_e32 v2, 24, v2
	v_lshlrev_b32_e32 v3, 20, v3
	v_and_b32_e32 v2, 0x80000000, v2
	v_lshl_add_u32 v14, v14, 23, v31
	v_or3_b32 v3, v2, v14, v3
.LBB6_886:                              ;   in Loop: Header=BB6_124 Depth=2
	s_or_b64 exec, exec, s[58:59]
.LBB6_887:                              ;   in Loop: Header=BB6_124 Depth=2
	s_or_b64 exec, exec, s[56:57]
.LBB6_888:                              ;   in Loop: Header=BB6_124 Depth=2
	s_or_b64 exec, exec, s[22:23]
	v_add_f32_e32 v2, v22, v3
	v_and_b32_sdwa v14, v2, s76 dst_sel:DWORD dst_unused:UNUSED_PAD src0_sel:BYTE_3 src1_sel:DWORD
	v_and_b32_e32 v22, 0x7f800000, v2
	v_mov_b32_e32 v23, v39
	v_and_b32_e32 v38, 0x7fffff, v2
	v_or_b32_e32 v15, 0x7e, v14
	v_cmp_ne_u64_e32 vcc, s[42:43], v[22:23]
	s_and_saveexec_b64 s[22:23], vcc
	s_xor_b64 s[56:57], exec, s[22:23]
	s_cbranch_execz .LBB6_898
; %bb.889:                              ;   in Loop: Header=BB6_124 Depth=2
	v_and_b32_e32 v22, 0x7fffffff, v2
	v_mov_b32_e32 v23, v39
	v_cmp_gt_u64_e32 vcc, s[44:45], v[22:23]
	s_and_saveexec_b64 s[58:59], vcc
	s_cbranch_execz .LBB6_897
; %bb.890:                              ;   in Loop: Header=BB6_124 Depth=2
	v_cmp_ne_u32_e32 vcc, 0, v2
	v_mov_b32_e32 v15, 0
	s_and_saveexec_b64 s[60:61], vcc
	s_cbranch_execz .LBB6_896
; %bb.891:                              ;   in Loop: Header=BB6_124 Depth=2
	v_bfe_u32 v2, v2, 23, 8
	v_sub_u32_e32 v15, 0x79, v2
	v_cmp_gt_u32_e32 vcc, s77, v2
	v_cndmask_b32_e32 v15, 0, v15, vcc
	v_cmp_eq_u32_e32 vcc, 0, v2
	v_add_u32_e32 v3, 0xffffff81, v2
	v_or_b32_e32 v22, 0x800000, v38
	v_mov_b32_e32 v2, 0xffffff82
	v_cndmask_b32_e32 v15, v15, v20, vcc
	v_cndmask_b32_e32 v23, v3, v2, vcc
	;; [unrolled: 1-line block ×3, first 2 shown]
	v_add_u32_e32 v2, 20, v15
	v_lshlrev_b64 v[2:3], v2, -1
	v_add_u32_e32 v22, 19, v15
	v_lshrrev_b64 v[36:37], v15, v[38:39]
	v_not_b32_e32 v3, v3
	v_not_b32_e32 v2, v2
	v_lshlrev_b64 v[28:29], v22, 1
	v_lshrrev_b32_e32 v22, 23, v36
	v_and_b32_e32 v3, 0, v3
	v_and_b32_e32 v2, v38, v2
	v_add3_u32 v23, v15, v23, v22
	v_bfe_u32 v15, v36, 20, 1
	v_add_u32_e32 v15, -1, v15
	v_cmp_eq_u64_e32 vcc, v[2:3], v[28:29]
	v_cndmask_b32_e32 v2, 0, v15, vcc
	v_add_u32_e32 v2, v2, v36
	v_and_b32_e32 v2, 0xfffff, v2
	v_add_co_u32_e32 v2, vcc, v2, v36
	v_add_u32_e32 v22, 6, v23
	v_addc_co_u32_e32 v3, vcc, 0, v37, vcc
	v_cmp_ne_u32_e32 vcc, 0, v22
                                        ; implicit-def: $vgpr15
	s_and_saveexec_b64 s[22:23], vcc
	s_xor_b64 s[22:23], exec, s[22:23]
; %bb.892:                              ;   in Loop: Header=BB6_124 Depth=2
	v_add_u32_e32 v15, 7, v23
	v_cmp_lt_u64_e32 vcc, s[48:49], v[2:3]
	v_cndmask_b32_e32 v15, v22, v15, vcc
	v_cndmask_b32_e64 v22, 0, 1, vcc
	v_lshrrev_b64 v[2:3], v22, v[2:3]
; %bb.893:                              ;   in Loop: Header=BB6_124 Depth=2
	s_andn2_saveexec_b64 s[22:23], s[22:23]
; %bb.894:                              ;   in Loop: Header=BB6_124 Depth=2
	v_bfe_u32 v15, v2, 23, 1
; %bb.895:                              ;   in Loop: Header=BB6_124 Depth=2
	s_or_b64 exec, exec, s[22:23]
	v_lshrrev_b64 v[2:3], 20, v[2:3]
	v_cmp_gt_i32_e32 vcc, 16, v15
	v_cndmask_b32_e32 v3, 0, v3, vcc
	v_cndmask_b32_e32 v2, 7, v2, vcc
	v_cmp_eq_u64_e64 s[22:23], 0, v[2:3]
	v_min_i32_e32 v3, 15, v15
	v_lshlrev_b32_e32 v3, 3, v3
	v_cmp_eq_u32_e32 vcc, 0, v15
	v_and_b32_e32 v3, 0xf8, v3
	v_and_or_b32 v2, v2, 7, v3
	s_and_b64 s[22:23], vcc, s[22:23]
	v_cndmask_b32_e64 v2, v2, 0, s[22:23]
	v_or_b32_e32 v15, v2, v14
.LBB6_896:                              ;   in Loop: Header=BB6_124 Depth=2
	s_or_b64 exec, exec, s[60:61]
.LBB6_897:                              ;   in Loop: Header=BB6_124 Depth=2
	s_or_b64 exec, exec, s[58:59]
                                        ; implicit-def: $vgpr2
.LBB6_898:                              ;   in Loop: Header=BB6_124 Depth=2
	s_andn2_saveexec_b64 s[22:23], s[56:57]
; %bb.899:                              ;   in Loop: Header=BB6_124 Depth=2
	v_or_b32_sdwa v2, v2, s75 dst_sel:DWORD dst_unused:UNUSED_PAD src0_sel:BYTE_3 src1_sel:DWORD
	v_cmp_eq_u64_e32 vcc, 0, v[38:39]
	v_cndmask_b32_e32 v15, v2, v15, vcc
; %bb.900:                              ;   in Loop: Header=BB6_124 Depth=2
	s_or_b64 exec, exec, s[22:23]
	v_lshlrev_b32_e32 v14, 8, v40
	v_cmp_ne_u16_sdwa vcc, v8, v39 src0_sel:BYTE_0 src1_sel:DWORD
	v_mov_b32_e32 v2, 0
	v_mov_b32_e32 v3, 0
	s_and_saveexec_b64 s[22:23], vcc
	s_cbranch_execz .LBB6_906
; %bb.901:                              ;   in Loop: Header=BB6_124 Depth=2
	v_cmp_ne_u16_sdwa vcc, v8, s76 src0_sel:BYTE_0 src1_sel:DWORD
	v_bfrev_b32_e32 v3, 1
	s_and_saveexec_b64 s[56:57], vcc
	s_cbranch_execz .LBB6_905
; %bb.902:                              ;   in Loop: Header=BB6_124 Depth=2
	v_and_b32_e32 v22, 0x7f, v8
	v_cmp_ne_u32_e32 vcc, s75, v22
	v_mov_b32_e32 v3, 0x7f800001
	s_and_saveexec_b64 s[58:59], vcc
	s_cbranch_execz .LBB6_904
; %bb.903:                              ;   in Loop: Header=BB6_124 Depth=2
	v_and_b32_e32 v3, 7, v8
	v_ffbh_u32_e32 v3, v3
	v_min_u32_e32 v3, 32, v3
	v_subrev_u32_e32 v29, 28, v3
	v_cmp_gt_u32_e32 vcc, 8, v22
	v_lshrrev_b32_e32 v23, 3, v22
	v_perm_b32 v28, v14, v8, s78
	v_sub_u32_e32 v3, 29, v3
	v_cndmask_b32_e32 v22, 0, v29, vcc
	v_cndmask_b32_e32 v3, v23, v3, vcc
	v_lshlrev_b64 v[22:23], v22, v[28:29]
	v_lshlrev_b32_e32 v22, 20, v22
	v_lshlrev_b32_e32 v8, 24, v8
	v_and_b32_e32 v22, 0x700000, v22
	v_and_b32_e32 v8, 0x80000000, v8
	v_lshl_add_u32 v3, v3, 23, v31
	v_or3_b32 v3, v8, v3, v22
.LBB6_904:                              ;   in Loop: Header=BB6_124 Depth=2
	s_or_b64 exec, exec, s[58:59]
.LBB6_905:                              ;   in Loop: Header=BB6_124 Depth=2
	s_or_b64 exec, exec, s[56:57]
.LBB6_906:                              ;   in Loop: Header=BB6_124 Depth=2
	s_or_b64 exec, exec, s[22:23]
	v_cmp_ne_u16_sdwa vcc, v16, v39 src0_sel:BYTE_0 src1_sel:DWORD
	s_and_saveexec_b64 s[22:23], vcc
	s_cbranch_execz .LBB6_912
; %bb.907:                              ;   in Loop: Header=BB6_124 Depth=2
	v_cmp_ne_u16_sdwa vcc, v16, s76 src0_sel:BYTE_0 src1_sel:DWORD
	v_bfrev_b32_e32 v2, 1
	s_and_saveexec_b64 s[56:57], vcc
	s_cbranch_execz .LBB6_911
; %bb.908:                              ;   in Loop: Header=BB6_124 Depth=2
	v_and_b32_e32 v8, 0x7f, v16
	v_cmp_ne_u32_e32 vcc, s75, v8
	v_mov_b32_e32 v2, 0x7f800001
	s_and_saveexec_b64 s[58:59], vcc
	s_cbranch_execz .LBB6_910
; %bb.909:                              ;   in Loop: Header=BB6_124 Depth=2
	v_and_b32_e32 v2, 7, v16
	v_ffbh_u32_e32 v2, v2
	v_min_u32_e32 v2, 32, v2
	v_subrev_u32_e32 v23, 28, v2
	v_cmp_gt_u32_e32 vcc, 8, v8
	v_lshrrev_b32_e32 v22, 3, v8
	v_sub_u32_e32 v2, 29, v2
	v_cndmask_b32_e32 v8, 0, v23, vcc
	v_cndmask_b32_e32 v2, v22, v2, vcc
	v_lshlrev_b64 v[22:23], v8, v[16:17]
	v_lshlrev_b32_e32 v8, 20, v22
	v_lshlrev_b32_e32 v22, 24, v16
	v_and_b32_e32 v8, 0x700000, v8
	v_and_b32_e32 v22, 0x80000000, v22
	v_lshl_add_u32 v2, v2, 23, v31
	v_or3_b32 v2, v22, v2, v8
.LBB6_910:                              ;   in Loop: Header=BB6_124 Depth=2
	s_or_b64 exec, exec, s[58:59]
.LBB6_911:                              ;   in Loop: Header=BB6_124 Depth=2
	s_or_b64 exec, exec, s[56:57]
.LBB6_912:                              ;   in Loop: Header=BB6_124 Depth=2
	s_or_b64 exec, exec, s[22:23]
	v_add_f32_e32 v2, v3, v2
	v_and_b32_sdwa v22, v2, s76 dst_sel:DWORD dst_unused:UNUSED_PAD src0_sel:BYTE_3 src1_sel:DWORD
	v_and_b32_e32 v28, 0x7f800000, v2
	v_mov_b32_e32 v29, v39
	v_and_b32_e32 v38, 0x7fffff, v2
	v_or_b32_e32 v8, 0x7e, v22
	v_cmp_ne_u64_e32 vcc, s[42:43], v[28:29]
	s_and_saveexec_b64 s[22:23], vcc
	s_xor_b64 s[56:57], exec, s[22:23]
	s_cbranch_execz .LBB6_922
; %bb.913:                              ;   in Loop: Header=BB6_124 Depth=2
	v_and_b32_e32 v28, 0x7fffffff, v2
	v_mov_b32_e32 v29, v39
	v_cmp_gt_u64_e32 vcc, s[44:45], v[28:29]
	s_and_saveexec_b64 s[58:59], vcc
	s_cbranch_execz .LBB6_921
; %bb.914:                              ;   in Loop: Header=BB6_124 Depth=2
	v_cmp_ne_u32_e32 vcc, 0, v2
	v_mov_b32_e32 v8, 0
	s_and_saveexec_b64 s[60:61], vcc
	s_cbranch_execz .LBB6_920
; %bb.915:                              ;   in Loop: Header=BB6_124 Depth=2
	v_bfe_u32 v2, v2, 23, 8
	v_sub_u32_e32 v8, 0x79, v2
	v_cmp_gt_u32_e32 vcc, s77, v2
	v_cndmask_b32_e32 v8, 0, v8, vcc
	v_cmp_eq_u32_e32 vcc, 0, v2
	v_add_u32_e32 v3, 0xffffff81, v2
	v_or_b32_e32 v23, 0x800000, v38
	v_mov_b32_e32 v2, 0xffffff82
	v_cndmask_b32_e32 v8, v8, v20, vcc
	v_cndmask_b32_e32 v28, v3, v2, vcc
	;; [unrolled: 1-line block ×3, first 2 shown]
	v_add_u32_e32 v2, 20, v8
	v_lshlrev_b64 v[2:3], v2, -1
	v_add_u32_e32 v23, 19, v8
	v_lshrrev_b64 v[52:53], v8, v[38:39]
	v_not_b32_e32 v3, v3
	v_not_b32_e32 v2, v2
	v_lshlrev_b64 v[36:37], v23, 1
	v_lshrrev_b32_e32 v23, 23, v52
	v_and_b32_e32 v3, 0, v3
	v_and_b32_e32 v2, v38, v2
	v_add3_u32 v28, v8, v28, v23
	v_bfe_u32 v8, v52, 20, 1
	v_add_u32_e32 v8, -1, v8
	v_cmp_eq_u64_e32 vcc, v[2:3], v[36:37]
	v_cndmask_b32_e32 v2, 0, v8, vcc
	v_add_u32_e32 v2, v2, v52
	v_and_b32_e32 v2, 0xfffff, v2
	v_add_co_u32_e32 v2, vcc, v2, v52
	v_add_u32_e32 v23, 6, v28
	v_addc_co_u32_e32 v3, vcc, 0, v53, vcc
	v_cmp_ne_u32_e32 vcc, 0, v23
                                        ; implicit-def: $vgpr8
	s_and_saveexec_b64 s[22:23], vcc
	s_xor_b64 s[22:23], exec, s[22:23]
; %bb.916:                              ;   in Loop: Header=BB6_124 Depth=2
	v_add_u32_e32 v8, 7, v28
	v_cmp_lt_u64_e32 vcc, s[48:49], v[2:3]
	v_cndmask_b32_e32 v8, v23, v8, vcc
	v_cndmask_b32_e64 v23, 0, 1, vcc
	v_lshrrev_b64 v[2:3], v23, v[2:3]
; %bb.917:                              ;   in Loop: Header=BB6_124 Depth=2
	s_andn2_saveexec_b64 s[22:23], s[22:23]
; %bb.918:                              ;   in Loop: Header=BB6_124 Depth=2
	v_bfe_u32 v8, v2, 23, 1
; %bb.919:                              ;   in Loop: Header=BB6_124 Depth=2
	s_or_b64 exec, exec, s[22:23]
	v_lshrrev_b64 v[2:3], 20, v[2:3]
	v_cmp_gt_i32_e32 vcc, 16, v8
	v_cndmask_b32_e32 v3, 0, v3, vcc
	v_cndmask_b32_e32 v2, 7, v2, vcc
	v_cmp_eq_u64_e64 s[22:23], 0, v[2:3]
	v_min_i32_e32 v3, 15, v8
	v_cmp_eq_u32_e32 vcc, 0, v8
	v_lshlrev_b32_e32 v3, 3, v3
	v_and_or_b32 v2, v2, 7, v3
	s_and_b64 s[22:23], vcc, s[22:23]
	v_cndmask_b32_e64 v2, v2, 0, s[22:23]
	v_accvgpr_read_b32 v53, a45
	v_or_b32_e32 v8, v2, v22
	v_accvgpr_read_b32 v52, a44
.LBB6_920:                              ;   in Loop: Header=BB6_124 Depth=2
	s_or_b64 exec, exec, s[60:61]
.LBB6_921:                              ;   in Loop: Header=BB6_124 Depth=2
	s_or_b64 exec, exec, s[58:59]
                                        ; implicit-def: $vgpr2
.LBB6_922:                              ;   in Loop: Header=BB6_124 Depth=2
	s_andn2_saveexec_b64 s[22:23], s[56:57]
; %bb.923:                              ;   in Loop: Header=BB6_124 Depth=2
	v_or_b32_sdwa v2, v2, s75 dst_sel:DWORD dst_unused:UNUSED_PAD src0_sel:BYTE_3 src1_sel:DWORD
	v_cmp_eq_u64_e32 vcc, 0, v[38:39]
	v_cndmask_b32_e32 v8, v2, v8, vcc
; %bb.924:                              ;   in Loop: Header=BB6_124 Depth=2
	s_or_b64 exec, exec, s[22:23]
	v_lshrrev_b16_e32 v2, 8, v14
	v_cmp_ne_u16_e32 vcc, 0, v2
	v_mov_b32_e32 v3, 0
	v_mov_b32_e32 v22, 0
	s_and_saveexec_b64 s[22:23], vcc
	s_cbranch_execz .LBB6_930
; %bb.925:                              ;   in Loop: Header=BB6_124 Depth=2
	v_cmp_ne_u16_e32 vcc, s76, v2
	v_bfrev_b32_e32 v22, 1
	s_and_saveexec_b64 s[56:57], vcc
	s_cbranch_execz .LBB6_929
; %bb.926:                              ;   in Loop: Header=BB6_124 Depth=2
	v_and_b32_e32 v23, 0x7f, v2
	v_cmp_ne_u32_e32 vcc, s75, v23
	v_mov_b32_e32 v22, 0x7f800001
	s_and_saveexec_b64 s[58:59], vcc
	s_cbranch_execz .LBB6_928
; %bb.927:                              ;   in Loop: Header=BB6_124 Depth=2
	v_and_b32_e32 v22, 7, v2
	v_ffbh_u32_e32 v28, v22
	v_min_u32_e32 v37, 32, v28
	v_subrev_u32_e32 v28, 28, v37
	v_lshlrev_b64 v[28:29], v28, v[2:3]
	v_lshrrev_b32_e32 v36, 3, v23
	v_sub_u32_e32 v2, 29, v37
	v_and_b32_e32 v28, 7, v28
	v_cmp_gt_u32_e32 vcc, 8, v23
	v_cndmask_b32_e32 v2, v36, v2, vcc
	v_cndmask_b32_e32 v22, v22, v28, vcc
	v_lshlrev_b32_e32 v14, 16, v14
	v_lshlrev_b32_e32 v22, 20, v22
	v_and_b32_e32 v14, 0x80000000, v14
	v_lshl_add_u32 v2, v2, 23, v31
	v_or3_b32 v22, v14, v2, v22
.LBB6_928:                              ;   in Loop: Header=BB6_124 Depth=2
	s_or_b64 exec, exec, s[58:59]
.LBB6_929:                              ;   in Loop: Header=BB6_124 Depth=2
	s_or_b64 exec, exec, s[56:57]
.LBB6_930:                              ;   in Loop: Header=BB6_124 Depth=2
	s_or_b64 exec, exec, s[22:23]
	v_lshrrev_b16_e32 v2, 8, v16
	v_cmp_ne_u16_e32 vcc, 0, v2
	s_and_saveexec_b64 s[22:23], vcc
	s_cbranch_execz .LBB6_936
; %bb.931:                              ;   in Loop: Header=BB6_124 Depth=2
	v_cmp_ne_u16_e32 vcc, s76, v2
	v_bfrev_b32_e32 v3, 1
	s_and_saveexec_b64 s[56:57], vcc
	s_cbranch_execz .LBB6_935
; %bb.932:                              ;   in Loop: Header=BB6_124 Depth=2
	v_and_b32_e32 v14, 0x7f, v2
	v_cmp_ne_u32_e32 vcc, s75, v14
	v_mov_b32_e32 v3, 0x7f800001
	s_and_saveexec_b64 s[58:59], vcc
	s_cbranch_execz .LBB6_934
; %bb.933:                              ;   in Loop: Header=BB6_124 Depth=2
	v_and_b32_e32 v23, 7, v2
	v_ffbh_u32_e32 v3, v23
	v_min_u32_e32 v29, 32, v3
	v_subrev_u32_e32 v3, 28, v29
	v_lshlrev_b64 v[2:3], v3, v[2:3]
	v_lshrrev_b32_e32 v28, 3, v14
	v_sub_u32_e32 v3, 29, v29
	v_and_b32_e32 v2, 7, v2
	v_cmp_gt_u32_e32 vcc, 8, v14
	v_cndmask_b32_e32 v3, v28, v3, vcc
	v_cndmask_b32_e32 v2, v23, v2, vcc
	v_lshlrev_b32_e32 v14, 16, v16
	v_lshlrev_b32_e32 v2, 20, v2
	v_and_b32_e32 v14, 0x80000000, v14
	v_lshl_add_u32 v3, v3, 23, v31
	v_or3_b32 v3, v14, v3, v2
.LBB6_934:                              ;   in Loop: Header=BB6_124 Depth=2
	s_or_b64 exec, exec, s[58:59]
.LBB6_935:                              ;   in Loop: Header=BB6_124 Depth=2
	s_or_b64 exec, exec, s[56:57]
.LBB6_936:                              ;   in Loop: Header=BB6_124 Depth=2
	s_or_b64 exec, exec, s[22:23]
	v_add_f32_e32 v2, v22, v3
	v_and_b32_sdwa v14, v2, s76 dst_sel:DWORD dst_unused:UNUSED_PAD src0_sel:BYTE_3 src1_sel:DWORD
	v_and_b32_e32 v28, 0x7f800000, v2
	v_mov_b32_e32 v29, v39
	v_and_b32_e32 v38, 0x7fffff, v2
	v_or_b32_e32 v22, 0x7e, v14
	v_cmp_ne_u64_e32 vcc, s[42:43], v[28:29]
	s_and_saveexec_b64 s[22:23], vcc
	s_xor_b64 s[56:57], exec, s[22:23]
	s_cbranch_execz .LBB6_946
; %bb.937:                              ;   in Loop: Header=BB6_124 Depth=2
	v_and_b32_e32 v28, 0x7fffffff, v2
	v_mov_b32_e32 v29, v39
	v_cmp_gt_u64_e32 vcc, s[44:45], v[28:29]
	s_and_saveexec_b64 s[58:59], vcc
	s_cbranch_execz .LBB6_945
; %bb.938:                              ;   in Loop: Header=BB6_124 Depth=2
	v_cmp_ne_u32_e32 vcc, 0, v2
	v_mov_b32_e32 v22, 0
	s_and_saveexec_b64 s[60:61], vcc
	s_cbranch_execz .LBB6_944
; %bb.939:                              ;   in Loop: Header=BB6_124 Depth=2
	v_bfe_u32 v2, v2, 23, 8
	v_sub_u32_e32 v22, 0x79, v2
	v_cmp_gt_u32_e32 vcc, s77, v2
	v_cndmask_b32_e32 v22, 0, v22, vcc
	v_cmp_eq_u32_e32 vcc, 0, v2
	v_add_u32_e32 v3, 0xffffff81, v2
	v_or_b32_e32 v23, 0x800000, v38
	v_mov_b32_e32 v2, 0xffffff82
	v_cndmask_b32_e32 v22, v22, v20, vcc
	v_cndmask_b32_e32 v28, v3, v2, vcc
	;; [unrolled: 1-line block ×3, first 2 shown]
	v_add_u32_e32 v2, 20, v22
	v_lshlrev_b64 v[2:3], v2, -1
	v_add_u32_e32 v23, 19, v22
	v_lshrrev_b64 v[52:53], v22, v[38:39]
	v_not_b32_e32 v3, v3
	v_not_b32_e32 v2, v2
	v_lshlrev_b64 v[36:37], v23, 1
	v_lshrrev_b32_e32 v23, 23, v52
	v_and_b32_e32 v3, 0, v3
	v_and_b32_e32 v2, v38, v2
	v_add3_u32 v28, v22, v28, v23
	v_bfe_u32 v22, v52, 20, 1
	v_add_u32_e32 v22, -1, v22
	v_cmp_eq_u64_e32 vcc, v[2:3], v[36:37]
	v_cndmask_b32_e32 v2, 0, v22, vcc
	v_add_u32_e32 v2, v2, v52
	v_and_b32_e32 v2, 0xfffff, v2
	v_add_co_u32_e32 v2, vcc, v2, v52
	v_add_u32_e32 v23, 6, v28
	v_addc_co_u32_e32 v3, vcc, 0, v53, vcc
	v_cmp_ne_u32_e32 vcc, 0, v23
                                        ; implicit-def: $vgpr22
	s_and_saveexec_b64 s[22:23], vcc
	s_xor_b64 s[22:23], exec, s[22:23]
; %bb.940:                              ;   in Loop: Header=BB6_124 Depth=2
	v_add_u32_e32 v22, 7, v28
	v_cmp_lt_u64_e32 vcc, s[48:49], v[2:3]
	v_cndmask_b32_e32 v22, v23, v22, vcc
	v_cndmask_b32_e64 v23, 0, 1, vcc
	v_lshrrev_b64 v[2:3], v23, v[2:3]
; %bb.941:                              ;   in Loop: Header=BB6_124 Depth=2
	s_andn2_saveexec_b64 s[22:23], s[22:23]
; %bb.942:                              ;   in Loop: Header=BB6_124 Depth=2
	v_bfe_u32 v22, v2, 23, 1
; %bb.943:                              ;   in Loop: Header=BB6_124 Depth=2
	s_or_b64 exec, exec, s[22:23]
	v_lshrrev_b64 v[2:3], 20, v[2:3]
	v_cmp_gt_i32_e32 vcc, 16, v22
	v_cndmask_b32_e32 v3, 0, v3, vcc
	v_cndmask_b32_e32 v2, 7, v2, vcc
	v_cmp_eq_u64_e64 s[22:23], 0, v[2:3]
	v_min_i32_e32 v3, 15, v22
	v_cmp_eq_u32_e32 vcc, 0, v22
	v_lshlrev_b32_e32 v3, 3, v3
	v_and_or_b32 v2, v2, 7, v3
	s_and_b64 s[22:23], vcc, s[22:23]
	v_cndmask_b32_e64 v2, v2, 0, s[22:23]
	v_accvgpr_read_b32 v53, a45
	v_or_b32_e32 v22, v2, v14
	v_accvgpr_read_b32 v52, a44
.LBB6_944:                              ;   in Loop: Header=BB6_124 Depth=2
	s_or_b64 exec, exec, s[60:61]
.LBB6_945:                              ;   in Loop: Header=BB6_124 Depth=2
	s_or_b64 exec, exec, s[58:59]
                                        ; implicit-def: $vgpr2
.LBB6_946:                              ;   in Loop: Header=BB6_124 Depth=2
	s_andn2_saveexec_b64 s[22:23], s[56:57]
; %bb.947:                              ;   in Loop: Header=BB6_124 Depth=2
	v_or_b32_sdwa v2, v2, s75 dst_sel:DWORD dst_unused:UNUSED_PAD src0_sel:BYTE_3 src1_sel:DWORD
	v_cmp_eq_u64_e32 vcc, 0, v[38:39]
	v_cndmask_b32_e32 v22, v2, v22, vcc
; %bb.948:                              ;   in Loop: Header=BB6_124 Depth=2
	s_or_b64 exec, exec, s[22:23]
	v_cmp_ne_u16_sdwa vcc, v48, v39 src0_sel:BYTE_0 src1_sel:DWORD
	v_mov_b32_e32 v3, 0
	v_mov_b32_e32 v14, 0
	s_and_saveexec_b64 s[22:23], vcc
	s_cbranch_execz .LBB6_954
; %bb.949:                              ;   in Loop: Header=BB6_124 Depth=2
	v_cmp_ne_u16_sdwa vcc, v48, s76 src0_sel:BYTE_0 src1_sel:DWORD
	v_bfrev_b32_e32 v14, 1
	s_and_saveexec_b64 s[56:57], vcc
	s_cbranch_execz .LBB6_953
; %bb.950:                              ;   in Loop: Header=BB6_124 Depth=2
	v_and_b32_e32 v2, 0x7f, v48
	v_cmp_ne_u32_e32 vcc, s75, v2
	v_mov_b32_e32 v14, 0x7f800001
	s_and_saveexec_b64 s[58:59], vcc
	s_cbranch_execz .LBB6_952
; %bb.951:                              ;   in Loop: Header=BB6_124 Depth=2
	v_and_b32_e32 v14, 7, v48
	v_ffbh_u32_e32 v28, v14
	v_min_u32_e32 v36, 32, v28
	v_subrev_u32_e32 v28, 28, v36
	v_lshlrev_b64 v[28:29], v28, v[48:49]
	v_lshrrev_b32_e32 v23, 3, v2
	v_sub_u32_e32 v29, 29, v36
	v_and_b32_e32 v28, 7, v28
	v_cmp_gt_u32_e32 vcc, 8, v2
	v_cndmask_b32_e32 v2, v23, v29, vcc
	v_cndmask_b32_e32 v14, v14, v28, vcc
	v_lshlrev_b32_e32 v23, 24, v48
	v_lshlrev_b32_e32 v14, 20, v14
	v_and_b32_e32 v23, 0x80000000, v23
	v_lshl_add_u32 v2, v2, 23, v31
	v_or3_b32 v14, v23, v2, v14
.LBB6_952:                              ;   in Loop: Header=BB6_124 Depth=2
	s_or_b64 exec, exec, s[58:59]
.LBB6_953:                              ;   in Loop: Header=BB6_124 Depth=2
	s_or_b64 exec, exec, s[56:57]
.LBB6_954:                              ;   in Loop: Header=BB6_124 Depth=2
	s_or_b64 exec, exec, s[22:23]
	v_lshrrev_b32_e32 v2, 16, v16
	v_cmp_ne_u16_sdwa vcc, v2, v39 src0_sel:BYTE_0 src1_sel:DWORD
	s_and_saveexec_b64 s[22:23], vcc
	s_cbranch_execz .LBB6_960
; %bb.955:                              ;   in Loop: Header=BB6_124 Depth=2
	v_cmp_ne_u16_sdwa vcc, v2, s76 src0_sel:BYTE_0 src1_sel:DWORD
	v_bfrev_b32_e32 v3, 1
	s_and_saveexec_b64 s[56:57], vcc
	s_cbranch_execz .LBB6_959
; %bb.956:                              ;   in Loop: Header=BB6_124 Depth=2
	v_bfe_u32 v23, v16, 16, 7
	v_cmp_ne_u32_e32 vcc, s75, v23
	v_mov_b32_e32 v3, 0x7f800001
	s_and_saveexec_b64 s[58:59], vcc
	s_cbranch_execz .LBB6_958
; %bb.957:                              ;   in Loop: Header=BB6_124 Depth=2
	v_and_b32_e32 v28, 7, v2
	v_ffbh_u32_e32 v3, v28
	v_min_u32_e32 v36, 32, v3
	v_subrev_u32_e32 v3, 28, v36
	v_lshlrev_b64 v[2:3], v3, v[2:3]
	v_lshrrev_b32_e32 v29, 3, v23
	v_sub_u32_e32 v3, 29, v36
	v_and_b32_e32 v2, 7, v2
	v_cmp_gt_u32_e32 vcc, 8, v23
	v_cndmask_b32_e32 v3, v29, v3, vcc
	v_cndmask_b32_e32 v2, v28, v2, vcc
	v_lshlrev_b32_e32 v23, 8, v16
	v_lshlrev_b32_e32 v2, 20, v2
	v_and_b32_e32 v23, 0x80000000, v23
	v_lshl_add_u32 v3, v3, 23, v31
	v_or3_b32 v3, v23, v3, v2
.LBB6_958:                              ;   in Loop: Header=BB6_124 Depth=2
	s_or_b64 exec, exec, s[58:59]
.LBB6_959:                              ;   in Loop: Header=BB6_124 Depth=2
	s_or_b64 exec, exec, s[56:57]
.LBB6_960:                              ;   in Loop: Header=BB6_124 Depth=2
	s_or_b64 exec, exec, s[22:23]
	v_add_f32_e32 v2, v14, v3
	v_and_b32_sdwa v14, v2, s76 dst_sel:DWORD dst_unused:UNUSED_PAD src0_sel:BYTE_3 src1_sel:DWORD
	v_and_b32_e32 v28, 0x7f800000, v2
	v_mov_b32_e32 v29, v39
	v_and_b32_e32 v38, 0x7fffff, v2
	v_or_b32_e32 v23, 0x7e, v14
	v_cmp_ne_u64_e32 vcc, s[42:43], v[28:29]
	s_and_saveexec_b64 s[22:23], vcc
	s_xor_b64 s[56:57], exec, s[22:23]
	s_cbranch_execz .LBB6_970
; %bb.961:                              ;   in Loop: Header=BB6_124 Depth=2
	v_and_b32_e32 v28, 0x7fffffff, v2
	v_mov_b32_e32 v29, v39
	v_cmp_gt_u64_e32 vcc, s[44:45], v[28:29]
	s_and_saveexec_b64 s[58:59], vcc
	s_cbranch_execz .LBB6_969
; %bb.962:                              ;   in Loop: Header=BB6_124 Depth=2
	v_cmp_ne_u32_e32 vcc, 0, v2
	v_mov_b32_e32 v23, 0
	s_and_saveexec_b64 s[60:61], vcc
	s_cbranch_execz .LBB6_968
; %bb.963:                              ;   in Loop: Header=BB6_124 Depth=2
	v_bfe_u32 v2, v2, 23, 8
	v_sub_u32_e32 v23, 0x79, v2
	v_cmp_gt_u32_e32 vcc, s77, v2
	v_cndmask_b32_e32 v23, 0, v23, vcc
	v_cmp_eq_u32_e32 vcc, 0, v2
	v_add_u32_e32 v3, 0xffffff81, v2
	v_or_b32_e32 v28, 0x800000, v38
	v_mov_b32_e32 v2, 0xffffff82
	v_cndmask_b32_e32 v23, v23, v20, vcc
	v_cndmask_b32_e32 v29, v3, v2, vcc
	v_cndmask_b32_e32 v38, v28, v38, vcc
	v_add_u32_e32 v2, 20, v23
	v_lshlrev_b64 v[2:3], v2, -1
	v_add_u32_e32 v28, 19, v23
	v_lshrrev_b64 v[48:49], v23, v[38:39]
	v_not_b32_e32 v3, v3
	v_not_b32_e32 v2, v2
	v_lshlrev_b64 v[36:37], v28, 1
	v_lshrrev_b32_e32 v28, 23, v48
	v_and_b32_e32 v3, 0, v3
	v_and_b32_e32 v2, v38, v2
	v_add3_u32 v29, v23, v29, v28
	v_bfe_u32 v23, v48, 20, 1
	v_add_u32_e32 v23, -1, v23
	v_cmp_eq_u64_e32 vcc, v[2:3], v[36:37]
	v_cndmask_b32_e32 v2, 0, v23, vcc
	v_add_u32_e32 v2, v2, v48
	v_and_b32_e32 v2, 0xfffff, v2
	v_add_co_u32_e32 v2, vcc, v2, v48
	v_add_u32_e32 v28, 6, v29
	v_addc_co_u32_e32 v3, vcc, 0, v49, vcc
	v_cmp_ne_u32_e32 vcc, 0, v28
                                        ; implicit-def: $vgpr23
	s_and_saveexec_b64 s[22:23], vcc
	s_xor_b64 s[22:23], exec, s[22:23]
; %bb.964:                              ;   in Loop: Header=BB6_124 Depth=2
	v_add_u32_e32 v23, 7, v29
	v_cmp_lt_u64_e32 vcc, s[48:49], v[2:3]
	v_cndmask_b32_e32 v23, v28, v23, vcc
	v_cndmask_b32_e64 v28, 0, 1, vcc
	v_lshrrev_b64 v[2:3], v28, v[2:3]
; %bb.965:                              ;   in Loop: Header=BB6_124 Depth=2
	s_andn2_saveexec_b64 s[22:23], s[22:23]
; %bb.966:                              ;   in Loop: Header=BB6_124 Depth=2
	v_bfe_u32 v23, v2, 23, 1
; %bb.967:                              ;   in Loop: Header=BB6_124 Depth=2
	s_or_b64 exec, exec, s[22:23]
	v_lshrrev_b64 v[2:3], 20, v[2:3]
	v_cmp_gt_i32_e32 vcc, 16, v23
	v_cndmask_b32_e32 v3, 0, v3, vcc
	v_cndmask_b32_e32 v2, 7, v2, vcc
	v_cmp_eq_u64_e64 s[22:23], 0, v[2:3]
	v_min_i32_e32 v3, 15, v23
	v_cmp_eq_u32_e32 vcc, 0, v23
	v_lshlrev_b32_e32 v3, 3, v3
	v_and_or_b32 v2, v2, 7, v3
	s_and_b64 s[22:23], vcc, s[22:23]
	v_cndmask_b32_e64 v2, v2, 0, s[22:23]
	v_or_b32_e32 v23, v2, v14
.LBB6_968:                              ;   in Loop: Header=BB6_124 Depth=2
	s_or_b64 exec, exec, s[60:61]
.LBB6_969:                              ;   in Loop: Header=BB6_124 Depth=2
	s_or_b64 exec, exec, s[58:59]
                                        ; implicit-def: $vgpr2
.LBB6_970:                              ;   in Loop: Header=BB6_124 Depth=2
	s_andn2_saveexec_b64 s[22:23], s[56:57]
; %bb.971:                              ;   in Loop: Header=BB6_124 Depth=2
	v_or_b32_sdwa v2, v2, s75 dst_sel:DWORD dst_unused:UNUSED_PAD src0_sel:BYTE_3 src1_sel:DWORD
	v_cmp_eq_u64_e32 vcc, 0, v[38:39]
	v_cndmask_b32_e32 v23, v2, v23, vcc
; %bb.972:                              ;   in Loop: Header=BB6_124 Depth=2
	s_or_b64 exec, exec, s[22:23]
	v_lshlrev_b32_e32 v2, 8, v7
	v_and_b32_e32 v2, 0xff00, v2
	v_cmp_ne_u32_e32 vcc, 0, v2
	v_mov_b32_e32 v3, 0
	v_mov_b32_e32 v7, 0
	s_and_saveexec_b64 s[22:23], vcc
	s_cbranch_execz .LBB6_978
; %bb.973:                              ;   in Loop: Header=BB6_124 Depth=2
	v_cmp_ne_u32_e32 vcc, s79, v2
	v_bfrev_b32_e32 v7, 1
	s_and_saveexec_b64 s[56:57], vcc
	s_cbranch_execz .LBB6_977
; %bb.974:                              ;   in Loop: Header=BB6_124 Depth=2
	v_bfe_u32 v14, v2, 8, 7
	v_cmp_ne_u32_e32 vcc, s75, v14
	v_mov_b32_e32 v7, 0x7f800001
	s_and_saveexec_b64 s[58:59], vcc
	s_cbranch_execz .LBB6_976
; %bb.975:                              ;   in Loop: Header=BB6_124 Depth=2
	v_lshrrev_b32_e32 v28, 8, v2
	v_and_b32_e32 v7, 7, v28
	v_ffbh_u32_e32 v29, v7
	v_min_u32_e32 v37, 32, v29
	v_subrev_u32_e32 v29, 28, v37
	v_lshlrev_b64 v[28:29], v29, v[28:29]
	v_lshrrev_b32_e32 v36, 3, v14
	v_sub_u32_e32 v29, 29, v37
	v_and_b32_e32 v28, 7, v28
	v_cmp_gt_u32_e32 vcc, 8, v14
	v_cndmask_b32_e32 v14, v36, v29, vcc
	v_cndmask_b32_e32 v7, v7, v28, vcc
	v_lshlrev_b32_e32 v2, 16, v2
	v_lshlrev_b32_e32 v7, 20, v7
	v_and_b32_e32 v2, 0x80000000, v2
	v_lshl_add_u32 v14, v14, 23, v31
	v_or3_b32 v7, v2, v14, v7
.LBB6_976:                              ;   in Loop: Header=BB6_124 Depth=2
	s_or_b64 exec, exec, s[58:59]
.LBB6_977:                              ;   in Loop: Header=BB6_124 Depth=2
	s_or_b64 exec, exec, s[56:57]
.LBB6_978:                              ;   in Loop: Header=BB6_124 Depth=2
	s_or_b64 exec, exec, s[22:23]
	v_cmp_lt_u32_e32 vcc, s47, v16
	s_and_saveexec_b64 s[22:23], vcc
	s_cbranch_execz .LBB6_984
; %bb.979:                              ;   in Loop: Header=BB6_124 Depth=2
	v_lshrrev_b32_e32 v2, 24, v16
	v_cmp_ne_u32_e32 vcc, s76, v2
	v_bfrev_b32_e32 v3, 1
	s_and_saveexec_b64 s[56:57], vcc
	s_cbranch_execz .LBB6_983
; %bb.980:                              ;   in Loop: Header=BB6_124 Depth=2
	v_bfe_u32 v14, v16, 24, 7
	v_cmp_ne_u32_e32 vcc, s75, v14
	v_mov_b32_e32 v3, 0x7f800001
	s_and_saveexec_b64 s[58:59], vcc
	s_cbranch_execz .LBB6_982
; %bb.981:                              ;   in Loop: Header=BB6_124 Depth=2
	v_and_b32_e32 v3, 7, v2
	v_ffbh_u32_e32 v28, v3
	v_min_u32_e32 v37, 32, v28
	v_subrev_u32_e32 v28, 28, v37
	v_lshlrev_b64 v[28:29], v28, v[2:3]
	v_lshrrev_b32_e32 v36, 3, v14
	v_sub_u32_e32 v29, 29, v37
	v_and_b32_e32 v28, 7, v28
	v_cmp_gt_u32_e32 vcc, 8, v14
	v_cndmask_b32_e32 v14, v36, v29, vcc
	v_cndmask_b32_e32 v3, v3, v28, vcc
	v_lshlrev_b32_e32 v2, 24, v2
	v_lshlrev_b32_e32 v3, 20, v3
	v_and_b32_e32 v2, 0x80000000, v2
	v_lshl_add_u32 v14, v14, 23, v31
	v_or3_b32 v3, v2, v14, v3
.LBB6_982:                              ;   in Loop: Header=BB6_124 Depth=2
	s_or_b64 exec, exec, s[58:59]
.LBB6_983:                              ;   in Loop: Header=BB6_124 Depth=2
	s_or_b64 exec, exec, s[56:57]
.LBB6_984:                              ;   in Loop: Header=BB6_124 Depth=2
	s_or_b64 exec, exec, s[22:23]
	v_add_f32_e32 v2, v7, v3
	v_and_b32_sdwa v14, v2, s76 dst_sel:DWORD dst_unused:UNUSED_PAD src0_sel:BYTE_3 src1_sel:DWORD
	v_and_b32_e32 v28, 0x7f800000, v2
	v_mov_b32_e32 v29, v39
	v_and_b32_e32 v38, 0x7fffff, v2
	v_or_b32_e32 v7, 0x7e, v14
	v_cmp_ne_u64_e32 vcc, s[42:43], v[28:29]
	s_and_saveexec_b64 s[22:23], vcc
	s_xor_b64 s[56:57], exec, s[22:23]
	s_cbranch_execz .LBB6_994
; %bb.985:                              ;   in Loop: Header=BB6_124 Depth=2
	v_and_b32_e32 v28, 0x7fffffff, v2
	v_mov_b32_e32 v29, v39
	v_cmp_gt_u64_e32 vcc, s[44:45], v[28:29]
	s_and_saveexec_b64 s[58:59], vcc
	s_cbranch_execz .LBB6_993
; %bb.986:                              ;   in Loop: Header=BB6_124 Depth=2
	v_cmp_ne_u32_e32 vcc, 0, v2
	v_mov_b32_e32 v7, 0
	s_and_saveexec_b64 s[60:61], vcc
	s_cbranch_execz .LBB6_992
; %bb.987:                              ;   in Loop: Header=BB6_124 Depth=2
	v_bfe_u32 v2, v2, 23, 8
	v_sub_u32_e32 v7, 0x79, v2
	v_cmp_gt_u32_e32 vcc, s77, v2
	v_cndmask_b32_e32 v7, 0, v7, vcc
	v_cmp_eq_u32_e32 vcc, 0, v2
	v_add_u32_e32 v3, 0xffffff81, v2
	v_or_b32_e32 v28, 0x800000, v38
	v_mov_b32_e32 v2, 0xffffff82
	v_cndmask_b32_e32 v7, v7, v20, vcc
	v_cndmask_b32_e32 v29, v3, v2, vcc
	;; [unrolled: 1-line block ×3, first 2 shown]
	v_add_u32_e32 v2, 20, v7
	v_lshlrev_b64 v[2:3], v2, -1
	v_add_u32_e32 v28, 19, v7
	v_lshrrev_b64 v[48:49], v7, v[38:39]
	v_not_b32_e32 v3, v3
	v_not_b32_e32 v2, v2
	v_lshlrev_b64 v[36:37], v28, 1
	v_lshrrev_b32_e32 v28, 23, v48
	v_and_b32_e32 v3, 0, v3
	v_and_b32_e32 v2, v38, v2
	v_add3_u32 v29, v7, v29, v28
	v_bfe_u32 v7, v48, 20, 1
	v_add_u32_e32 v7, -1, v7
	v_cmp_eq_u64_e32 vcc, v[2:3], v[36:37]
	v_cndmask_b32_e32 v2, 0, v7, vcc
	v_add_u32_e32 v2, v2, v48
	v_and_b32_e32 v2, 0xfffff, v2
	v_add_co_u32_e32 v2, vcc, v2, v48
	v_add_u32_e32 v28, 6, v29
	v_addc_co_u32_e32 v3, vcc, 0, v49, vcc
	v_cmp_ne_u32_e32 vcc, 0, v28
                                        ; implicit-def: $vgpr7
	s_and_saveexec_b64 s[22:23], vcc
	s_xor_b64 s[22:23], exec, s[22:23]
; %bb.988:                              ;   in Loop: Header=BB6_124 Depth=2
	v_add_u32_e32 v7, 7, v29
	v_cmp_lt_u64_e32 vcc, s[48:49], v[2:3]
	v_cndmask_b32_e32 v7, v28, v7, vcc
	v_cndmask_b32_e64 v28, 0, 1, vcc
	v_lshrrev_b64 v[2:3], v28, v[2:3]
; %bb.989:                              ;   in Loop: Header=BB6_124 Depth=2
	s_andn2_saveexec_b64 s[22:23], s[22:23]
; %bb.990:                              ;   in Loop: Header=BB6_124 Depth=2
	v_bfe_u32 v7, v2, 23, 1
; %bb.991:                              ;   in Loop: Header=BB6_124 Depth=2
	s_or_b64 exec, exec, s[22:23]
	v_lshrrev_b64 v[2:3], 20, v[2:3]
	v_cmp_gt_i32_e32 vcc, 16, v7
	v_cndmask_b32_e32 v3, 0, v3, vcc
	v_cndmask_b32_e32 v2, 7, v2, vcc
	v_cmp_eq_u64_e64 s[22:23], 0, v[2:3]
	v_min_i32_e32 v3, 15, v7
	v_cmp_eq_u32_e32 vcc, 0, v7
	v_lshlrev_b32_e32 v3, 3, v3
	v_and_or_b32 v2, v2, 7, v3
	s_and_b64 s[22:23], vcc, s[22:23]
	v_cndmask_b32_e64 v2, v2, 0, s[22:23]
	v_or_b32_e32 v7, v2, v14
.LBB6_992:                              ;   in Loop: Header=BB6_124 Depth=2
	s_or_b64 exec, exec, s[60:61]
.LBB6_993:                              ;   in Loop: Header=BB6_124 Depth=2
	s_or_b64 exec, exec, s[58:59]
                                        ; implicit-def: $vgpr2
.LBB6_994:                              ;   in Loop: Header=BB6_124 Depth=2
	s_andn2_saveexec_b64 s[22:23], s[56:57]
; %bb.995:                              ;   in Loop: Header=BB6_124 Depth=2
	v_or_b32_sdwa v2, v2, s75 dst_sel:DWORD dst_unused:UNUSED_PAD src0_sel:BYTE_3 src1_sel:DWORD
	v_cmp_eq_u64_e32 vcc, 0, v[38:39]
	v_cndmask_b32_e32 v7, v2, v7, vcc
; %bb.996:                              ;   in Loop: Header=BB6_124 Depth=2
	s_or_b64 exec, exec, s[22:23]
	v_lshlrev_b32_e32 v14, 8, v30
	v_lshlrev_b32_e32 v2, 24, v62
	v_perm_b32 v3, v54, v43, s80
	v_or3_b32 v38, v3, v2, v14
	v_cmp_ne_u16_sdwa vcc, v43, v39 src0_sel:BYTE_0 src1_sel:DWORD
	v_mov_b32_e32 v3, 0
	v_mov_b32_e32 v2, 0
	s_and_saveexec_b64 s[22:23], vcc
	s_cbranch_execz .LBB6_1002
; %bb.997:                              ;   in Loop: Header=BB6_124 Depth=2
	v_cmp_ne_u16_sdwa vcc, v43, s76 src0_sel:BYTE_0 src1_sel:DWORD
	v_bfrev_b32_e32 v2, 1
	s_and_saveexec_b64 s[56:57], vcc
	s_cbranch_execz .LBB6_1001
; %bb.998:                              ;   in Loop: Header=BB6_124 Depth=2
	v_and_b32_e32 v28, 0x7f, v43
	v_cmp_ne_u32_e32 vcc, s75, v28
	v_mov_b32_e32 v2, 0x7f800001
	s_and_saveexec_b64 s[58:59], vcc
	s_cbranch_execz .LBB6_1000
; %bb.999:                              ;   in Loop: Header=BB6_124 Depth=2
	v_and_b32_e32 v2, 7, v43
	v_ffbh_u32_e32 v2, v2
	v_min_u32_e32 v2, 32, v2
	v_subrev_u32_e32 v30, 28, v2
	v_cmp_gt_u32_e32 vcc, 8, v28
	v_lshrrev_b32_e32 v29, 3, v28
	v_sub_u32_e32 v2, 29, v2
	v_cndmask_b32_e32 v28, 0, v30, vcc
	v_cndmask_b32_e32 v2, v29, v2, vcc
	v_lshlrev_b64 v[28:29], v28, v[38:39]
	v_lshlrev_b32_e32 v28, 20, v28
	v_lshlrev_b32_e32 v29, 24, v38
	v_and_b32_e32 v28, 0x700000, v28
	v_and_b32_e32 v29, 0x80000000, v29
	v_lshl_add_u32 v2, v2, 23, v31
	v_or3_b32 v2, v29, v2, v28
.LBB6_1000:                             ;   in Loop: Header=BB6_124 Depth=2
	s_or_b64 exec, exec, s[58:59]
.LBB6_1001:                             ;   in Loop: Header=BB6_124 Depth=2
	s_or_b64 exec, exec, s[56:57]
.LBB6_1002:                             ;   in Loop: Header=BB6_124 Depth=2
	s_or_b64 exec, exec, s[22:23]
	v_cmp_ne_u16_sdwa vcc, v17, v39 src0_sel:BYTE_0 src1_sel:DWORD
	s_and_saveexec_b64 s[22:23], vcc
	s_cbranch_execz .LBB6_1008
; %bb.1003:                             ;   in Loop: Header=BB6_124 Depth=2
	v_cmp_ne_u16_sdwa vcc, v17, s76 src0_sel:BYTE_0 src1_sel:DWORD
	v_bfrev_b32_e32 v3, 1
	s_and_saveexec_b64 s[56:57], vcc
	s_cbranch_execz .LBB6_1007
; %bb.1004:                             ;   in Loop: Header=BB6_124 Depth=2
	v_and_b32_e32 v28, 0x7f, v17
	v_cmp_ne_u32_e32 vcc, s75, v28
	v_mov_b32_e32 v3, 0x7f800001
	s_and_saveexec_b64 s[58:59], vcc
	s_cbranch_execz .LBB6_1006
; %bb.1005:                             ;   in Loop: Header=BB6_124 Depth=2
	v_and_b32_e32 v3, 7, v17
	v_ffbh_u32_e32 v3, v3
	v_min_u32_e32 v3, 32, v3
	v_subrev_u32_e32 v30, 28, v3
	v_cmp_gt_u32_e32 vcc, 8, v28
	v_mov_b32_e32 v36, v17
	v_mov_b32_e32 v37, v39
	v_lshrrev_b32_e32 v29, 3, v28
	v_sub_u32_e32 v3, 29, v3
	v_cndmask_b32_e32 v28, 0, v30, vcc
	v_cndmask_b32_e32 v3, v29, v3, vcc
	v_lshlrev_b64 v[28:29], v28, v[36:37]
	v_lshlrev_b32_e32 v28, 20, v28
	v_lshlrev_b32_e32 v29, 24, v36
	v_and_b32_e32 v28, 0x700000, v28
	v_and_b32_e32 v29, 0x80000000, v29
	v_lshl_add_u32 v3, v3, 23, v31
	v_or3_b32 v3, v29, v3, v28
.LBB6_1006:                             ;   in Loop: Header=BB6_124 Depth=2
	s_or_b64 exec, exec, s[58:59]
.LBB6_1007:                             ;   in Loop: Header=BB6_124 Depth=2
	s_or_b64 exec, exec, s[56:57]
.LBB6_1008:                             ;   in Loop: Header=BB6_124 Depth=2
	s_or_b64 exec, exec, s[22:23]
	v_add_f32_e32 v29, v2, v3
	v_and_b32_sdwa v28, v29, s76 dst_sel:DWORD dst_unused:UNUSED_PAD src0_sel:BYTE_3 src1_sel:DWORD
	v_and_b32_e32 v36, 0x7f800000, v29
	v_mov_b32_e32 v37, v39
	v_and_b32_e32 v2, 0x7fffff, v29
	v_mov_b32_e32 v3, v39
	v_or_b32_e32 v30, 0x7e, v28
	v_cmp_ne_u64_e32 vcc, s[42:43], v[36:37]
	s_and_saveexec_b64 s[22:23], vcc
	s_xor_b64 s[56:57], exec, s[22:23]
	s_cbranch_execz .LBB6_1018
; %bb.1009:                             ;   in Loop: Header=BB6_124 Depth=2
	v_and_b32_e32 v36, 0x7fffffff, v29
	v_mov_b32_e32 v37, v39
	v_cmp_gt_u64_e32 vcc, s[44:45], v[36:37]
	s_and_saveexec_b64 s[58:59], vcc
	s_cbranch_execz .LBB6_1017
; %bb.1010:                             ;   in Loop: Header=BB6_124 Depth=2
	v_cmp_ne_u32_e32 vcc, 0, v29
	v_mov_b32_e32 v30, 0
	s_and_saveexec_b64 s[60:61], vcc
	s_cbranch_execz .LBB6_1016
; %bb.1011:                             ;   in Loop: Header=BB6_124 Depth=2
	v_bfe_u32 v29, v29, 23, 8
	v_sub_u32_e32 v36, 0x79, v29
	v_cmp_gt_u32_e32 vcc, s77, v29
	v_add_u32_e32 v30, 0xffffff81, v29
	v_cndmask_b32_e32 v36, 0, v36, vcc
	v_cmp_eq_u32_e32 vcc, 0, v29
	v_mov_b32_e32 v29, 0xffffff82
	v_cndmask_b32_e32 v29, v30, v29, vcc
	v_cndmask_b32_e32 v30, v36, v20, vcc
	v_or_b32_e32 v37, 0x800000, v2
	v_add_u32_e32 v36, 20, v30
	v_cndmask_b32_e32 v2, v37, v2, vcc
	v_lshlrev_b64 v[36:37], v36, -1
	v_not_b32_e32 v36, v36
	v_and_b32_e32 v36, v2, v36
	v_add_u32_e32 v48, 19, v30
	v_lshrrev_b64 v[2:3], v30, v[2:3]
	v_not_b32_e32 v37, v37
	v_lshlrev_b64 v[52:53], v48, 1
	v_lshrrev_b32_e32 v48, 23, v2
	v_and_b32_e32 v37, 0, v37
	v_add3_u32 v48, v30, v29, v48
	v_bfe_u32 v29, v2, 20, 1
	v_add_u32_e32 v29, -1, v29
	v_cmp_eq_u64_e32 vcc, v[36:37], v[52:53]
	v_cndmask_b32_e32 v29, 0, v29, vcc
	v_add_u32_e32 v29, v29, v2
	v_and_b32_e32 v29, 0xfffff, v29
	v_add_co_u32_e32 v2, vcc, v29, v2
	v_add_u32_e32 v30, 6, v48
	v_addc_co_u32_e32 v3, vcc, 0, v3, vcc
	v_cmp_ne_u32_e32 vcc, 0, v30
                                        ; implicit-def: $vgpr29
	s_and_saveexec_b64 s[22:23], vcc
	s_xor_b64 s[22:23], exec, s[22:23]
; %bb.1012:                             ;   in Loop: Header=BB6_124 Depth=2
	v_add_u32_e32 v29, 7, v48
	v_cmp_lt_u64_e32 vcc, s[48:49], v[2:3]
	v_cndmask_b32_e32 v29, v30, v29, vcc
	v_cndmask_b32_e64 v30, 0, 1, vcc
	v_lshrrev_b64 v[2:3], v30, v[2:3]
; %bb.1013:                             ;   in Loop: Header=BB6_124 Depth=2
	s_andn2_saveexec_b64 s[22:23], s[22:23]
; %bb.1014:                             ;   in Loop: Header=BB6_124 Depth=2
	v_bfe_u32 v29, v2, 23, 1
; %bb.1015:                             ;   in Loop: Header=BB6_124 Depth=2
	s_or_b64 exec, exec, s[22:23]
	v_lshrrev_b64 v[2:3], 20, v[2:3]
	v_cmp_gt_i32_e32 vcc, 16, v29
	v_cndmask_b32_e32 v3, 0, v3, vcc
	v_cndmask_b32_e32 v2, 7, v2, vcc
	v_cmp_eq_u64_e64 s[22:23], 0, v[2:3]
	v_min_i32_e32 v3, 15, v29
	v_cmp_eq_u32_e32 vcc, 0, v29
	v_lshlrev_b32_e32 v3, 3, v3
	v_and_or_b32 v2, v2, 7, v3
	s_and_b64 s[22:23], vcc, s[22:23]
	v_cndmask_b32_e64 v2, v2, 0, s[22:23]
	v_accvgpr_read_b32 v53, a45
	v_or_b32_e32 v30, v2, v28
	v_accvgpr_read_b32 v52, a44
.LBB6_1016:                             ;   in Loop: Header=BB6_124 Depth=2
	s_or_b64 exec, exec, s[60:61]
.LBB6_1017:                             ;   in Loop: Header=BB6_124 Depth=2
	s_or_b64 exec, exec, s[58:59]
                                        ; implicit-def: $vgpr29
                                        ; implicit-def: $vgpr2_vgpr3
.LBB6_1018:                             ;   in Loop: Header=BB6_124 Depth=2
	s_andn2_saveexec_b64 s[22:23], s[56:57]
; %bb.1019:                             ;   in Loop: Header=BB6_124 Depth=2
	v_or_b32_sdwa v28, v29, s75 dst_sel:DWORD dst_unused:UNUSED_PAD src0_sel:BYTE_3 src1_sel:DWORD
	v_cmp_eq_u64_e32 vcc, 0, v[2:3]
	v_cndmask_b32_e32 v30, v28, v30, vcc
; %bb.1020:                             ;   in Loop: Header=BB6_124 Depth=2
	s_or_b64 exec, exec, s[22:23]
	v_lshrrev_b16_e32 v2, 8, v14
	v_cmp_ne_u16_e32 vcc, 0, v2
	v_mov_b32_e32 v3, 0
	v_mov_b32_e32 v28, 0
	s_and_saveexec_b64 s[22:23], vcc
	s_cbranch_execz .LBB6_1026
; %bb.1021:                             ;   in Loop: Header=BB6_124 Depth=2
	v_cmp_ne_u16_e32 vcc, s76, v2
	v_bfrev_b32_e32 v28, 1
	s_and_saveexec_b64 s[56:57], vcc
	s_cbranch_execz .LBB6_1025
; %bb.1022:                             ;   in Loop: Header=BB6_124 Depth=2
	v_and_b32_e32 v29, 0x7f, v2
	v_cmp_ne_u32_e32 vcc, s75, v29
	v_mov_b32_e32 v28, 0x7f800001
	s_and_saveexec_b64 s[58:59], vcc
	s_cbranch_execz .LBB6_1024
; %bb.1023:                             ;   in Loop: Header=BB6_124 Depth=2
	v_and_b32_e32 v28, 7, v2
	v_ffbh_u32_e32 v36, v28
	v_min_u32_e32 v49, 32, v36
	v_subrev_u32_e32 v36, 28, v49
	v_lshlrev_b64 v[36:37], v36, v[2:3]
	v_lshrrev_b32_e32 v48, 3, v29
	v_sub_u32_e32 v2, 29, v49
	v_and_b32_e32 v36, 7, v36
	v_cmp_gt_u32_e32 vcc, 8, v29
	v_cndmask_b32_e32 v2, v48, v2, vcc
	v_cndmask_b32_e32 v28, v28, v36, vcc
	v_lshlrev_b32_e32 v14, 16, v14
	v_lshlrev_b32_e32 v28, 20, v28
	v_and_b32_e32 v14, 0x80000000, v14
	v_lshl_add_u32 v2, v2, 23, v31
	v_or3_b32 v28, v14, v2, v28
.LBB6_1024:                             ;   in Loop: Header=BB6_124 Depth=2
	s_or_b64 exec, exec, s[58:59]
.LBB6_1025:                             ;   in Loop: Header=BB6_124 Depth=2
	s_or_b64 exec, exec, s[56:57]
.LBB6_1026:                             ;   in Loop: Header=BB6_124 Depth=2
	s_or_b64 exec, exec, s[22:23]
	v_mov_b32_e32 v2, v17
	v_lshrrev_b16_e32 v14, 8, v2
	v_cmp_ne_u16_e32 vcc, 0, v14
	s_and_saveexec_b64 s[22:23], vcc
	s_cbranch_execz .LBB6_1032
; %bb.1027:                             ;   in Loop: Header=BB6_124 Depth=2
	v_cmp_ne_u16_e32 vcc, s76, v14
	v_bfrev_b32_e32 v3, 1
	s_and_saveexec_b64 s[56:57], vcc
	s_cbranch_execz .LBB6_1031
; %bb.1028:                             ;   in Loop: Header=BB6_124 Depth=2
	v_and_b32_e32 v29, 0x7f, v14
	v_cmp_ne_u32_e32 vcc, s75, v29
	v_mov_b32_e32 v3, 0x7f800001
	s_and_saveexec_b64 s[58:59], vcc
	s_cbranch_execz .LBB6_1030
; %bb.1029:                             ;   in Loop: Header=BB6_124 Depth=2
	v_and_b32_e32 v3, 7, v14
	v_ffbh_u32_e32 v36, v3
	v_min_u32_e32 v49, 32, v36
	v_subrev_u32_e32 v36, 28, v49
	v_lshlrev_b64 v[36:37], v36, v[14:15]
	v_lshrrev_b32_e32 v48, 3, v29
	v_sub_u32_e32 v14, 29, v49
	v_and_b32_e32 v36, 7, v36
	v_cmp_gt_u32_e32 vcc, 8, v29
	v_cndmask_b32_e32 v14, v48, v14, vcc
	v_cndmask_b32_e32 v3, v3, v36, vcc
	v_lshlrev_b32_e32 v2, 16, v2
	v_lshlrev_b32_e32 v3, 20, v3
	v_and_b32_e32 v2, 0x80000000, v2
	v_lshl_add_u32 v14, v14, 23, v31
	v_or3_b32 v3, v2, v14, v3
.LBB6_1030:                             ;   in Loop: Header=BB6_124 Depth=2
	s_or_b64 exec, exec, s[58:59]
.LBB6_1031:                             ;   in Loop: Header=BB6_124 Depth=2
	s_or_b64 exec, exec, s[56:57]
.LBB6_1032:                             ;   in Loop: Header=BB6_124 Depth=2
	s_or_b64 exec, exec, s[22:23]
	v_add_f32_e32 v28, v28, v3
	v_and_b32_sdwa v14, v28, s76 dst_sel:DWORD dst_unused:UNUSED_PAD src0_sel:BYTE_3 src1_sel:DWORD
	v_and_b32_e32 v36, 0x7f800000, v28
	v_mov_b32_e32 v37, v39
	v_and_b32_e32 v2, 0x7fffff, v28
	v_mov_b32_e32 v3, v39
	v_or_b32_e32 v48, 0x7e, v14
	v_cmp_ne_u64_e32 vcc, s[42:43], v[36:37]
	s_and_saveexec_b64 s[22:23], vcc
	s_xor_b64 s[56:57], exec, s[22:23]
	s_cbranch_execz .LBB6_1042
; %bb.1033:                             ;   in Loop: Header=BB6_124 Depth=2
	v_and_b32_e32 v36, 0x7fffffff, v28
	v_mov_b32_e32 v37, v39
	v_cmp_gt_u64_e32 vcc, s[44:45], v[36:37]
	s_and_saveexec_b64 s[58:59], vcc
	s_cbranch_execz .LBB6_1041
; %bb.1034:                             ;   in Loop: Header=BB6_124 Depth=2
	v_cmp_ne_u32_e32 vcc, 0, v28
	v_mov_b32_e32 v48, 0
	s_and_saveexec_b64 s[60:61], vcc
	s_cbranch_execz .LBB6_1040
; %bb.1035:                             ;   in Loop: Header=BB6_124 Depth=2
	v_bfe_u32 v28, v28, 23, 8
	v_sub_u32_e32 v36, 0x79, v28
	v_cmp_gt_u32_e32 vcc, s77, v28
	v_cndmask_b32_e32 v36, 0, v36, vcc
	v_cmp_eq_u32_e32 vcc, 0, v28
	v_add_u32_e32 v29, 0xffffff81, v28
	v_mov_b32_e32 v28, 0xffffff82
	v_cndmask_b32_e32 v49, v36, v20, vcc
	v_cndmask_b32_e32 v48, v29, v28, vcc
	v_add_u32_e32 v28, 20, v49
	v_or_b32_e32 v37, 0x800000, v2
	v_lshlrev_b64 v[28:29], v28, -1
	v_cndmask_b32_e32 v2, v37, v2, vcc
	v_not_b32_e32 v28, v28
	v_and_b32_e32 v36, v2, v28
	v_add_u32_e32 v28, 19, v49
	v_lshrrev_b64 v[2:3], v49, v[2:3]
	v_not_b32_e32 v29, v29
	v_lshlrev_b64 v[52:53], v28, 1
	v_lshrrev_b32_e32 v28, 23, v2
	v_and_b32_e32 v37, 0, v29
	v_add3_u32 v48, v49, v48, v28
	v_bfe_u32 v28, v2, 20, 1
	v_add_u32_e32 v28, -1, v28
	v_cmp_eq_u64_e32 vcc, v[36:37], v[52:53]
	v_cndmask_b32_e32 v28, 0, v28, vcc
	v_add_u32_e32 v28, v28, v2
	v_and_b32_e32 v28, 0xfffff, v28
	v_add_co_u32_e32 v2, vcc, v28, v2
	v_add_u32_e32 v29, 6, v48
	v_addc_co_u32_e32 v3, vcc, 0, v3, vcc
	v_cmp_ne_u32_e32 vcc, 0, v29
                                        ; implicit-def: $vgpr28
	s_and_saveexec_b64 s[22:23], vcc
	s_xor_b64 s[22:23], exec, s[22:23]
; %bb.1036:                             ;   in Loop: Header=BB6_124 Depth=2
	v_add_u32_e32 v28, 7, v48
	v_cmp_lt_u64_e32 vcc, s[48:49], v[2:3]
	v_cndmask_b32_e32 v28, v29, v28, vcc
	v_cndmask_b32_e64 v29, 0, 1, vcc
	v_lshrrev_b64 v[2:3], v29, v[2:3]
; %bb.1037:                             ;   in Loop: Header=BB6_124 Depth=2
	s_andn2_saveexec_b64 s[22:23], s[22:23]
; %bb.1038:                             ;   in Loop: Header=BB6_124 Depth=2
	v_bfe_u32 v28, v2, 23, 1
; %bb.1039:                             ;   in Loop: Header=BB6_124 Depth=2
	s_or_b64 exec, exec, s[22:23]
	v_lshrrev_b64 v[2:3], 20, v[2:3]
	v_cmp_gt_i32_e32 vcc, 16, v28
	v_cndmask_b32_e32 v3, 0, v3, vcc
	v_cndmask_b32_e32 v2, 7, v2, vcc
	v_cmp_eq_u64_e64 s[22:23], 0, v[2:3]
	v_min_i32_e32 v3, 15, v28
	v_cmp_eq_u32_e32 vcc, 0, v28
	v_lshlrev_b32_e32 v3, 3, v3
	v_and_or_b32 v2, v2, 7, v3
	s_and_b64 s[22:23], vcc, s[22:23]
	v_cndmask_b32_e64 v2, v2, 0, s[22:23]
	v_accvgpr_read_b32 v53, a45
	v_or_b32_e32 v48, v2, v14
	v_accvgpr_read_b32 v52, a44
.LBB6_1040:                             ;   in Loop: Header=BB6_124 Depth=2
	s_or_b64 exec, exec, s[60:61]
.LBB6_1041:                             ;   in Loop: Header=BB6_124 Depth=2
	s_or_b64 exec, exec, s[58:59]
                                        ; implicit-def: $vgpr28
                                        ; implicit-def: $vgpr2_vgpr3
.LBB6_1042:                             ;   in Loop: Header=BB6_124 Depth=2
	s_andn2_saveexec_b64 s[22:23], s[56:57]
; %bb.1043:                             ;   in Loop: Header=BB6_124 Depth=2
	v_or_b32_sdwa v14, v28, s75 dst_sel:DWORD dst_unused:UNUSED_PAD src0_sel:BYTE_3 src1_sel:DWORD
	v_cmp_eq_u64_e32 vcc, 0, v[2:3]
	v_cndmask_b32_e32 v48, v14, v48, vcc
; %bb.1044:                             ;   in Loop: Header=BB6_124 Depth=2
	s_or_b64 exec, exec, s[22:23]
	v_lshrrev_b32_e32 v2, 16, v38
	v_cmp_ne_u16_sdwa vcc, v2, v39 src0_sel:BYTE_0 src1_sel:DWORD
	v_mov_b32_e32 v3, 0
	v_mov_b32_e32 v14, 0
	s_and_saveexec_b64 s[22:23], vcc
	s_cbranch_execz .LBB6_1050
; %bb.1045:                             ;   in Loop: Header=BB6_124 Depth=2
	v_cmp_ne_u16_sdwa vcc, v2, s76 src0_sel:BYTE_0 src1_sel:DWORD
	v_bfrev_b32_e32 v14, 1
	s_and_saveexec_b64 s[56:57], vcc
	s_cbranch_execz .LBB6_1049
; %bb.1046:                             ;   in Loop: Header=BB6_124 Depth=2
	v_bfe_u32 v28, v38, 16, 7
	v_cmp_ne_u32_e32 vcc, s75, v28
	v_mov_b32_e32 v14, 0x7f800001
	s_and_saveexec_b64 s[58:59], vcc
	s_cbranch_execz .LBB6_1048
; %bb.1047:                             ;   in Loop: Header=BB6_124 Depth=2
	v_and_b32_e32 v14, 7, v2
	v_ffbh_u32_e32 v36, v14
	v_min_u32_e32 v49, 32, v36
	v_subrev_u32_e32 v36, 28, v49
	v_lshlrev_b64 v[36:37], v36, v[2:3]
	v_lshrrev_b32_e32 v29, 3, v28
	v_sub_u32_e32 v37, 29, v49
	v_and_b32_e32 v36, 7, v36
	v_cmp_gt_u32_e32 vcc, 8, v28
	v_cndmask_b32_e32 v28, v29, v37, vcc
	v_cndmask_b32_e32 v14, v14, v36, vcc
	v_lshlrev_b32_e32 v2, 24, v2
	v_lshlrev_b32_e32 v14, 20, v14
	v_and_b32_e32 v2, 0x80000000, v2
	v_lshl_add_u32 v28, v28, 23, v31
	v_or3_b32 v14, v2, v28, v14
.LBB6_1048:                             ;   in Loop: Header=BB6_124 Depth=2
	s_or_b64 exec, exec, s[58:59]
.LBB6_1049:                             ;   in Loop: Header=BB6_124 Depth=2
	s_or_b64 exec, exec, s[56:57]
.LBB6_1050:                             ;   in Loop: Header=BB6_124 Depth=2
	s_or_b64 exec, exec, s[22:23]
	v_lshrrev_b32_e32 v2, 16, v17
	v_cmp_ne_u16_sdwa vcc, v2, v39 src0_sel:BYTE_0 src1_sel:DWORD
	s_and_saveexec_b64 s[22:23], vcc
	s_cbranch_execz .LBB6_1056
; %bb.1051:                             ;   in Loop: Header=BB6_124 Depth=2
	v_cmp_ne_u16_sdwa vcc, v2, s76 src0_sel:BYTE_0 src1_sel:DWORD
	v_bfrev_b32_e32 v3, 1
	s_and_saveexec_b64 s[56:57], vcc
	s_cbranch_execz .LBB6_1055
; %bb.1052:                             ;   in Loop: Header=BB6_124 Depth=2
	v_bfe_u32 v28, v17, 16, 7
	v_cmp_ne_u32_e32 vcc, s75, v28
	v_mov_b32_e32 v3, 0x7f800001
	s_and_saveexec_b64 s[58:59], vcc
	s_cbranch_execz .LBB6_1054
; %bb.1053:                             ;   in Loop: Header=BB6_124 Depth=2
	v_and_b32_e32 v29, 7, v2
	v_ffbh_u32_e32 v3, v29
	v_min_u32_e32 v37, 32, v3
	v_subrev_u32_e32 v3, 28, v37
	v_lshlrev_b64 v[2:3], v3, v[2:3]
	v_lshrrev_b32_e32 v36, 3, v28
	v_sub_u32_e32 v3, 29, v37
	v_and_b32_e32 v2, 7, v2
	v_cmp_gt_u32_e32 vcc, 8, v28
	v_cndmask_b32_e32 v3, v36, v3, vcc
	v_cndmask_b32_e32 v2, v29, v2, vcc
	v_lshlrev_b32_e32 v28, 8, v17
	v_lshlrev_b32_e32 v2, 20, v2
	v_and_b32_e32 v28, 0x80000000, v28
	v_lshl_add_u32 v3, v3, 23, v31
	v_or3_b32 v3, v28, v3, v2
.LBB6_1054:                             ;   in Loop: Header=BB6_124 Depth=2
	s_or_b64 exec, exec, s[58:59]
.LBB6_1055:                             ;   in Loop: Header=BB6_124 Depth=2
	s_or_b64 exec, exec, s[56:57]
.LBB6_1056:                             ;   in Loop: Header=BB6_124 Depth=2
	s_or_b64 exec, exec, s[22:23]
	v_add_f32_e32 v28, v14, v3
	v_and_b32_sdwa v14, v28, s76 dst_sel:DWORD dst_unused:UNUSED_PAD src0_sel:BYTE_3 src1_sel:DWORD
	v_and_b32_e32 v36, 0x7f800000, v28
	v_mov_b32_e32 v37, v39
	v_and_b32_e32 v2, 0x7fffff, v28
	v_mov_b32_e32 v3, v39
	v_or_b32_e32 v49, 0x7e, v14
	v_cmp_ne_u64_e32 vcc, s[42:43], v[36:37]
	s_and_saveexec_b64 s[22:23], vcc
	s_xor_b64 s[56:57], exec, s[22:23]
	s_cbranch_execz .LBB6_1066
; %bb.1057:                             ;   in Loop: Header=BB6_124 Depth=2
	v_and_b32_e32 v36, 0x7fffffff, v28
	v_mov_b32_e32 v37, v39
	v_cmp_gt_u64_e32 vcc, s[44:45], v[36:37]
	s_and_saveexec_b64 s[58:59], vcc
	s_cbranch_execz .LBB6_1065
; %bb.1058:                             ;   in Loop: Header=BB6_124 Depth=2
	v_cmp_ne_u32_e32 vcc, 0, v28
	v_mov_b32_e32 v49, 0
	s_and_saveexec_b64 s[60:61], vcc
	s_cbranch_execz .LBB6_1064
; %bb.1059:                             ;   in Loop: Header=BB6_124 Depth=2
	v_bfe_u32 v28, v28, 23, 8
	v_sub_u32_e32 v36, 0x79, v28
	v_cmp_gt_u32_e32 vcc, s77, v28
	v_cndmask_b32_e32 v36, 0, v36, vcc
	v_cmp_eq_u32_e32 vcc, 0, v28
	v_add_u32_e32 v29, 0xffffff81, v28
	v_mov_b32_e32 v28, 0xffffff82
	v_cndmask_b32_e32 v54, v36, v20, vcc
	v_cndmask_b32_e32 v49, v29, v28, vcc
	v_add_u32_e32 v28, 20, v54
	v_or_b32_e32 v37, 0x800000, v2
	v_lshlrev_b64 v[28:29], v28, -1
	v_cndmask_b32_e32 v2, v37, v2, vcc
	v_not_b32_e32 v28, v28
	v_and_b32_e32 v36, v2, v28
	v_add_u32_e32 v28, 19, v54
	v_lshrrev_b64 v[2:3], v54, v[2:3]
	v_not_b32_e32 v29, v29
	v_lshlrev_b64 v[52:53], v28, 1
	v_lshrrev_b32_e32 v28, 23, v2
	v_and_b32_e32 v37, 0, v29
	v_add3_u32 v49, v54, v49, v28
	v_bfe_u32 v28, v2, 20, 1
	v_add_u32_e32 v28, -1, v28
	v_cmp_eq_u64_e32 vcc, v[36:37], v[52:53]
	v_cndmask_b32_e32 v28, 0, v28, vcc
	v_add_u32_e32 v28, v28, v2
	v_and_b32_e32 v28, 0xfffff, v28
	v_add_co_u32_e32 v2, vcc, v28, v2
	v_add_u32_e32 v29, 6, v49
	v_addc_co_u32_e32 v3, vcc, 0, v3, vcc
	v_cmp_ne_u32_e32 vcc, 0, v29
                                        ; implicit-def: $vgpr28
	s_and_saveexec_b64 s[22:23], vcc
	s_xor_b64 s[22:23], exec, s[22:23]
; %bb.1060:                             ;   in Loop: Header=BB6_124 Depth=2
	v_add_u32_e32 v28, 7, v49
	v_cmp_lt_u64_e32 vcc, s[48:49], v[2:3]
	v_cndmask_b32_e32 v28, v29, v28, vcc
	v_cndmask_b32_e64 v29, 0, 1, vcc
	v_lshrrev_b64 v[2:3], v29, v[2:3]
; %bb.1061:                             ;   in Loop: Header=BB6_124 Depth=2
	s_andn2_saveexec_b64 s[22:23], s[22:23]
; %bb.1062:                             ;   in Loop: Header=BB6_124 Depth=2
	v_bfe_u32 v28, v2, 23, 1
; %bb.1063:                             ;   in Loop: Header=BB6_124 Depth=2
	s_or_b64 exec, exec, s[22:23]
	v_lshrrev_b64 v[2:3], 20, v[2:3]
	v_cmp_gt_i32_e32 vcc, 16, v28
	v_cndmask_b32_e32 v3, 0, v3, vcc
	v_cndmask_b32_e32 v2, 7, v2, vcc
	v_cmp_eq_u64_e64 s[22:23], 0, v[2:3]
	v_min_i32_e32 v3, 15, v28
	v_lshlrev_b32_e32 v3, 3, v3
	v_cmp_eq_u32_e32 vcc, 0, v28
	v_and_b32_e32 v3, 0xf8, v3
	v_and_or_b32 v2, v2, 7, v3
	s_and_b64 s[22:23], vcc, s[22:23]
	v_cndmask_b32_e64 v2, v2, 0, s[22:23]
	v_accvgpr_read_b32 v53, a45
	v_or_b32_e32 v49, v2, v14
	v_accvgpr_read_b32 v52, a44
.LBB6_1064:                             ;   in Loop: Header=BB6_124 Depth=2
	s_or_b64 exec, exec, s[60:61]
.LBB6_1065:                             ;   in Loop: Header=BB6_124 Depth=2
	s_or_b64 exec, exec, s[58:59]
                                        ; implicit-def: $vgpr28
                                        ; implicit-def: $vgpr2_vgpr3
.LBB6_1066:                             ;   in Loop: Header=BB6_124 Depth=2
	s_andn2_saveexec_b64 s[22:23], s[56:57]
; %bb.1067:                             ;   in Loop: Header=BB6_124 Depth=2
	v_or_b32_sdwa v14, v28, s75 dst_sel:DWORD dst_unused:UNUSED_PAD src0_sel:BYTE_3 src1_sel:DWORD
	v_cmp_eq_u64_e32 vcc, 0, v[2:3]
	v_cndmask_b32_e32 v49, v14, v49, vcc
; %bb.1068:                             ;   in Loop: Header=BB6_124 Depth=2
	s_or_b64 exec, exec, s[22:23]
	v_cmp_lt_u32_e32 vcc, s47, v38
	v_mov_b32_e32 v3, 0
	v_mov_b32_e32 v14, 0
	s_and_saveexec_b64 s[22:23], vcc
	s_cbranch_execz .LBB6_1074
; %bb.1069:                             ;   in Loop: Header=BB6_124 Depth=2
	v_lshrrev_b32_e32 v2, 24, v38
	v_cmp_ne_u32_sdwa vcc, v38, s76 src0_sel:BYTE_3 src1_sel:DWORD
	v_bfrev_b32_e32 v14, 1
	s_and_saveexec_b64 s[56:57], vcc
	s_cbranch_execz .LBB6_1073
; %bb.1070:                             ;   in Loop: Header=BB6_124 Depth=2
	v_bfe_u32 v28, v38, 24, 7
	v_cmp_ne_u32_e32 vcc, s75, v28
	v_mov_b32_e32 v14, 0x7f800001
	s_and_saveexec_b64 s[58:59], vcc
	s_cbranch_execz .LBB6_1072
; %bb.1071:                             ;   in Loop: Header=BB6_124 Depth=2
	v_and_b32_e32 v14, 7, v2
	v_ffbh_u32_e32 v36, v14
	v_min_u32_e32 v52, 32, v36
	v_subrev_u32_e32 v36, 28, v52
	v_lshlrev_b64 v[36:37], v36, v[2:3]
	v_lshrrev_b32_e32 v29, 3, v28
	v_sub_u32_e32 v2, 29, v52
	v_and_b32_e32 v36, 7, v36
	v_cmp_gt_u32_e32 vcc, 8, v28
	v_mov_b32_e32 v28, 24
	v_cndmask_b32_e32 v2, v29, v2, vcc
	v_cndmask_b32_e32 v14, v14, v36, vcc
	v_lshlrev_b32_sdwa v28, v28, v38 dst_sel:DWORD dst_unused:UNUSED_PAD src0_sel:DWORD src1_sel:BYTE_3
	v_accvgpr_read_b32 v53, a45
	v_lshlrev_b32_e32 v14, 20, v14
	v_and_b32_e32 v28, 0x80000000, v28
	v_lshl_add_u32 v2, v2, 23, v31
	v_accvgpr_read_b32 v52, a44
	v_or3_b32 v14, v28, v2, v14
.LBB6_1072:                             ;   in Loop: Header=BB6_124 Depth=2
	s_or_b64 exec, exec, s[58:59]
.LBB6_1073:                             ;   in Loop: Header=BB6_124 Depth=2
	s_or_b64 exec, exec, s[56:57]
.LBB6_1074:                             ;   in Loop: Header=BB6_124 Depth=2
	s_or_b64 exec, exec, s[22:23]
	v_cmp_lt_u64_e32 vcc, s[46:47], v[16:17]
	s_and_saveexec_b64 s[22:23], vcc
	s_cbranch_execz .LBB6_1080
; %bb.1075:                             ;   in Loop: Header=BB6_124 Depth=2
	v_lshrrev_b32_e32 v2, 24, v17
	v_cmp_ne_u32_e32 vcc, s76, v2
	v_bfrev_b32_e32 v3, 1
	s_and_saveexec_b64 s[56:57], vcc
	s_cbranch_execz .LBB6_1079
; %bb.1076:                             ;   in Loop: Header=BB6_124 Depth=2
	v_bfe_u32 v16, v17, 24, 7
	v_cmp_ne_u32_e32 vcc, s75, v16
	v_mov_b32_e32 v3, 0x7f800001
	s_and_saveexec_b64 s[58:59], vcc
	s_cbranch_execz .LBB6_1078
; %bb.1077:                             ;   in Loop: Header=BB6_124 Depth=2
	v_and_b32_e32 v3, 7, v2
	v_ffbh_u32_e32 v28, v3
	v_min_u32_e32 v36, 32, v28
	v_subrev_u32_e32 v28, 28, v36
	v_lshlrev_b64 v[28:29], v28, v[2:3]
	v_lshrrev_b32_e32 v17, 3, v16
	v_sub_u32_e32 v29, 29, v36
	v_and_b32_e32 v28, 7, v28
	v_cmp_gt_u32_e32 vcc, 8, v16
	v_cndmask_b32_e32 v16, v17, v29, vcc
	v_cndmask_b32_e32 v3, v3, v28, vcc
	v_lshlrev_b32_e32 v2, 24, v2
	v_lshlrev_b32_e32 v3, 20, v3
	v_and_b32_e32 v2, 0x80000000, v2
	v_lshl_add_u32 v16, v16, 23, v31
	v_or3_b32 v3, v2, v16, v3
.LBB6_1078:                             ;   in Loop: Header=BB6_124 Depth=2
	s_or_b64 exec, exec, s[58:59]
.LBB6_1079:                             ;   in Loop: Header=BB6_124 Depth=2
	s_or_b64 exec, exec, s[56:57]
.LBB6_1080:                             ;   in Loop: Header=BB6_124 Depth=2
	s_or_b64 exec, exec, s[22:23]
	v_add_f32_e32 v2, v14, v3
	v_and_b32_sdwa v14, v2, s76 dst_sel:DWORD dst_unused:UNUSED_PAD src0_sel:BYTE_3 src1_sel:DWORD
	v_and_b32_e32 v28, 0x7f800000, v2
	v_mov_b32_e32 v29, v39
	v_and_b32_e32 v38, 0x7fffff, v2
	v_or_b32_e32 v16, 0x7e, v14
	v_cmp_ne_u64_e32 vcc, s[42:43], v[28:29]
	s_and_saveexec_b64 s[22:23], vcc
	s_xor_b64 s[56:57], exec, s[22:23]
	s_cbranch_execz .LBB6_1090
; %bb.1081:                             ;   in Loop: Header=BB6_124 Depth=2
	v_and_b32_e32 v28, 0x7fffffff, v2
	v_mov_b32_e32 v29, v39
	v_cmp_gt_u64_e32 vcc, s[44:45], v[28:29]
	s_and_saveexec_b64 s[58:59], vcc
	s_cbranch_execz .LBB6_1089
; %bb.1082:                             ;   in Loop: Header=BB6_124 Depth=2
	v_cmp_ne_u32_e32 vcc, 0, v2
	v_mov_b32_e32 v16, 0
	s_and_saveexec_b64 s[60:61], vcc
	s_cbranch_execz .LBB6_1088
; %bb.1083:                             ;   in Loop: Header=BB6_124 Depth=2
	v_bfe_u32 v2, v2, 23, 8
	v_sub_u32_e32 v16, 0x79, v2
	v_cmp_gt_u32_e32 vcc, s77, v2
	v_cndmask_b32_e32 v16, 0, v16, vcc
	v_cmp_eq_u32_e32 vcc, 0, v2
	v_add_u32_e32 v3, 0xffffff81, v2
	v_or_b32_e32 v17, 0x800000, v38
	v_mov_b32_e32 v2, 0xffffff82
	v_cndmask_b32_e32 v16, v16, v20, vcc
	v_cndmask_b32_e32 v28, v3, v2, vcc
	;; [unrolled: 1-line block ×3, first 2 shown]
	v_add_u32_e32 v2, 20, v16
	v_lshlrev_b64 v[2:3], v2, -1
	v_add_u32_e32 v17, 19, v16
	v_lshrrev_b64 v[52:53], v16, v[38:39]
	v_not_b32_e32 v3, v3
	v_not_b32_e32 v2, v2
	v_lshlrev_b64 v[36:37], v17, 1
	v_lshrrev_b32_e32 v17, 23, v52
	v_and_b32_e32 v3, 0, v3
	v_and_b32_e32 v2, v38, v2
	v_add3_u32 v28, v16, v28, v17
	v_bfe_u32 v16, v52, 20, 1
	v_add_u32_e32 v16, -1, v16
	v_cmp_eq_u64_e32 vcc, v[2:3], v[36:37]
	v_cndmask_b32_e32 v2, 0, v16, vcc
	v_add_u32_e32 v2, v2, v52
	v_and_b32_e32 v2, 0xfffff, v2
	v_add_co_u32_e32 v2, vcc, v2, v52
	v_add_u32_e32 v17, 6, v28
	v_addc_co_u32_e32 v3, vcc, 0, v53, vcc
	v_cmp_ne_u32_e32 vcc, 0, v17
                                        ; implicit-def: $vgpr16
	s_and_saveexec_b64 s[22:23], vcc
	s_xor_b64 s[22:23], exec, s[22:23]
; %bb.1084:                             ;   in Loop: Header=BB6_124 Depth=2
	v_add_u32_e32 v16, 7, v28
	v_cmp_lt_u64_e32 vcc, s[48:49], v[2:3]
	v_cndmask_b32_e32 v16, v17, v16, vcc
	v_cndmask_b32_e64 v17, 0, 1, vcc
	v_lshrrev_b64 v[2:3], v17, v[2:3]
; %bb.1085:                             ;   in Loop: Header=BB6_124 Depth=2
	s_andn2_saveexec_b64 s[22:23], s[22:23]
; %bb.1086:                             ;   in Loop: Header=BB6_124 Depth=2
	v_bfe_u32 v16, v2, 23, 1
; %bb.1087:                             ;   in Loop: Header=BB6_124 Depth=2
	s_or_b64 exec, exec, s[22:23]
	v_lshrrev_b64 v[2:3], 20, v[2:3]
	v_cmp_gt_i32_e32 vcc, 16, v16
	v_cndmask_b32_e32 v3, 0, v3, vcc
	v_cndmask_b32_e32 v2, 7, v2, vcc
	v_cmp_eq_u64_e64 s[22:23], 0, v[2:3]
	v_min_i32_e32 v3, 15, v16
	v_lshlrev_b32_e32 v3, 3, v3
	v_cmp_eq_u32_e32 vcc, 0, v16
	v_and_b32_e32 v3, 0xf8, v3
	v_and_or_b32 v2, v2, 7, v3
	s_and_b64 s[22:23], vcc, s[22:23]
	v_cndmask_b32_e64 v2, v2, 0, s[22:23]
	v_accvgpr_read_b32 v53, a45
	v_or_b32_e32 v16, v2, v14
	v_accvgpr_read_b32 v52, a44
.LBB6_1088:                             ;   in Loop: Header=BB6_124 Depth=2
	s_or_b64 exec, exec, s[60:61]
.LBB6_1089:                             ;   in Loop: Header=BB6_124 Depth=2
	s_or_b64 exec, exec, s[58:59]
                                        ; implicit-def: $vgpr2
.LBB6_1090:                             ;   in Loop: Header=BB6_124 Depth=2
	s_andn2_saveexec_b64 s[22:23], s[56:57]
; %bb.1091:                             ;   in Loop: Header=BB6_124 Depth=2
	v_or_b32_sdwa v2, v2, s75 dst_sel:DWORD dst_unused:UNUSED_PAD src0_sel:BYTE_3 src1_sel:DWORD
	v_cmp_eq_u64_e32 vcc, 0, v[38:39]
	v_cndmask_b32_e32 v16, v2, v16, vcc
; %bb.1092:                             ;   in Loop: Header=BB6_124 Depth=2
	s_or_b64 exec, exec, s[22:23]
	v_lshlrev_b32_e32 v14, 8, v50
	v_cmp_ne_u16_sdwa vcc, v34, v39 src0_sel:BYTE_0 src1_sel:DWORD
	v_mov_b32_e32 v2, 0
	v_mov_b32_e32 v3, 0
	s_and_saveexec_b64 s[22:23], vcc
	s_cbranch_execz .LBB6_1098
; %bb.1093:                             ;   in Loop: Header=BB6_124 Depth=2
	v_cmp_ne_u16_sdwa vcc, v34, s76 src0_sel:BYTE_0 src1_sel:DWORD
	v_bfrev_b32_e32 v3, 1
	s_and_saveexec_b64 s[56:57], vcc
	s_cbranch_execz .LBB6_1097
; %bb.1094:                             ;   in Loop: Header=BB6_124 Depth=2
	v_and_b32_e32 v17, 0x7f, v34
	v_cmp_ne_u32_e32 vcc, s75, v17
	v_mov_b32_e32 v3, 0x7f800001
	s_and_saveexec_b64 s[58:59], vcc
	s_cbranch_execz .LBB6_1096
; %bb.1095:                             ;   in Loop: Header=BB6_124 Depth=2
	v_and_b32_e32 v3, 7, v34
	v_ffbh_u32_e32 v3, v3
	v_min_u32_e32 v3, 32, v3
	v_subrev_u32_e32 v36, 28, v3
	v_cmp_gt_u32_e32 vcc, 8, v17
	v_lshrrev_b32_e32 v29, 3, v17
	v_perm_b32 v28, v14, v34, s78
	v_sub_u32_e32 v3, 29, v3
	v_cndmask_b32_e32 v17, 0, v36, vcc
	v_cndmask_b32_e32 v3, v29, v3, vcc
	v_lshlrev_b64 v[28:29], v17, v[28:29]
	v_lshlrev_b32_e32 v17, 20, v28
	v_lshlrev_b32_e32 v28, 24, v34
	v_and_b32_e32 v17, 0x700000, v17
	v_and_b32_e32 v28, 0x80000000, v28
	v_lshl_add_u32 v3, v3, 23, v31
	v_or3_b32 v3, v28, v3, v17
.LBB6_1096:                             ;   in Loop: Header=BB6_124 Depth=2
	s_or_b64 exec, exec, s[58:59]
.LBB6_1097:                             ;   in Loop: Header=BB6_124 Depth=2
	s_or_b64 exec, exec, s[56:57]
.LBB6_1098:                             ;   in Loop: Header=BB6_124 Depth=2
	s_or_b64 exec, exec, s[22:23]
	s_waitcnt vmcnt(0)
	v_cmp_ne_u16_sdwa vcc, v10, v39 src0_sel:BYTE_0 src1_sel:DWORD
	s_and_saveexec_b64 s[22:23], vcc
	s_cbranch_execz .LBB6_1104
; %bb.1099:                             ;   in Loop: Header=BB6_124 Depth=2
	v_cmp_ne_u16_sdwa vcc, v10, s76 src0_sel:BYTE_0 src1_sel:DWORD
	v_bfrev_b32_e32 v2, 1
	s_and_saveexec_b64 s[56:57], vcc
	s_cbranch_execz .LBB6_1103
; %bb.1100:                             ;   in Loop: Header=BB6_124 Depth=2
	v_and_b32_e32 v17, 0x7f, v10
	v_cmp_ne_u32_e32 vcc, s75, v17
	v_mov_b32_e32 v2, 0x7f800001
	s_and_saveexec_b64 s[58:59], vcc
	s_cbranch_execz .LBB6_1102
; %bb.1101:                             ;   in Loop: Header=BB6_124 Depth=2
	v_and_b32_e32 v2, 7, v10
	v_ffbh_u32_e32 v2, v2
	v_min_u32_e32 v2, 32, v2
	v_subrev_u32_e32 v29, 28, v2
	v_cmp_gt_u32_e32 vcc, 8, v17
	v_lshrrev_b32_e32 v28, 3, v17
	v_sub_u32_e32 v2, 29, v2
	v_cndmask_b32_e32 v17, 0, v29, vcc
	v_cndmask_b32_e32 v2, v28, v2, vcc
	v_lshlrev_b64 v[28:29], v17, v[10:11]
	v_lshlrev_b32_e32 v17, 20, v28
	v_lshlrev_b32_e32 v28, 24, v10
	v_and_b32_e32 v17, 0x700000, v17
	v_and_b32_e32 v28, 0x80000000, v28
	v_lshl_add_u32 v2, v2, 23, v31
	v_or3_b32 v2, v28, v2, v17
.LBB6_1102:                             ;   in Loop: Header=BB6_124 Depth=2
	s_or_b64 exec, exec, s[58:59]
.LBB6_1103:                             ;   in Loop: Header=BB6_124 Depth=2
	s_or_b64 exec, exec, s[56:57]
.LBB6_1104:                             ;   in Loop: Header=BB6_124 Depth=2
	s_or_b64 exec, exec, s[22:23]
	v_add_f32_e32 v2, v3, v2
	v_and_b32_sdwa v28, v2, s76 dst_sel:DWORD dst_unused:UNUSED_PAD src0_sel:BYTE_3 src1_sel:DWORD
	v_and_b32_e32 v36, 0x7f800000, v2
	v_mov_b32_e32 v37, v39
	v_and_b32_e32 v38, 0x7fffff, v2
	v_or_b32_e32 v17, 0x7e, v28
	v_cmp_ne_u64_e32 vcc, s[42:43], v[36:37]
	s_and_saveexec_b64 s[22:23], vcc
	s_xor_b64 s[56:57], exec, s[22:23]
	s_cbranch_execz .LBB6_1114
; %bb.1105:                             ;   in Loop: Header=BB6_124 Depth=2
	v_and_b32_e32 v36, 0x7fffffff, v2
	v_mov_b32_e32 v37, v39
	v_cmp_gt_u64_e32 vcc, s[44:45], v[36:37]
	s_and_saveexec_b64 s[58:59], vcc
	s_cbranch_execz .LBB6_1113
; %bb.1106:                             ;   in Loop: Header=BB6_124 Depth=2
	v_cmp_ne_u32_e32 vcc, 0, v2
	v_mov_b32_e32 v17, 0
	s_and_saveexec_b64 s[60:61], vcc
	s_cbranch_execz .LBB6_1112
; %bb.1107:                             ;   in Loop: Header=BB6_124 Depth=2
	v_bfe_u32 v2, v2, 23, 8
	v_sub_u32_e32 v17, 0x79, v2
	v_cmp_gt_u32_e32 vcc, s77, v2
	v_cndmask_b32_e32 v17, 0, v17, vcc
	v_cmp_eq_u32_e32 vcc, 0, v2
	v_add_u32_e32 v3, 0xffffff81, v2
	v_or_b32_e32 v29, 0x800000, v38
	v_mov_b32_e32 v2, 0xffffff82
	v_cndmask_b32_e32 v17, v17, v20, vcc
	v_cndmask_b32_e32 v34, v3, v2, vcc
	;; [unrolled: 1-line block ×3, first 2 shown]
	v_add_u32_e32 v2, 20, v17
	v_lshlrev_b64 v[2:3], v2, -1
	v_add_u32_e32 v29, 19, v17
	v_lshrrev_b64 v[52:53], v17, v[38:39]
	v_not_b32_e32 v3, v3
	v_not_b32_e32 v2, v2
	v_lshlrev_b64 v[36:37], v29, 1
	v_lshrrev_b32_e32 v29, 23, v52
	v_and_b32_e32 v3, 0, v3
	v_and_b32_e32 v2, v38, v2
	v_add3_u32 v34, v17, v34, v29
	v_bfe_u32 v17, v52, 20, 1
	v_add_u32_e32 v17, -1, v17
	v_cmp_eq_u64_e32 vcc, v[2:3], v[36:37]
	v_cndmask_b32_e32 v2, 0, v17, vcc
	v_add_u32_e32 v2, v2, v52
	v_and_b32_e32 v2, 0xfffff, v2
	v_add_co_u32_e32 v2, vcc, v2, v52
	v_add_u32_e32 v29, 6, v34
	v_addc_co_u32_e32 v3, vcc, 0, v53, vcc
	v_cmp_ne_u32_e32 vcc, 0, v29
                                        ; implicit-def: $vgpr17
	s_and_saveexec_b64 s[22:23], vcc
	s_xor_b64 s[22:23], exec, s[22:23]
; %bb.1108:                             ;   in Loop: Header=BB6_124 Depth=2
	v_add_u32_e32 v17, 7, v34
	v_cmp_lt_u64_e32 vcc, s[48:49], v[2:3]
	v_cndmask_b32_e32 v17, v29, v17, vcc
	v_cndmask_b32_e64 v29, 0, 1, vcc
	v_lshrrev_b64 v[2:3], v29, v[2:3]
; %bb.1109:                             ;   in Loop: Header=BB6_124 Depth=2
	s_andn2_saveexec_b64 s[22:23], s[22:23]
; %bb.1110:                             ;   in Loop: Header=BB6_124 Depth=2
	v_bfe_u32 v17, v2, 23, 1
; %bb.1111:                             ;   in Loop: Header=BB6_124 Depth=2
	s_or_b64 exec, exec, s[22:23]
	v_lshrrev_b64 v[2:3], 20, v[2:3]
	v_cmp_gt_i32_e32 vcc, 16, v17
	v_cndmask_b32_e32 v3, 0, v3, vcc
	v_cndmask_b32_e32 v2, 7, v2, vcc
	v_cmp_eq_u64_e64 s[22:23], 0, v[2:3]
	v_min_i32_e32 v3, 15, v17
	v_cmp_eq_u32_e32 vcc, 0, v17
	v_lshlrev_b32_e32 v3, 3, v3
	v_and_or_b32 v2, v2, 7, v3
	s_and_b64 s[22:23], vcc, s[22:23]
	v_cndmask_b32_e64 v2, v2, 0, s[22:23]
	v_accvgpr_read_b32 v53, a45
	v_or_b32_e32 v17, v2, v28
	v_accvgpr_read_b32 v52, a44
.LBB6_1112:                             ;   in Loop: Header=BB6_124 Depth=2
	s_or_b64 exec, exec, s[60:61]
.LBB6_1113:                             ;   in Loop: Header=BB6_124 Depth=2
	s_or_b64 exec, exec, s[58:59]
                                        ; implicit-def: $vgpr2
.LBB6_1114:                             ;   in Loop: Header=BB6_124 Depth=2
	s_andn2_saveexec_b64 s[22:23], s[56:57]
; %bb.1115:                             ;   in Loop: Header=BB6_124 Depth=2
	v_or_b32_sdwa v2, v2, s75 dst_sel:DWORD dst_unused:UNUSED_PAD src0_sel:BYTE_3 src1_sel:DWORD
	v_cmp_eq_u64_e32 vcc, 0, v[38:39]
	v_cndmask_b32_e32 v17, v2, v17, vcc
; %bb.1116:                             ;   in Loop: Header=BB6_124 Depth=2
	s_or_b64 exec, exec, s[22:23]
	v_lshrrev_b16_e32 v2, 8, v14
	v_cmp_ne_u16_e32 vcc, 0, v2
	v_mov_b32_e32 v3, 0
	v_mov_b32_e32 v28, 0
	s_and_saveexec_b64 s[22:23], vcc
	s_cbranch_execz .LBB6_1122
; %bb.1117:                             ;   in Loop: Header=BB6_124 Depth=2
	v_cmp_ne_u16_e32 vcc, s76, v2
	v_bfrev_b32_e32 v28, 1
	s_and_saveexec_b64 s[56:57], vcc
	s_cbranch_execz .LBB6_1121
; %bb.1118:                             ;   in Loop: Header=BB6_124 Depth=2
	v_and_b32_e32 v29, 0x7f, v2
	v_cmp_ne_u32_e32 vcc, s75, v29
	v_mov_b32_e32 v28, 0x7f800001
	s_and_saveexec_b64 s[58:59], vcc
	s_cbranch_execz .LBB6_1120
; %bb.1119:                             ;   in Loop: Header=BB6_124 Depth=2
	v_and_b32_e32 v28, 7, v2
	v_ffbh_u32_e32 v36, v28
	v_min_u32_e32 v38, 32, v36
	v_subrev_u32_e32 v36, 28, v38
	v_lshlrev_b64 v[36:37], v36, v[2:3]
	v_lshrrev_b32_e32 v34, 3, v29
	v_sub_u32_e32 v2, 29, v38
	v_and_b32_e32 v36, 7, v36
	v_cmp_gt_u32_e32 vcc, 8, v29
	v_cndmask_b32_e32 v2, v34, v2, vcc
	v_cndmask_b32_e32 v28, v28, v36, vcc
	v_lshlrev_b32_e32 v14, 16, v14
	v_lshlrev_b32_e32 v28, 20, v28
	v_and_b32_e32 v14, 0x80000000, v14
	v_lshl_add_u32 v2, v2, 23, v31
	v_or3_b32 v28, v14, v2, v28
.LBB6_1120:                             ;   in Loop: Header=BB6_124 Depth=2
	s_or_b64 exec, exec, s[58:59]
.LBB6_1121:                             ;   in Loop: Header=BB6_124 Depth=2
	s_or_b64 exec, exec, s[56:57]
.LBB6_1122:                             ;   in Loop: Header=BB6_124 Depth=2
	s_or_b64 exec, exec, s[22:23]
	v_lshrrev_b16_e32 v2, 8, v10
	v_cmp_ne_u16_e32 vcc, 0, v2
	s_and_saveexec_b64 s[22:23], vcc
	s_cbranch_execz .LBB6_1128
; %bb.1123:                             ;   in Loop: Header=BB6_124 Depth=2
	v_cmp_ne_u16_e32 vcc, s76, v2
	v_bfrev_b32_e32 v3, 1
	s_and_saveexec_b64 s[56:57], vcc
	s_cbranch_execz .LBB6_1127
; %bb.1124:                             ;   in Loop: Header=BB6_124 Depth=2
	v_and_b32_e32 v14, 0x7f, v2
	v_cmp_ne_u32_e32 vcc, s75, v14
	v_mov_b32_e32 v3, 0x7f800001
	s_and_saveexec_b64 s[58:59], vcc
	s_cbranch_execz .LBB6_1126
; %bb.1125:                             ;   in Loop: Header=BB6_124 Depth=2
	v_and_b32_e32 v29, 7, v2
	v_ffbh_u32_e32 v3, v29
	v_min_u32_e32 v36, 32, v3
	v_subrev_u32_e32 v3, 28, v36
	v_lshlrev_b64 v[2:3], v3, v[2:3]
	v_lshrrev_b32_e32 v34, 3, v14
	v_sub_u32_e32 v3, 29, v36
	v_and_b32_e32 v2, 7, v2
	v_cmp_gt_u32_e32 vcc, 8, v14
	v_cndmask_b32_e32 v3, v34, v3, vcc
	v_cndmask_b32_e32 v2, v29, v2, vcc
	v_lshlrev_b32_e32 v14, 16, v10
	v_lshlrev_b32_e32 v2, 20, v2
	v_and_b32_e32 v14, 0x80000000, v14
	v_lshl_add_u32 v3, v3, 23, v31
	v_or3_b32 v3, v14, v3, v2
.LBB6_1126:                             ;   in Loop: Header=BB6_124 Depth=2
	s_or_b64 exec, exec, s[58:59]
.LBB6_1127:                             ;   in Loop: Header=BB6_124 Depth=2
	s_or_b64 exec, exec, s[56:57]
.LBB6_1128:                             ;   in Loop: Header=BB6_124 Depth=2
	s_or_b64 exec, exec, s[22:23]
	v_add_f32_e32 v2, v28, v3
	v_and_b32_sdwa v14, v2, s76 dst_sel:DWORD dst_unused:UNUSED_PAD src0_sel:BYTE_3 src1_sel:DWORD
	v_and_b32_e32 v28, 0x7f800000, v2
	v_mov_b32_e32 v29, v39
	v_and_b32_e32 v38, 0x7fffff, v2
	v_or_b32_e32 v34, 0x7e, v14
	v_cmp_ne_u64_e32 vcc, s[42:43], v[28:29]
	s_and_saveexec_b64 s[22:23], vcc
	s_xor_b64 s[56:57], exec, s[22:23]
	s_cbranch_execz .LBB6_1138
; %bb.1129:                             ;   in Loop: Header=BB6_124 Depth=2
	v_and_b32_e32 v28, 0x7fffffff, v2
	v_mov_b32_e32 v29, v39
	v_cmp_gt_u64_e32 vcc, s[44:45], v[28:29]
	s_and_saveexec_b64 s[58:59], vcc
	s_cbranch_execz .LBB6_1137
; %bb.1130:                             ;   in Loop: Header=BB6_124 Depth=2
	v_cmp_ne_u32_e32 vcc, 0, v2
	v_mov_b32_e32 v34, 0
	s_and_saveexec_b64 s[60:61], vcc
	s_cbranch_execz .LBB6_1136
; %bb.1131:                             ;   in Loop: Header=BB6_124 Depth=2
	v_bfe_u32 v2, v2, 23, 8
	v_sub_u32_e32 v28, 0x79, v2
	v_cmp_gt_u32_e32 vcc, s77, v2
	v_cndmask_b32_e32 v28, 0, v28, vcc
	v_cmp_eq_u32_e32 vcc, 0, v2
	v_add_u32_e32 v3, 0xffffff81, v2
	v_or_b32_e32 v29, 0x800000, v38
	v_mov_b32_e32 v2, 0xffffff82
	v_cndmask_b32_e32 v28, v28, v20, vcc
	v_cndmask_b32_e32 v34, v3, v2, vcc
	;; [unrolled: 1-line block ×3, first 2 shown]
	v_add_u32_e32 v2, 20, v28
	v_lshlrev_b64 v[2:3], v2, -1
	v_add_u32_e32 v29, 19, v28
	v_lshrrev_b64 v[52:53], v28, v[38:39]
	v_not_b32_e32 v3, v3
	v_not_b32_e32 v2, v2
	v_lshlrev_b64 v[36:37], v29, 1
	v_lshrrev_b32_e32 v29, 23, v52
	v_and_b32_e32 v3, 0, v3
	v_and_b32_e32 v2, v38, v2
	v_add3_u32 v34, v28, v34, v29
	v_bfe_u32 v28, v52, 20, 1
	v_add_u32_e32 v28, -1, v28
	v_cmp_eq_u64_e32 vcc, v[2:3], v[36:37]
	v_cndmask_b32_e32 v2, 0, v28, vcc
	v_add_u32_e32 v2, v2, v52
	v_and_b32_e32 v2, 0xfffff, v2
	v_add_co_u32_e32 v2, vcc, v2, v52
	v_add_u32_e32 v29, 6, v34
	v_addc_co_u32_e32 v3, vcc, 0, v53, vcc
	v_cmp_ne_u32_e32 vcc, 0, v29
                                        ; implicit-def: $vgpr28
	s_and_saveexec_b64 s[22:23], vcc
	s_xor_b64 s[22:23], exec, s[22:23]
; %bb.1132:                             ;   in Loop: Header=BB6_124 Depth=2
	v_add_u32_e32 v28, 7, v34
	v_cmp_lt_u64_e32 vcc, s[48:49], v[2:3]
	v_cndmask_b32_e32 v28, v29, v28, vcc
	v_cndmask_b32_e64 v29, 0, 1, vcc
	v_lshrrev_b64 v[2:3], v29, v[2:3]
; %bb.1133:                             ;   in Loop: Header=BB6_124 Depth=2
	s_andn2_saveexec_b64 s[22:23], s[22:23]
; %bb.1134:                             ;   in Loop: Header=BB6_124 Depth=2
	v_bfe_u32 v28, v2, 23, 1
; %bb.1135:                             ;   in Loop: Header=BB6_124 Depth=2
	s_or_b64 exec, exec, s[22:23]
	v_lshrrev_b64 v[2:3], 20, v[2:3]
	v_cmp_gt_i32_e32 vcc, 16, v28
	v_cndmask_b32_e32 v3, 0, v3, vcc
	v_cndmask_b32_e32 v2, 7, v2, vcc
	v_cmp_eq_u64_e64 s[22:23], 0, v[2:3]
	v_min_i32_e32 v3, 15, v28
	v_cmp_eq_u32_e32 vcc, 0, v28
	v_lshlrev_b32_e32 v3, 3, v3
	v_and_or_b32 v2, v2, 7, v3
	s_and_b64 s[22:23], vcc, s[22:23]
	v_cndmask_b32_e64 v2, v2, 0, s[22:23]
	v_accvgpr_read_b32 v53, a45
	v_or_b32_e32 v34, v2, v14
	v_accvgpr_read_b32 v52, a44
.LBB6_1136:                             ;   in Loop: Header=BB6_124 Depth=2
	s_or_b64 exec, exec, s[60:61]
.LBB6_1137:                             ;   in Loop: Header=BB6_124 Depth=2
	s_or_b64 exec, exec, s[58:59]
                                        ; implicit-def: $vgpr2
.LBB6_1138:                             ;   in Loop: Header=BB6_124 Depth=2
	s_andn2_saveexec_b64 s[22:23], s[56:57]
; %bb.1139:                             ;   in Loop: Header=BB6_124 Depth=2
	v_or_b32_sdwa v2, v2, s75 dst_sel:DWORD dst_unused:UNUSED_PAD src0_sel:BYTE_3 src1_sel:DWORD
	v_cmp_eq_u64_e32 vcc, 0, v[38:39]
	v_cndmask_b32_e32 v34, v2, v34, vcc
; %bb.1140:                             ;   in Loop: Header=BB6_124 Depth=2
	s_or_b64 exec, exec, s[22:23]
	v_cmp_ne_u16_sdwa vcc, v60, v39 src0_sel:BYTE_0 src1_sel:DWORD
	v_mov_b32_e32 v3, 0
	v_mov_b32_e32 v14, 0
	s_and_saveexec_b64 s[22:23], vcc
	s_cbranch_execz .LBB6_1146
; %bb.1141:                             ;   in Loop: Header=BB6_124 Depth=2
	v_cmp_ne_u16_sdwa vcc, v60, s76 src0_sel:BYTE_0 src1_sel:DWORD
	v_bfrev_b32_e32 v14, 1
	s_and_saveexec_b64 s[56:57], vcc
	s_cbranch_execz .LBB6_1145
; %bb.1142:                             ;   in Loop: Header=BB6_124 Depth=2
	v_and_b32_e32 v2, 0x7f, v60
	v_cmp_ne_u32_e32 vcc, s75, v2
	v_mov_b32_e32 v14, 0x7f800001
	s_and_saveexec_b64 s[58:59], vcc
	s_cbranch_execz .LBB6_1144
; %bb.1143:                             ;   in Loop: Header=BB6_124 Depth=2
	v_and_b32_e32 v14, 7, v60
	v_ffbh_u32_e32 v28, v14
	v_min_u32_e32 v37, 32, v28
	v_subrev_u32_e32 v28, 28, v37
	v_lshlrev_b64 v[28:29], v28, v[60:61]
	v_lshrrev_b32_e32 v36, 3, v2
	v_sub_u32_e32 v29, 29, v37
	v_and_b32_e32 v28, 7, v28
	v_cmp_gt_u32_e32 vcc, 8, v2
	v_cndmask_b32_e32 v2, v36, v29, vcc
	v_cndmask_b32_e32 v14, v14, v28, vcc
	v_lshlrev_b32_e32 v28, 24, v60
	v_lshlrev_b32_e32 v14, 20, v14
	v_and_b32_e32 v28, 0x80000000, v28
	v_lshl_add_u32 v2, v2, 23, v31
	v_or3_b32 v14, v28, v2, v14
.LBB6_1144:                             ;   in Loop: Header=BB6_124 Depth=2
	s_or_b64 exec, exec, s[58:59]
.LBB6_1145:                             ;   in Loop: Header=BB6_124 Depth=2
	s_or_b64 exec, exec, s[56:57]
.LBB6_1146:                             ;   in Loop: Header=BB6_124 Depth=2
	s_or_b64 exec, exec, s[22:23]
	v_lshrrev_b32_e32 v2, 16, v10
	v_cmp_ne_u16_sdwa vcc, v2, v39 src0_sel:BYTE_0 src1_sel:DWORD
	s_and_saveexec_b64 s[22:23], vcc
	s_cbranch_execz .LBB6_1152
; %bb.1147:                             ;   in Loop: Header=BB6_124 Depth=2
	v_cmp_ne_u16_sdwa vcc, v2, s76 src0_sel:BYTE_0 src1_sel:DWORD
	v_bfrev_b32_e32 v3, 1
	s_and_saveexec_b64 s[56:57], vcc
	s_cbranch_execz .LBB6_1151
; %bb.1148:                             ;   in Loop: Header=BB6_124 Depth=2
	v_bfe_u32 v28, v10, 16, 7
	v_cmp_ne_u32_e32 vcc, s75, v28
	v_mov_b32_e32 v3, 0x7f800001
	s_and_saveexec_b64 s[58:59], vcc
	s_cbranch_execz .LBB6_1150
; %bb.1149:                             ;   in Loop: Header=BB6_124 Depth=2
	v_and_b32_e32 v29, 7, v2
	v_ffbh_u32_e32 v3, v29
	v_min_u32_e32 v37, 32, v3
	v_subrev_u32_e32 v3, 28, v37
	v_lshlrev_b64 v[2:3], v3, v[2:3]
	v_lshrrev_b32_e32 v36, 3, v28
	v_sub_u32_e32 v3, 29, v37
	v_and_b32_e32 v2, 7, v2
	v_cmp_gt_u32_e32 vcc, 8, v28
	v_cndmask_b32_e32 v3, v36, v3, vcc
	v_cndmask_b32_e32 v2, v29, v2, vcc
	v_lshlrev_b32_e32 v28, 8, v10
	v_lshlrev_b32_e32 v2, 20, v2
	v_and_b32_e32 v28, 0x80000000, v28
	v_lshl_add_u32 v3, v3, 23, v31
	v_or3_b32 v3, v28, v3, v2
.LBB6_1150:                             ;   in Loop: Header=BB6_124 Depth=2
	s_or_b64 exec, exec, s[58:59]
.LBB6_1151:                             ;   in Loop: Header=BB6_124 Depth=2
	s_or_b64 exec, exec, s[56:57]
.LBB6_1152:                             ;   in Loop: Header=BB6_124 Depth=2
	s_or_b64 exec, exec, s[22:23]
	v_add_f32_e32 v2, v14, v3
	v_and_b32_sdwa v14, v2, s76 dst_sel:DWORD dst_unused:UNUSED_PAD src0_sel:BYTE_3 src1_sel:DWORD
	v_and_b32_e32 v28, 0x7f800000, v2
	v_mov_b32_e32 v29, v39
	v_and_b32_e32 v38, 0x7fffff, v2
	v_or_b32_e32 v50, 0x7e, v14
	v_cmp_ne_u64_e32 vcc, s[42:43], v[28:29]
	s_and_saveexec_b64 s[22:23], vcc
	s_xor_b64 s[56:57], exec, s[22:23]
	s_cbranch_execz .LBB6_1162
; %bb.1153:                             ;   in Loop: Header=BB6_124 Depth=2
	v_and_b32_e32 v28, 0x7fffffff, v2
	v_mov_b32_e32 v29, v39
	v_cmp_gt_u64_e32 vcc, s[44:45], v[28:29]
	s_and_saveexec_b64 s[58:59], vcc
	s_cbranch_execz .LBB6_1161
; %bb.1154:                             ;   in Loop: Header=BB6_124 Depth=2
	v_cmp_ne_u32_e32 vcc, 0, v2
	v_mov_b32_e32 v50, 0
	s_and_saveexec_b64 s[60:61], vcc
	s_cbranch_execz .LBB6_1160
; %bb.1155:                             ;   in Loop: Header=BB6_124 Depth=2
	v_bfe_u32 v2, v2, 23, 8
	v_sub_u32_e32 v28, 0x79, v2
	v_cmp_gt_u32_e32 vcc, s77, v2
	v_cndmask_b32_e32 v28, 0, v28, vcc
	v_cmp_eq_u32_e32 vcc, 0, v2
	v_add_u32_e32 v3, 0xffffff81, v2
	v_or_b32_e32 v29, 0x800000, v38
	v_mov_b32_e32 v2, 0xffffff82
	v_cndmask_b32_e32 v28, v28, v20, vcc
	v_cndmask_b32_e32 v50, v3, v2, vcc
	;; [unrolled: 1-line block ×3, first 2 shown]
	v_add_u32_e32 v2, 20, v28
	v_lshlrev_b64 v[2:3], v2, -1
	v_add_u32_e32 v29, 19, v28
	v_lshrrev_b64 v[52:53], v28, v[38:39]
	v_not_b32_e32 v3, v3
	v_not_b32_e32 v2, v2
	v_lshlrev_b64 v[36:37], v29, 1
	v_lshrrev_b32_e32 v29, 23, v52
	v_and_b32_e32 v3, 0, v3
	v_and_b32_e32 v2, v38, v2
	v_add3_u32 v38, v28, v50, v29
	v_bfe_u32 v28, v52, 20, 1
	v_add_u32_e32 v28, -1, v28
	v_cmp_eq_u64_e32 vcc, v[2:3], v[36:37]
	v_cndmask_b32_e32 v2, 0, v28, vcc
	v_add_u32_e32 v2, v2, v52
	v_and_b32_e32 v2, 0xfffff, v2
	v_add_co_u32_e32 v2, vcc, v2, v52
	v_add_u32_e32 v29, 6, v38
	v_addc_co_u32_e32 v3, vcc, 0, v53, vcc
	v_cmp_ne_u32_e32 vcc, 0, v29
                                        ; implicit-def: $vgpr28
	s_and_saveexec_b64 s[22:23], vcc
	s_xor_b64 s[22:23], exec, s[22:23]
; %bb.1156:                             ;   in Loop: Header=BB6_124 Depth=2
	v_add_u32_e32 v28, 7, v38
	v_cmp_lt_u64_e32 vcc, s[48:49], v[2:3]
	v_cndmask_b32_e32 v28, v29, v28, vcc
	v_cndmask_b32_e64 v29, 0, 1, vcc
	v_lshrrev_b64 v[2:3], v29, v[2:3]
; %bb.1157:                             ;   in Loop: Header=BB6_124 Depth=2
	s_andn2_saveexec_b64 s[22:23], s[22:23]
; %bb.1158:                             ;   in Loop: Header=BB6_124 Depth=2
	v_bfe_u32 v28, v2, 23, 1
; %bb.1159:                             ;   in Loop: Header=BB6_124 Depth=2
	s_or_b64 exec, exec, s[22:23]
	v_lshrrev_b64 v[2:3], 20, v[2:3]
	v_cmp_gt_i32_e32 vcc, 16, v28
	v_cndmask_b32_e32 v3, 0, v3, vcc
	v_cndmask_b32_e32 v2, 7, v2, vcc
	v_cmp_eq_u64_e64 s[22:23], 0, v[2:3]
	v_min_i32_e32 v3, 15, v28
	v_cmp_eq_u32_e32 vcc, 0, v28
	v_lshlrev_b32_e32 v3, 3, v3
	v_and_or_b32 v2, v2, 7, v3
	s_and_b64 s[22:23], vcc, s[22:23]
	v_cndmask_b32_e64 v2, v2, 0, s[22:23]
	v_accvgpr_read_b32 v53, a45
	v_or_b32_e32 v50, v2, v14
	v_accvgpr_read_b32 v52, a44
.LBB6_1160:                             ;   in Loop: Header=BB6_124 Depth=2
	s_or_b64 exec, exec, s[60:61]
.LBB6_1161:                             ;   in Loop: Header=BB6_124 Depth=2
	s_or_b64 exec, exec, s[58:59]
                                        ; implicit-def: $vgpr2
.LBB6_1162:                             ;   in Loop: Header=BB6_124 Depth=2
	s_andn2_saveexec_b64 s[22:23], s[56:57]
; %bb.1163:                             ;   in Loop: Header=BB6_124 Depth=2
	v_or_b32_sdwa v2, v2, s75 dst_sel:DWORD dst_unused:UNUSED_PAD src0_sel:BYTE_3 src1_sel:DWORD
	v_cmp_eq_u64_e32 vcc, 0, v[38:39]
	v_cndmask_b32_e32 v50, v2, v50, vcc
; %bb.1164:                             ;   in Loop: Header=BB6_124 Depth=2
	s_or_b64 exec, exec, s[22:23]
	v_lshlrev_b32_e32 v2, 8, v33
	v_and_b32_e32 v2, 0xff00, v2
	v_cmp_ne_u32_e32 vcc, 0, v2
	v_mov_b32_e32 v3, 0
	v_mov_b32_e32 v14, 0
	s_and_saveexec_b64 s[22:23], vcc
	s_cbranch_execz .LBB6_1170
; %bb.1165:                             ;   in Loop: Header=BB6_124 Depth=2
	v_cmp_ne_u32_e32 vcc, s79, v2
	v_bfrev_b32_e32 v14, 1
	s_and_saveexec_b64 s[56:57], vcc
	s_cbranch_execz .LBB6_1169
; %bb.1166:                             ;   in Loop: Header=BB6_124 Depth=2
	v_bfe_u32 v28, v2, 8, 7
	v_cmp_ne_u32_e32 vcc, s75, v28
	v_mov_b32_e32 v14, 0x7f800001
	s_and_saveexec_b64 s[58:59], vcc
	s_cbranch_execz .LBB6_1168
; %bb.1167:                             ;   in Loop: Header=BB6_124 Depth=2
	v_lshrrev_b32_e32 v14, 8, v2
	v_and_b32_e32 v29, 7, v14
	v_ffbh_u32_e32 v36, v29
	v_min_u32_e32 v38, 32, v36
	v_subrev_u32_e32 v36, 28, v38
	v_lshlrev_b64 v[36:37], v36, v[14:15]
	v_lshrrev_b32_e32 v33, 3, v28
	v_sub_u32_e32 v14, 29, v38
	v_and_b32_e32 v36, 7, v36
	v_cmp_gt_u32_e32 vcc, 8, v28
	v_cndmask_b32_e32 v14, v33, v14, vcc
	v_cndmask_b32_e32 v28, v29, v36, vcc
	v_lshlrev_b32_e32 v2, 16, v2
	v_lshlrev_b32_e32 v28, 20, v28
	v_and_b32_e32 v2, 0x80000000, v2
	v_lshl_add_u32 v14, v14, 23, v31
	v_or3_b32 v14, v2, v14, v28
.LBB6_1168:                             ;   in Loop: Header=BB6_124 Depth=2
	s_or_b64 exec, exec, s[58:59]
.LBB6_1169:                             ;   in Loop: Header=BB6_124 Depth=2
	s_or_b64 exec, exec, s[56:57]
.LBB6_1170:                             ;   in Loop: Header=BB6_124 Depth=2
	s_or_b64 exec, exec, s[22:23]
	v_cmp_lt_u32_e32 vcc, s47, v10
	s_and_saveexec_b64 s[22:23], vcc
	s_cbranch_execz .LBB6_1176
; %bb.1171:                             ;   in Loop: Header=BB6_124 Depth=2
	v_lshrrev_b32_e32 v2, 24, v10
	v_cmp_ne_u32_e32 vcc, s76, v2
	v_bfrev_b32_e32 v3, 1
	s_and_saveexec_b64 s[56:57], vcc
	s_cbranch_execz .LBB6_1175
; %bb.1172:                             ;   in Loop: Header=BB6_124 Depth=2
	v_bfe_u32 v28, v10, 24, 7
	v_cmp_ne_u32_e32 vcc, s75, v28
	v_mov_b32_e32 v3, 0x7f800001
	s_and_saveexec_b64 s[58:59], vcc
	s_cbranch_execz .LBB6_1174
; %bb.1173:                             ;   in Loop: Header=BB6_124 Depth=2
	v_and_b32_e32 v3, 7, v2
	v_ffbh_u32_e32 v33, v3
	v_min_u32_e32 v33, 32, v33
	v_subrev_u32_e32 v36, 28, v33
	v_lshlrev_b64 v[36:37], v36, v[2:3]
	v_lshrrev_b32_e32 v29, 3, v28
	v_sub_u32_e32 v33, 29, v33
	v_and_b32_e32 v36, 7, v36
	v_cmp_gt_u32_e32 vcc, 8, v28
	v_cndmask_b32_e32 v28, v29, v33, vcc
	v_cndmask_b32_e32 v3, v3, v36, vcc
	v_lshlrev_b32_e32 v2, 24, v2
	v_lshlrev_b32_e32 v3, 20, v3
	v_and_b32_e32 v2, 0x80000000, v2
	v_lshl_add_u32 v28, v28, 23, v31
	v_or3_b32 v3, v2, v28, v3
.LBB6_1174:                             ;   in Loop: Header=BB6_124 Depth=2
	s_or_b64 exec, exec, s[58:59]
.LBB6_1175:                             ;   in Loop: Header=BB6_124 Depth=2
	s_or_b64 exec, exec, s[56:57]
.LBB6_1176:                             ;   in Loop: Header=BB6_124 Depth=2
	s_or_b64 exec, exec, s[22:23]
	v_add_f32_e32 v2, v14, v3
	v_and_b32_sdwa v14, v2, s76 dst_sel:DWORD dst_unused:UNUSED_PAD src0_sel:BYTE_3 src1_sel:DWORD
	v_and_b32_e32 v28, 0x7f800000, v2
	v_mov_b32_e32 v29, v39
	v_and_b32_e32 v38, 0x7fffff, v2
	v_or_b32_e32 v33, 0x7e, v14
	v_cmp_ne_u64_e32 vcc, s[42:43], v[28:29]
	s_and_saveexec_b64 s[22:23], vcc
	s_xor_b64 s[56:57], exec, s[22:23]
	s_cbranch_execz .LBB6_1186
; %bb.1177:                             ;   in Loop: Header=BB6_124 Depth=2
	v_and_b32_e32 v28, 0x7fffffff, v2
	v_mov_b32_e32 v29, v39
	v_cmp_gt_u64_e32 vcc, s[44:45], v[28:29]
	s_and_saveexec_b64 s[58:59], vcc
	s_cbranch_execz .LBB6_1185
; %bb.1178:                             ;   in Loop: Header=BB6_124 Depth=2
	v_cmp_ne_u32_e32 vcc, 0, v2
	v_mov_b32_e32 v33, 0
	s_and_saveexec_b64 s[60:61], vcc
	s_cbranch_execz .LBB6_1184
; %bb.1179:                             ;   in Loop: Header=BB6_124 Depth=2
	v_bfe_u32 v2, v2, 23, 8
	v_sub_u32_e32 v28, 0x79, v2
	v_cmp_gt_u32_e32 vcc, s77, v2
	v_cndmask_b32_e32 v28, 0, v28, vcc
	v_cmp_eq_u32_e32 vcc, 0, v2
	v_add_u32_e32 v3, 0xffffff81, v2
	v_or_b32_e32 v29, 0x800000, v38
	v_mov_b32_e32 v2, 0xffffff82
	v_cndmask_b32_e32 v28, v28, v20, vcc
	v_cndmask_b32_e32 v33, v3, v2, vcc
	;; [unrolled: 1-line block ×3, first 2 shown]
	v_add_u32_e32 v2, 20, v28
	v_lshlrev_b64 v[2:3], v2, -1
	v_add_u32_e32 v29, 19, v28
	v_lshrrev_b64 v[52:53], v28, v[38:39]
	v_not_b32_e32 v3, v3
	v_not_b32_e32 v2, v2
	v_lshlrev_b64 v[36:37], v29, 1
	v_lshrrev_b32_e32 v29, 23, v52
	v_and_b32_e32 v3, 0, v3
	v_and_b32_e32 v2, v38, v2
	v_add3_u32 v33, v28, v33, v29
	v_bfe_u32 v28, v52, 20, 1
	v_add_u32_e32 v28, -1, v28
	v_cmp_eq_u64_e32 vcc, v[2:3], v[36:37]
	v_cndmask_b32_e32 v2, 0, v28, vcc
	v_add_u32_e32 v2, v2, v52
	v_and_b32_e32 v2, 0xfffff, v2
	v_add_co_u32_e32 v2, vcc, v2, v52
	v_add_u32_e32 v29, 6, v33
	v_addc_co_u32_e32 v3, vcc, 0, v53, vcc
	v_cmp_ne_u32_e32 vcc, 0, v29
                                        ; implicit-def: $vgpr28
	s_and_saveexec_b64 s[22:23], vcc
	s_xor_b64 s[22:23], exec, s[22:23]
; %bb.1180:                             ;   in Loop: Header=BB6_124 Depth=2
	v_add_u32_e32 v28, 7, v33
	v_cmp_lt_u64_e32 vcc, s[48:49], v[2:3]
	v_cndmask_b32_e32 v28, v29, v28, vcc
	v_cndmask_b32_e64 v29, 0, 1, vcc
	v_lshrrev_b64 v[2:3], v29, v[2:3]
; %bb.1181:                             ;   in Loop: Header=BB6_124 Depth=2
	s_andn2_saveexec_b64 s[22:23], s[22:23]
; %bb.1182:                             ;   in Loop: Header=BB6_124 Depth=2
	v_bfe_u32 v28, v2, 23, 1
; %bb.1183:                             ;   in Loop: Header=BB6_124 Depth=2
	s_or_b64 exec, exec, s[22:23]
	v_lshrrev_b64 v[2:3], 20, v[2:3]
	v_cmp_gt_i32_e32 vcc, 16, v28
	v_cndmask_b32_e32 v3, 0, v3, vcc
	v_cndmask_b32_e32 v2, 7, v2, vcc
	v_cmp_eq_u64_e64 s[22:23], 0, v[2:3]
	v_min_i32_e32 v3, 15, v28
	v_cmp_eq_u32_e32 vcc, 0, v28
	v_lshlrev_b32_e32 v3, 3, v3
	v_and_or_b32 v2, v2, 7, v3
	s_and_b64 s[22:23], vcc, s[22:23]
	v_cndmask_b32_e64 v2, v2, 0, s[22:23]
	v_accvgpr_read_b32 v53, a45
	v_or_b32_e32 v33, v2, v14
	v_accvgpr_read_b32 v52, a44
.LBB6_1184:                             ;   in Loop: Header=BB6_124 Depth=2
	s_or_b64 exec, exec, s[60:61]
.LBB6_1185:                             ;   in Loop: Header=BB6_124 Depth=2
	s_or_b64 exec, exec, s[58:59]
                                        ; implicit-def: $vgpr2
.LBB6_1186:                             ;   in Loop: Header=BB6_124 Depth=2
	s_andn2_saveexec_b64 s[22:23], s[56:57]
; %bb.1187:                             ;   in Loop: Header=BB6_124 Depth=2
	v_or_b32_sdwa v2, v2, s75 dst_sel:DWORD dst_unused:UNUSED_PAD src0_sel:BYTE_3 src1_sel:DWORD
	v_cmp_eq_u64_e32 vcc, 0, v[38:39]
	v_cndmask_b32_e32 v33, v2, v33, vcc
; %bb.1188:                             ;   in Loop: Header=BB6_124 Depth=2
	s_or_b64 exec, exec, s[22:23]
	v_lshlrev_b32_e32 v14, 8, v55
	v_lshlrev_b32_e32 v2, 24, v9
	v_perm_b32 v3, v51, v26, s80
	v_or3_b32 v38, v3, v2, v14
	v_cmp_ne_u16_sdwa vcc, v26, v39 src0_sel:BYTE_0 src1_sel:DWORD
	v_mov_b32_e32 v3, 0
	v_mov_b32_e32 v2, 0
	s_and_saveexec_b64 s[22:23], vcc
	s_cbranch_execz .LBB6_1194
; %bb.1189:                             ;   in Loop: Header=BB6_124 Depth=2
	v_cmp_ne_u16_sdwa vcc, v26, s76 src0_sel:BYTE_0 src1_sel:DWORD
	v_bfrev_b32_e32 v2, 1
	s_and_saveexec_b64 s[56:57], vcc
	s_cbranch_execz .LBB6_1193
; %bb.1190:                             ;   in Loop: Header=BB6_124 Depth=2
	v_and_b32_e32 v9, 0x7f, v26
	v_cmp_ne_u32_e32 vcc, s75, v9
	v_mov_b32_e32 v2, 0x7f800001
	s_and_saveexec_b64 s[58:59], vcc
	s_cbranch_execz .LBB6_1192
; %bb.1191:                             ;   in Loop: Header=BB6_124 Depth=2
	v_and_b32_e32 v2, 7, v26
	v_ffbh_u32_e32 v2, v2
	v_min_u32_e32 v2, 32, v2
	v_subrev_u32_e32 v28, 28, v2
	v_cmp_gt_u32_e32 vcc, 8, v9
	v_lshrrev_b32_e32 v26, 3, v9
	v_cndmask_b32_e32 v9, 0, v28, vcc
	v_sub_u32_e32 v2, 29, v2
	v_lshlrev_b64 v[28:29], v9, v[38:39]
	v_cndmask_b32_e32 v2, v26, v2, vcc
	v_lshlrev_b32_e32 v9, 20, v28
	v_lshlrev_b32_e32 v26, 24, v38
	v_and_b32_e32 v9, 0x700000, v9
	v_and_b32_e32 v26, 0x80000000, v26
	v_lshl_add_u32 v2, v2, 23, v31
	v_or3_b32 v2, v26, v2, v9
.LBB6_1192:                             ;   in Loop: Header=BB6_124 Depth=2
	s_or_b64 exec, exec, s[58:59]
.LBB6_1193:                             ;   in Loop: Header=BB6_124 Depth=2
	s_or_b64 exec, exec, s[56:57]
.LBB6_1194:                             ;   in Loop: Header=BB6_124 Depth=2
	s_or_b64 exec, exec, s[22:23]
	v_cmp_ne_u16_sdwa vcc, v11, v39 src0_sel:BYTE_0 src1_sel:DWORD
	s_and_saveexec_b64 s[22:23], vcc
	s_cbranch_execz .LBB6_1200
; %bb.1195:                             ;   in Loop: Header=BB6_124 Depth=2
	v_cmp_ne_u16_sdwa vcc, v11, s76 src0_sel:BYTE_0 src1_sel:DWORD
	v_bfrev_b32_e32 v3, 1
	s_and_saveexec_b64 s[56:57], vcc
	s_cbranch_execz .LBB6_1199
; %bb.1196:                             ;   in Loop: Header=BB6_124 Depth=2
	v_and_b32_e32 v9, 0x7f, v11
	v_cmp_ne_u32_e32 vcc, s75, v9
	v_mov_b32_e32 v3, 0x7f800001
	s_and_saveexec_b64 s[58:59], vcc
	s_cbranch_execz .LBB6_1198
; %bb.1197:                             ;   in Loop: Header=BB6_124 Depth=2
	v_and_b32_e32 v3, 7, v11
	v_ffbh_u32_e32 v3, v3
	v_min_u32_e32 v3, 32, v3
	v_subrev_u32_e32 v36, 28, v3
	v_cmp_gt_u32_e32 vcc, 8, v9
	v_mov_b32_e32 v28, v11
	v_mov_b32_e32 v29, v39
	v_lshrrev_b32_e32 v26, 3, v9
	v_cndmask_b32_e32 v9, 0, v36, vcc
	v_sub_u32_e32 v3, 29, v3
	v_lshlrev_b64 v[36:37], v9, v[28:29]
	v_cndmask_b32_e32 v3, v26, v3, vcc
	v_lshlrev_b32_e32 v9, 20, v36
	v_lshlrev_b32_e32 v26, 24, v28
	v_and_b32_e32 v9, 0x700000, v9
	v_and_b32_e32 v26, 0x80000000, v26
	v_lshl_add_u32 v3, v3, 23, v31
	v_or3_b32 v3, v26, v3, v9
.LBB6_1198:                             ;   in Loop: Header=BB6_124 Depth=2
	s_or_b64 exec, exec, s[58:59]
.LBB6_1199:                             ;   in Loop: Header=BB6_124 Depth=2
	s_or_b64 exec, exec, s[56:57]
.LBB6_1200:                             ;   in Loop: Header=BB6_124 Depth=2
	s_or_b64 exec, exec, s[22:23]
	v_add_f32_e32 v28, v2, v3
	v_and_b32_sdwa v26, v28, s76 dst_sel:DWORD dst_unused:UNUSED_PAD src0_sel:BYTE_3 src1_sel:DWORD
	v_and_b32_e32 v36, 0x7f800000, v28
	v_mov_b32_e32 v37, v39
	v_and_b32_e32 v2, 0x7fffff, v28
	v_mov_b32_e32 v3, v39
	v_or_b32_e32 v9, 0x7e, v26
	v_cmp_ne_u64_e32 vcc, s[42:43], v[36:37]
	s_and_saveexec_b64 s[22:23], vcc
	s_xor_b64 s[56:57], exec, s[22:23]
	s_cbranch_execz .LBB6_1210
; %bb.1201:                             ;   in Loop: Header=BB6_124 Depth=2
	v_and_b32_e32 v36, 0x7fffffff, v28
	v_mov_b32_e32 v37, v39
	v_cmp_gt_u64_e32 vcc, s[44:45], v[36:37]
	s_and_saveexec_b64 s[58:59], vcc
	s_cbranch_execz .LBB6_1209
; %bb.1202:                             ;   in Loop: Header=BB6_124 Depth=2
	v_cmp_ne_u32_e32 vcc, 0, v28
	v_mov_b32_e32 v9, 0
	s_and_saveexec_b64 s[60:61], vcc
	s_cbranch_execz .LBB6_1208
; %bb.1203:                             ;   in Loop: Header=BB6_124 Depth=2
	v_bfe_u32 v9, v28, 23, 8
	v_sub_u32_e32 v29, 0x79, v9
	v_cmp_gt_u32_e32 vcc, s77, v9
	v_cndmask_b32_e32 v29, 0, v29, vcc
	v_cmp_eq_u32_e32 vcc, 0, v9
	v_add_u32_e32 v28, 0xffffff81, v9
	v_mov_b32_e32 v9, 0xffffff82
	v_cndmask_b32_e32 v51, v29, v20, vcc
	v_cndmask_b32_e32 v9, v28, v9, vcc
	v_add_u32_e32 v28, 20, v51
	v_or_b32_e32 v36, 0x800000, v2
	v_lshlrev_b64 v[28:29], v28, -1
	v_cndmask_b32_e32 v2, v36, v2, vcc
	v_not_b32_e32 v28, v28
	v_and_b32_e32 v36, v2, v28
	v_add_u32_e32 v28, 19, v51
	v_lshrrev_b64 v[2:3], v51, v[2:3]
	v_not_b32_e32 v29, v29
	v_lshlrev_b64 v[52:53], v28, 1
	v_lshrrev_b32_e32 v28, 23, v2
	v_and_b32_e32 v37, 0, v29
	v_add3_u32 v29, v51, v9, v28
	v_bfe_u32 v9, v2, 20, 1
	v_add_u32_e32 v9, -1, v9
	v_cmp_eq_u64_e32 vcc, v[36:37], v[52:53]
	v_cndmask_b32_e32 v9, 0, v9, vcc
	v_add_u32_e32 v9, v9, v2
	v_and_b32_e32 v9, 0xfffff, v9
	v_add_co_u32_e32 v2, vcc, v9, v2
	v_add_u32_e32 v28, 6, v29
	v_addc_co_u32_e32 v3, vcc, 0, v3, vcc
	v_cmp_ne_u32_e32 vcc, 0, v28
                                        ; implicit-def: $vgpr9
	s_and_saveexec_b64 s[22:23], vcc
	s_xor_b64 s[22:23], exec, s[22:23]
; %bb.1204:                             ;   in Loop: Header=BB6_124 Depth=2
	v_add_u32_e32 v9, 7, v29
	v_cmp_lt_u64_e32 vcc, s[48:49], v[2:3]
	v_cndmask_b32_e32 v9, v28, v9, vcc
	v_cndmask_b32_e64 v28, 0, 1, vcc
	v_lshrrev_b64 v[2:3], v28, v[2:3]
; %bb.1205:                             ;   in Loop: Header=BB6_124 Depth=2
	s_andn2_saveexec_b64 s[22:23], s[22:23]
; %bb.1206:                             ;   in Loop: Header=BB6_124 Depth=2
	v_bfe_u32 v9, v2, 23, 1
; %bb.1207:                             ;   in Loop: Header=BB6_124 Depth=2
	s_or_b64 exec, exec, s[22:23]
	v_lshrrev_b64 v[2:3], 20, v[2:3]
	v_cmp_gt_i32_e32 vcc, 16, v9
	v_cndmask_b32_e32 v3, 0, v3, vcc
	v_cndmask_b32_e32 v2, 7, v2, vcc
	v_cmp_eq_u64_e64 s[22:23], 0, v[2:3]
	v_min_i32_e32 v3, 15, v9
	v_cmp_eq_u32_e32 vcc, 0, v9
	v_lshlrev_b32_e32 v3, 3, v3
	v_and_or_b32 v2, v2, 7, v3
	s_and_b64 s[22:23], vcc, s[22:23]
	v_cndmask_b32_e64 v2, v2, 0, s[22:23]
	v_accvgpr_read_b32 v53, a45
	v_or_b32_e32 v9, v2, v26
	v_accvgpr_read_b32 v52, a44
.LBB6_1208:                             ;   in Loop: Header=BB6_124 Depth=2
	s_or_b64 exec, exec, s[60:61]
.LBB6_1209:                             ;   in Loop: Header=BB6_124 Depth=2
	s_or_b64 exec, exec, s[58:59]
                                        ; implicit-def: $vgpr28
                                        ; implicit-def: $vgpr2_vgpr3
.LBB6_1210:                             ;   in Loop: Header=BB6_124 Depth=2
	s_andn2_saveexec_b64 s[22:23], s[56:57]
; %bb.1211:                             ;   in Loop: Header=BB6_124 Depth=2
	v_or_b32_sdwa v26, v28, s75 dst_sel:DWORD dst_unused:UNUSED_PAD src0_sel:BYTE_3 src1_sel:DWORD
	v_cmp_eq_u64_e32 vcc, 0, v[2:3]
	v_cndmask_b32_e32 v9, v26, v9, vcc
; %bb.1212:                             ;   in Loop: Header=BB6_124 Depth=2
	s_or_b64 exec, exec, s[22:23]
	v_lshrrev_b16_e32 v2, 8, v14
	v_cmp_ne_u16_e32 vcc, 0, v2
	v_mov_b32_e32 v3, 0
	v_mov_b32_e32 v26, 0
	s_and_saveexec_b64 s[22:23], vcc
	s_cbranch_execz .LBB6_1218
; %bb.1213:                             ;   in Loop: Header=BB6_124 Depth=2
	v_cmp_ne_u16_e32 vcc, s76, v2
	v_bfrev_b32_e32 v26, 1
	s_and_saveexec_b64 s[56:57], vcc
	s_cbranch_execz .LBB6_1217
; %bb.1214:                             ;   in Loop: Header=BB6_124 Depth=2
	v_and_b32_e32 v28, 0x7f, v2
	v_cmp_ne_u32_e32 vcc, s75, v28
	v_mov_b32_e32 v26, 0x7f800001
	s_and_saveexec_b64 s[58:59], vcc
	s_cbranch_execz .LBB6_1216
; %bb.1215:                             ;   in Loop: Header=BB6_124 Depth=2
	v_and_b32_e32 v26, 7, v2
	v_ffbh_u32_e32 v36, v26
	v_min_u32_e32 v51, 32, v36
	v_subrev_u32_e32 v36, 28, v51
	v_lshlrev_b64 v[36:37], v36, v[2:3]
	v_lshrrev_b32_e32 v29, 3, v28
	v_sub_u32_e32 v2, 29, v51
	v_and_b32_e32 v36, 7, v36
	v_cmp_gt_u32_e32 vcc, 8, v28
	v_cndmask_b32_e32 v2, v29, v2, vcc
	v_cndmask_b32_e32 v26, v26, v36, vcc
	v_lshlrev_b32_e32 v14, 16, v14
	v_lshlrev_b32_e32 v26, 20, v26
	v_and_b32_e32 v14, 0x80000000, v14
	v_lshl_add_u32 v2, v2, 23, v31
	v_or3_b32 v26, v14, v2, v26
.LBB6_1216:                             ;   in Loop: Header=BB6_124 Depth=2
	s_or_b64 exec, exec, s[58:59]
.LBB6_1217:                             ;   in Loop: Header=BB6_124 Depth=2
	s_or_b64 exec, exec, s[56:57]
.LBB6_1218:                             ;   in Loop: Header=BB6_124 Depth=2
	s_or_b64 exec, exec, s[22:23]
	v_mov_b32_e32 v2, v11
	v_lshrrev_b16_e32 v14, 8, v2
	v_cmp_ne_u16_e32 vcc, 0, v14
	s_and_saveexec_b64 s[22:23], vcc
	s_cbranch_execz .LBB6_1224
; %bb.1219:                             ;   in Loop: Header=BB6_124 Depth=2
	v_cmp_ne_u16_e32 vcc, s76, v14
	v_bfrev_b32_e32 v3, 1
	s_and_saveexec_b64 s[56:57], vcc
	s_cbranch_execz .LBB6_1223
; %bb.1220:                             ;   in Loop: Header=BB6_124 Depth=2
	v_and_b32_e32 v28, 0x7f, v14
	v_cmp_ne_u32_e32 vcc, s75, v28
	v_mov_b32_e32 v3, 0x7f800001
	s_and_saveexec_b64 s[58:59], vcc
	s_cbranch_execz .LBB6_1222
; %bb.1221:                             ;   in Loop: Header=BB6_124 Depth=2
	v_and_b32_e32 v3, 7, v14
	v_ffbh_u32_e32 v36, v3
	v_min_u32_e32 v51, 32, v36
	v_subrev_u32_e32 v36, 28, v51
	v_lshlrev_b64 v[36:37], v36, v[14:15]
	v_lshrrev_b32_e32 v29, 3, v28
	v_sub_u32_e32 v14, 29, v51
	v_and_b32_e32 v36, 7, v36
	v_cmp_gt_u32_e32 vcc, 8, v28
	v_cndmask_b32_e32 v14, v29, v14, vcc
	v_cndmask_b32_e32 v3, v3, v36, vcc
	v_lshlrev_b32_e32 v2, 16, v2
	v_lshlrev_b32_e32 v3, 20, v3
	v_and_b32_e32 v2, 0x80000000, v2
	v_lshl_add_u32 v14, v14, 23, v31
	v_or3_b32 v3, v2, v14, v3
.LBB6_1222:                             ;   in Loop: Header=BB6_124 Depth=2
	s_or_b64 exec, exec, s[58:59]
.LBB6_1223:                             ;   in Loop: Header=BB6_124 Depth=2
	s_or_b64 exec, exec, s[56:57]
.LBB6_1224:                             ;   in Loop: Header=BB6_124 Depth=2
	s_or_b64 exec, exec, s[22:23]
	v_add_f32_e32 v28, v26, v3
	v_and_b32_sdwa v26, v28, s76 dst_sel:DWORD dst_unused:UNUSED_PAD src0_sel:BYTE_3 src1_sel:DWORD
	v_and_b32_e32 v36, 0x7f800000, v28
	v_mov_b32_e32 v37, v39
	v_and_b32_e32 v2, 0x7fffff, v28
	v_mov_b32_e32 v3, v39
	v_or_b32_e32 v14, 0x7e, v26
	v_cmp_ne_u64_e32 vcc, s[42:43], v[36:37]
	s_and_saveexec_b64 s[22:23], vcc
	s_xor_b64 s[56:57], exec, s[22:23]
	s_cbranch_execz .LBB6_1234
; %bb.1225:                             ;   in Loop: Header=BB6_124 Depth=2
	v_and_b32_e32 v36, 0x7fffffff, v28
	v_mov_b32_e32 v37, v39
	v_cmp_gt_u64_e32 vcc, s[44:45], v[36:37]
	s_and_saveexec_b64 s[58:59], vcc
	s_cbranch_execz .LBB6_1233
; %bb.1226:                             ;   in Loop: Header=BB6_124 Depth=2
	v_cmp_ne_u32_e32 vcc, 0, v28
	v_mov_b32_e32 v14, 0
	s_and_saveexec_b64 s[60:61], vcc
	s_cbranch_execz .LBB6_1232
; %bb.1227:                             ;   in Loop: Header=BB6_124 Depth=2
	v_bfe_u32 v14, v28, 23, 8
	v_sub_u32_e32 v29, 0x79, v14
	v_cmp_gt_u32_e32 vcc, s77, v14
	v_cndmask_b32_e32 v29, 0, v29, vcc
	v_cmp_eq_u32_e32 vcc, 0, v14
	v_add_u32_e32 v28, 0xffffff81, v14
	v_mov_b32_e32 v14, 0xffffff82
	v_cndmask_b32_e32 v51, v29, v20, vcc
	v_cndmask_b32_e32 v14, v28, v14, vcc
	v_add_u32_e32 v28, 20, v51
	v_or_b32_e32 v36, 0x800000, v2
	v_lshlrev_b64 v[28:29], v28, -1
	v_cndmask_b32_e32 v2, v36, v2, vcc
	v_not_b32_e32 v28, v28
	v_and_b32_e32 v36, v2, v28
	v_add_u32_e32 v28, 19, v51
	v_lshrrev_b64 v[2:3], v51, v[2:3]
	v_not_b32_e32 v29, v29
	v_lshlrev_b64 v[52:53], v28, 1
	v_lshrrev_b32_e32 v28, 23, v2
	v_and_b32_e32 v37, 0, v29
	v_add3_u32 v29, v51, v14, v28
	v_bfe_u32 v14, v2, 20, 1
	v_add_u32_e32 v14, -1, v14
	v_cmp_eq_u64_e32 vcc, v[36:37], v[52:53]
	v_cndmask_b32_e32 v14, 0, v14, vcc
	v_add_u32_e32 v14, v14, v2
	v_and_b32_e32 v14, 0xfffff, v14
	v_add_co_u32_e32 v2, vcc, v14, v2
	v_add_u32_e32 v28, 6, v29
	v_addc_co_u32_e32 v3, vcc, 0, v3, vcc
	v_cmp_ne_u32_e32 vcc, 0, v28
                                        ; implicit-def: $vgpr14
	s_and_saveexec_b64 s[22:23], vcc
	s_xor_b64 s[22:23], exec, s[22:23]
; %bb.1228:                             ;   in Loop: Header=BB6_124 Depth=2
	v_add_u32_e32 v14, 7, v29
	v_cmp_lt_u64_e32 vcc, s[48:49], v[2:3]
	v_cndmask_b32_e32 v14, v28, v14, vcc
	v_cndmask_b32_e64 v28, 0, 1, vcc
	v_lshrrev_b64 v[2:3], v28, v[2:3]
; %bb.1229:                             ;   in Loop: Header=BB6_124 Depth=2
	s_andn2_saveexec_b64 s[22:23], s[22:23]
; %bb.1230:                             ;   in Loop: Header=BB6_124 Depth=2
	v_bfe_u32 v14, v2, 23, 1
; %bb.1231:                             ;   in Loop: Header=BB6_124 Depth=2
	s_or_b64 exec, exec, s[22:23]
	v_lshrrev_b64 v[2:3], 20, v[2:3]
	v_cmp_gt_i32_e32 vcc, 16, v14
	v_cndmask_b32_e32 v3, 0, v3, vcc
	v_cndmask_b32_e32 v2, 7, v2, vcc
	v_cmp_eq_u64_e64 s[22:23], 0, v[2:3]
	v_min_i32_e32 v3, 15, v14
	v_cmp_eq_u32_e32 vcc, 0, v14
	v_lshlrev_b32_e32 v3, 3, v3
	v_and_or_b32 v2, v2, 7, v3
	s_and_b64 s[22:23], vcc, s[22:23]
	v_cndmask_b32_e64 v2, v2, 0, s[22:23]
	v_accvgpr_read_b32 v53, a45
	v_or_b32_e32 v14, v2, v26
	v_accvgpr_read_b32 v52, a44
.LBB6_1232:                             ;   in Loop: Header=BB6_124 Depth=2
	s_or_b64 exec, exec, s[60:61]
.LBB6_1233:                             ;   in Loop: Header=BB6_124 Depth=2
	s_or_b64 exec, exec, s[58:59]
                                        ; implicit-def: $vgpr28
                                        ; implicit-def: $vgpr2_vgpr3
.LBB6_1234:                             ;   in Loop: Header=BB6_124 Depth=2
	s_andn2_saveexec_b64 s[22:23], s[56:57]
; %bb.1235:                             ;   in Loop: Header=BB6_124 Depth=2
	v_or_b32_sdwa v26, v28, s75 dst_sel:DWORD dst_unused:UNUSED_PAD src0_sel:BYTE_3 src1_sel:DWORD
	v_cmp_eq_u64_e32 vcc, 0, v[2:3]
	v_cndmask_b32_e32 v14, v26, v14, vcc
; %bb.1236:                             ;   in Loop: Header=BB6_124 Depth=2
	s_or_b64 exec, exec, s[22:23]
	v_lshrrev_b32_e32 v2, 16, v38
	v_cmp_ne_u16_sdwa vcc, v2, v39 src0_sel:BYTE_0 src1_sel:DWORD
	v_mov_b32_e32 v3, 0
	v_mov_b32_e32 v26, 0
	s_and_saveexec_b64 s[22:23], vcc
	s_cbranch_execz .LBB6_1242
; %bb.1237:                             ;   in Loop: Header=BB6_124 Depth=2
	v_cmp_ne_u16_sdwa vcc, v2, s76 src0_sel:BYTE_0 src1_sel:DWORD
	v_bfrev_b32_e32 v26, 1
	s_and_saveexec_b64 s[56:57], vcc
	s_cbranch_execz .LBB6_1241
; %bb.1238:                             ;   in Loop: Header=BB6_124 Depth=2
	v_bfe_u32 v28, v38, 16, 7
	v_cmp_ne_u32_e32 vcc, s75, v28
	v_mov_b32_e32 v26, 0x7f800001
	s_and_saveexec_b64 s[58:59], vcc
	s_cbranch_execz .LBB6_1240
; %bb.1239:                             ;   in Loop: Header=BB6_124 Depth=2
	v_and_b32_e32 v26, 7, v2
	v_ffbh_u32_e32 v36, v26
	v_min_u32_e32 v51, 32, v36
	v_subrev_u32_e32 v36, 28, v51
	v_lshlrev_b64 v[36:37], v36, v[2:3]
	v_lshrrev_b32_e32 v29, 3, v28
	v_sub_u32_e32 v37, 29, v51
	v_and_b32_e32 v36, 7, v36
	v_cmp_gt_u32_e32 vcc, 8, v28
	v_cndmask_b32_e32 v28, v29, v37, vcc
	v_cndmask_b32_e32 v26, v26, v36, vcc
	v_lshlrev_b32_e32 v2, 24, v2
	v_lshlrev_b32_e32 v26, 20, v26
	v_and_b32_e32 v2, 0x80000000, v2
	v_lshl_add_u32 v28, v28, 23, v31
	v_or3_b32 v26, v2, v28, v26
.LBB6_1240:                             ;   in Loop: Header=BB6_124 Depth=2
	s_or_b64 exec, exec, s[58:59]
.LBB6_1241:                             ;   in Loop: Header=BB6_124 Depth=2
	s_or_b64 exec, exec, s[56:57]
.LBB6_1242:                             ;   in Loop: Header=BB6_124 Depth=2
	s_or_b64 exec, exec, s[22:23]
	v_lshrrev_b32_e32 v2, 16, v11
	v_cmp_ne_u16_sdwa vcc, v2, v39 src0_sel:BYTE_0 src1_sel:DWORD
	s_and_saveexec_b64 s[22:23], vcc
	s_cbranch_execz .LBB6_1248
; %bb.1243:                             ;   in Loop: Header=BB6_124 Depth=2
	v_cmp_ne_u16_sdwa vcc, v2, s76 src0_sel:BYTE_0 src1_sel:DWORD
	v_bfrev_b32_e32 v3, 1
	s_and_saveexec_b64 s[56:57], vcc
	s_cbranch_execz .LBB6_1247
; %bb.1244:                             ;   in Loop: Header=BB6_124 Depth=2
	v_bfe_u32 v28, v11, 16, 7
	v_cmp_ne_u32_e32 vcc, s75, v28
	v_mov_b32_e32 v3, 0x7f800001
	s_and_saveexec_b64 s[58:59], vcc
	s_cbranch_execz .LBB6_1246
; %bb.1245:                             ;   in Loop: Header=BB6_124 Depth=2
	v_and_b32_e32 v29, 7, v2
	v_ffbh_u32_e32 v3, v29
	v_min_u32_e32 v37, 32, v3
	v_subrev_u32_e32 v3, 28, v37
	v_lshlrev_b64 v[2:3], v3, v[2:3]
	v_lshrrev_b32_e32 v36, 3, v28
	v_sub_u32_e32 v3, 29, v37
	v_and_b32_e32 v2, 7, v2
	v_cmp_gt_u32_e32 vcc, 8, v28
	v_cndmask_b32_e32 v3, v36, v3, vcc
	v_cndmask_b32_e32 v2, v29, v2, vcc
	v_lshlrev_b32_e32 v28, 8, v11
	v_lshlrev_b32_e32 v2, 20, v2
	v_and_b32_e32 v28, 0x80000000, v28
	v_lshl_add_u32 v3, v3, 23, v31
	v_or3_b32 v3, v28, v3, v2
.LBB6_1246:                             ;   in Loop: Header=BB6_124 Depth=2
	s_or_b64 exec, exec, s[58:59]
.LBB6_1247:                             ;   in Loop: Header=BB6_124 Depth=2
	s_or_b64 exec, exec, s[56:57]
.LBB6_1248:                             ;   in Loop: Header=BB6_124 Depth=2
	s_or_b64 exec, exec, s[22:23]
	v_add_f32_e32 v29, v26, v3
	v_and_b32_sdwa v28, v29, s76 dst_sel:DWORD dst_unused:UNUSED_PAD src0_sel:BYTE_3 src1_sel:DWORD
	v_and_b32_e32 v36, 0x7f800000, v29
	v_mov_b32_e32 v37, v39
	v_and_b32_e32 v2, 0x7fffff, v29
	v_mov_b32_e32 v3, v39
	v_or_b32_e32 v26, 0x7e, v28
	v_cmp_ne_u64_e32 vcc, s[42:43], v[36:37]
	s_and_saveexec_b64 s[22:23], vcc
	s_xor_b64 s[56:57], exec, s[22:23]
	s_cbranch_execz .LBB6_1258
; %bb.1249:                             ;   in Loop: Header=BB6_124 Depth=2
	v_and_b32_e32 v36, 0x7fffffff, v29
	v_mov_b32_e32 v37, v39
	v_cmp_gt_u64_e32 vcc, s[44:45], v[36:37]
	s_and_saveexec_b64 s[58:59], vcc
	s_cbranch_execz .LBB6_1257
; %bb.1250:                             ;   in Loop: Header=BB6_124 Depth=2
	v_cmp_ne_u32_e32 vcc, 0, v29
	v_mov_b32_e32 v26, 0
	s_and_saveexec_b64 s[60:61], vcc
	s_cbranch_execz .LBB6_1256
; %bb.1251:                             ;   in Loop: Header=BB6_124 Depth=2
	v_bfe_u32 v26, v29, 23, 8
	v_sub_u32_e32 v36, 0x79, v26
	v_cmp_gt_u32_e32 vcc, s77, v26
	v_add_u32_e32 v29, 0xffffff81, v26
	v_cndmask_b32_e32 v36, 0, v36, vcc
	v_cmp_eq_u32_e32 vcc, 0, v26
	v_mov_b32_e32 v26, 0xffffff82
	v_cndmask_b32_e32 v26, v29, v26, vcc
	v_cndmask_b32_e32 v29, v36, v20, vcc
	v_or_b32_e32 v37, 0x800000, v2
	v_add_u32_e32 v36, 20, v29
	v_cndmask_b32_e32 v2, v37, v2, vcc
	v_lshlrev_b64 v[36:37], v36, -1
	v_not_b32_e32 v36, v36
	v_and_b32_e32 v36, v2, v36
	v_add_u32_e32 v51, 19, v29
	v_lshrrev_b64 v[2:3], v29, v[2:3]
	v_not_b32_e32 v37, v37
	v_lshlrev_b64 v[52:53], v51, 1
	v_lshrrev_b32_e32 v51, 23, v2
	v_and_b32_e32 v37, 0, v37
	v_add3_u32 v51, v29, v26, v51
	v_bfe_u32 v26, v2, 20, 1
	v_add_u32_e32 v26, -1, v26
	v_cmp_eq_u64_e32 vcc, v[36:37], v[52:53]
	v_cndmask_b32_e32 v26, 0, v26, vcc
	v_add_u32_e32 v26, v26, v2
	v_and_b32_e32 v26, 0xfffff, v26
	v_add_co_u32_e32 v2, vcc, v26, v2
	v_add_u32_e32 v29, 6, v51
	v_addc_co_u32_e32 v3, vcc, 0, v3, vcc
	v_cmp_ne_u32_e32 vcc, 0, v29
                                        ; implicit-def: $vgpr26
	s_and_saveexec_b64 s[22:23], vcc
	s_xor_b64 s[22:23], exec, s[22:23]
; %bb.1252:                             ;   in Loop: Header=BB6_124 Depth=2
	v_add_u32_e32 v26, 7, v51
	v_cmp_lt_u64_e32 vcc, s[48:49], v[2:3]
	v_cndmask_b32_e32 v26, v29, v26, vcc
	v_cndmask_b32_e64 v29, 0, 1, vcc
	v_lshrrev_b64 v[2:3], v29, v[2:3]
; %bb.1253:                             ;   in Loop: Header=BB6_124 Depth=2
	s_andn2_saveexec_b64 s[22:23], s[22:23]
; %bb.1254:                             ;   in Loop: Header=BB6_124 Depth=2
	v_bfe_u32 v26, v2, 23, 1
; %bb.1255:                             ;   in Loop: Header=BB6_124 Depth=2
	s_or_b64 exec, exec, s[22:23]
	v_lshrrev_b64 v[2:3], 20, v[2:3]
	v_cmp_gt_i32_e32 vcc, 16, v26
	v_cndmask_b32_e32 v3, 0, v3, vcc
	v_cndmask_b32_e32 v2, 7, v2, vcc
	v_cmp_eq_u64_e64 s[22:23], 0, v[2:3]
	v_min_i32_e32 v3, 15, v26
	v_lshlrev_b32_e32 v3, 3, v3
	v_cmp_eq_u32_e32 vcc, 0, v26
	v_and_b32_e32 v3, 0xf8, v3
	v_and_or_b32 v2, v2, 7, v3
	s_and_b64 s[22:23], vcc, s[22:23]
	v_cndmask_b32_e64 v2, v2, 0, s[22:23]
	v_accvgpr_read_b32 v53, a45
	v_or_b32_e32 v26, v2, v28
	v_accvgpr_read_b32 v52, a44
.LBB6_1256:                             ;   in Loop: Header=BB6_124 Depth=2
	s_or_b64 exec, exec, s[60:61]
.LBB6_1257:                             ;   in Loop: Header=BB6_124 Depth=2
	s_or_b64 exec, exec, s[58:59]
                                        ; implicit-def: $vgpr29
                                        ; implicit-def: $vgpr2_vgpr3
.LBB6_1258:                             ;   in Loop: Header=BB6_124 Depth=2
	s_andn2_saveexec_b64 s[22:23], s[56:57]
; %bb.1259:                             ;   in Loop: Header=BB6_124 Depth=2
	v_or_b32_sdwa v28, v29, s75 dst_sel:DWORD dst_unused:UNUSED_PAD src0_sel:BYTE_3 src1_sel:DWORD
	v_cmp_eq_u64_e32 vcc, 0, v[2:3]
	v_cndmask_b32_e32 v26, v28, v26, vcc
; %bb.1260:                             ;   in Loop: Header=BB6_124 Depth=2
	s_or_b64 exec, exec, s[22:23]
	v_cmp_lt_u32_e32 vcc, s47, v38
	v_mov_b32_e32 v3, 0
	v_mov_b32_e32 v28, 0
	s_and_saveexec_b64 s[22:23], vcc
	s_cbranch_execz .LBB6_1266
; %bb.1261:                             ;   in Loop: Header=BB6_124 Depth=2
	v_lshrrev_b32_e32 v2, 24, v38
	v_cmp_ne_u32_sdwa vcc, v38, s76 src0_sel:BYTE_3 src1_sel:DWORD
	v_bfrev_b32_e32 v28, 1
	s_and_saveexec_b64 s[56:57], vcc
	s_cbranch_execz .LBB6_1265
; %bb.1262:                             ;   in Loop: Header=BB6_124 Depth=2
	v_bfe_u32 v29, v38, 24, 7
	v_cmp_ne_u32_e32 vcc, s75, v29
	v_mov_b32_e32 v28, 0x7f800001
	s_and_saveexec_b64 s[58:59], vcc
	s_cbranch_execz .LBB6_1264
; %bb.1263:                             ;   in Loop: Header=BB6_124 Depth=2
	v_and_b32_e32 v28, 7, v2
	v_ffbh_u32_e32 v36, v28
	v_min_u32_e32 v52, 32, v36
	v_subrev_u32_e32 v36, 28, v52
	v_lshlrev_b64 v[36:37], v36, v[2:3]
	v_lshrrev_b32_e32 v51, 3, v29
	v_sub_u32_e32 v2, 29, v52
	v_and_b32_e32 v36, 7, v36
	v_cmp_gt_u32_e32 vcc, 8, v29
	v_mov_b32_e32 v29, 24
	v_cndmask_b32_e32 v2, v51, v2, vcc
	v_cndmask_b32_e32 v28, v28, v36, vcc
	v_lshlrev_b32_sdwa v29, v29, v38 dst_sel:DWORD dst_unused:UNUSED_PAD src0_sel:DWORD src1_sel:BYTE_3
	v_accvgpr_read_b32 v53, a45
	v_lshlrev_b32_e32 v28, 20, v28
	v_and_b32_e32 v29, 0x80000000, v29
	v_lshl_add_u32 v2, v2, 23, v31
	v_accvgpr_read_b32 v52, a44
	v_or3_b32 v28, v29, v2, v28
.LBB6_1264:                             ;   in Loop: Header=BB6_124 Depth=2
	s_or_b64 exec, exec, s[58:59]
.LBB6_1265:                             ;   in Loop: Header=BB6_124 Depth=2
	s_or_b64 exec, exec, s[56:57]
.LBB6_1266:                             ;   in Loop: Header=BB6_124 Depth=2
	s_or_b64 exec, exec, s[22:23]
	v_cmp_lt_u64_e32 vcc, s[46:47], v[10:11]
	s_and_saveexec_b64 s[22:23], vcc
	s_cbranch_execz .LBB6_1272
; %bb.1267:                             ;   in Loop: Header=BB6_124 Depth=2
	v_lshrrev_b32_e32 v2, 24, v11
	v_cmp_ne_u32_e32 vcc, s76, v2
	v_bfrev_b32_e32 v3, 1
	s_and_saveexec_b64 s[56:57], vcc
	s_cbranch_execz .LBB6_1271
; %bb.1268:                             ;   in Loop: Header=BB6_124 Depth=2
	v_bfe_u32 v10, v11, 24, 7
	v_cmp_ne_u32_e32 vcc, s75, v10
	v_mov_b32_e32 v3, 0x7f800001
	s_and_saveexec_b64 s[58:59], vcc
	s_cbranch_execz .LBB6_1270
; %bb.1269:                             ;   in Loop: Header=BB6_124 Depth=2
	v_and_b32_e32 v3, 7, v2
	v_ffbh_u32_e32 v29, v3
	v_min_u32_e32 v29, 32, v29
	v_subrev_u32_e32 v36, 28, v29
	v_lshlrev_b64 v[36:37], v36, v[2:3]
	v_lshrrev_b32_e32 v11, 3, v10
	v_sub_u32_e32 v29, 29, v29
	v_and_b32_e32 v36, 7, v36
	v_cmp_gt_u32_e32 vcc, 8, v10
	v_cndmask_b32_e32 v10, v11, v29, vcc
	v_cndmask_b32_e32 v3, v3, v36, vcc
	v_lshlrev_b32_e32 v2, 24, v2
	v_lshlrev_b32_e32 v3, 20, v3
	v_and_b32_e32 v2, 0x80000000, v2
	v_lshl_add_u32 v10, v10, 23, v31
	v_or3_b32 v3, v2, v10, v3
.LBB6_1270:                             ;   in Loop: Header=BB6_124 Depth=2
	s_or_b64 exec, exec, s[58:59]
.LBB6_1271:                             ;   in Loop: Header=BB6_124 Depth=2
	s_or_b64 exec, exec, s[56:57]
.LBB6_1272:                             ;   in Loop: Header=BB6_124 Depth=2
	s_or_b64 exec, exec, s[22:23]
	v_add_f32_e32 v2, v28, v3
	v_and_b32_sdwa v10, v2, s76 dst_sel:DWORD dst_unused:UNUSED_PAD src0_sel:BYTE_3 src1_sel:DWORD
	v_and_b32_e32 v28, 0x7f800000, v2
	v_mov_b32_e32 v29, v39
	v_and_b32_e32 v38, 0x7fffff, v2
	v_or_b32_e32 v11, 0x7e, v10
	v_cmp_ne_u64_e32 vcc, s[42:43], v[28:29]
	s_and_saveexec_b64 s[22:23], vcc
	s_xor_b64 s[56:57], exec, s[22:23]
	s_cbranch_execz .LBB6_1282
; %bb.1273:                             ;   in Loop: Header=BB6_124 Depth=2
	v_and_b32_e32 v28, 0x7fffffff, v2
	v_mov_b32_e32 v29, v39
	v_cmp_gt_u64_e32 vcc, s[44:45], v[28:29]
	s_and_saveexec_b64 s[58:59], vcc
	s_cbranch_execz .LBB6_1281
; %bb.1274:                             ;   in Loop: Header=BB6_124 Depth=2
	v_cmp_ne_u32_e32 vcc, 0, v2
	v_mov_b32_e32 v11, 0
	s_and_saveexec_b64 s[60:61], vcc
	s_cbranch_execz .LBB6_1280
; %bb.1275:                             ;   in Loop: Header=BB6_124 Depth=2
	v_bfe_u32 v2, v2, 23, 8
	v_sub_u32_e32 v11, 0x79, v2
	v_cmp_gt_u32_e32 vcc, s77, v2
	v_cndmask_b32_e32 v11, 0, v11, vcc
	v_cmp_eq_u32_e32 vcc, 0, v2
	v_add_u32_e32 v3, 0xffffff81, v2
	v_or_b32_e32 v28, 0x800000, v38
	v_mov_b32_e32 v2, 0xffffff82
	v_cndmask_b32_e32 v11, v11, v20, vcc
	v_cndmask_b32_e32 v29, v3, v2, vcc
	;; [unrolled: 1-line block ×3, first 2 shown]
	v_add_u32_e32 v2, 20, v11
	v_lshlrev_b64 v[2:3], v2, -1
	v_add_u32_e32 v28, 19, v11
	v_lshrrev_b64 v[52:53], v11, v[38:39]
	v_not_b32_e32 v3, v3
	v_not_b32_e32 v2, v2
	v_lshlrev_b64 v[36:37], v28, 1
	v_lshrrev_b32_e32 v28, 23, v52
	v_and_b32_e32 v3, 0, v3
	v_and_b32_e32 v2, v38, v2
	v_add3_u32 v29, v11, v29, v28
	v_bfe_u32 v11, v52, 20, 1
	v_add_u32_e32 v11, -1, v11
	v_cmp_eq_u64_e32 vcc, v[2:3], v[36:37]
	v_cndmask_b32_e32 v2, 0, v11, vcc
	v_add_u32_e32 v2, v2, v52
	v_and_b32_e32 v2, 0xfffff, v2
	v_add_co_u32_e32 v2, vcc, v2, v52
	v_add_u32_e32 v28, 6, v29
	v_addc_co_u32_e32 v3, vcc, 0, v53, vcc
	v_cmp_ne_u32_e32 vcc, 0, v28
                                        ; implicit-def: $vgpr11
	s_and_saveexec_b64 s[22:23], vcc
	s_xor_b64 s[22:23], exec, s[22:23]
; %bb.1276:                             ;   in Loop: Header=BB6_124 Depth=2
	v_add_u32_e32 v11, 7, v29
	v_cmp_lt_u64_e32 vcc, s[48:49], v[2:3]
	v_cndmask_b32_e32 v11, v28, v11, vcc
	v_cndmask_b32_e64 v28, 0, 1, vcc
	v_lshrrev_b64 v[2:3], v28, v[2:3]
; %bb.1277:                             ;   in Loop: Header=BB6_124 Depth=2
	s_andn2_saveexec_b64 s[22:23], s[22:23]
; %bb.1278:                             ;   in Loop: Header=BB6_124 Depth=2
	v_bfe_u32 v11, v2, 23, 1
; %bb.1279:                             ;   in Loop: Header=BB6_124 Depth=2
	s_or_b64 exec, exec, s[22:23]
	v_lshrrev_b64 v[2:3], 20, v[2:3]
	v_cmp_gt_i32_e32 vcc, 16, v11
	v_cndmask_b32_e32 v3, 0, v3, vcc
	v_cndmask_b32_e32 v2, 7, v2, vcc
	v_cmp_eq_u64_e64 s[22:23], 0, v[2:3]
	v_min_i32_e32 v3, 15, v11
	v_lshlrev_b32_e32 v3, 3, v3
	v_cmp_eq_u32_e32 vcc, 0, v11
	v_and_b32_e32 v3, 0xf8, v3
	v_and_or_b32 v2, v2, 7, v3
	s_and_b64 s[22:23], vcc, s[22:23]
	v_cndmask_b32_e64 v2, v2, 0, s[22:23]
	v_accvgpr_read_b32 v53, a45
	v_or_b32_e32 v11, v2, v10
	v_accvgpr_read_b32 v52, a44
.LBB6_1280:                             ;   in Loop: Header=BB6_124 Depth=2
	s_or_b64 exec, exec, s[60:61]
.LBB6_1281:                             ;   in Loop: Header=BB6_124 Depth=2
	s_or_b64 exec, exec, s[58:59]
                                        ; implicit-def: $vgpr2
.LBB6_1282:                             ;   in Loop: Header=BB6_124 Depth=2
	s_andn2_saveexec_b64 s[22:23], s[56:57]
; %bb.1283:                             ;   in Loop: Header=BB6_124 Depth=2
	v_or_b32_sdwa v2, v2, s75 dst_sel:DWORD dst_unused:UNUSED_PAD src0_sel:BYTE_3 src1_sel:DWORD
	v_cmp_eq_u64_e32 vcc, 0, v[38:39]
	v_cndmask_b32_e32 v11, v2, v11, vcc
; %bb.1284:                             ;   in Loop: Header=BB6_124 Depth=2
	s_or_b64 exec, exec, s[22:23]
	v_lshlrev_b32_e32 v10, 8, v32
	v_cmp_ne_u16_sdwa vcc, v18, v39 src0_sel:BYTE_0 src1_sel:DWORD
	v_mov_b32_e32 v2, 0
	v_mov_b32_e32 v3, 0
	s_and_saveexec_b64 s[22:23], vcc
	s_cbranch_execz .LBB6_1290
; %bb.1285:                             ;   in Loop: Header=BB6_124 Depth=2
	v_cmp_ne_u16_sdwa vcc, v18, s76 src0_sel:BYTE_0 src1_sel:DWORD
	v_bfrev_b32_e32 v3, 1
	s_and_saveexec_b64 s[56:57], vcc
	s_cbranch_execz .LBB6_1289
; %bb.1286:                             ;   in Loop: Header=BB6_124 Depth=2
	v_and_b32_e32 v28, 0x7f, v18
	v_cmp_ne_u32_e32 vcc, s75, v28
	v_mov_b32_e32 v3, 0x7f800001
	s_and_saveexec_b64 s[58:59], vcc
	s_cbranch_execz .LBB6_1288
; %bb.1287:                             ;   in Loop: Header=BB6_124 Depth=2
	v_and_b32_e32 v3, 7, v18
	v_ffbh_u32_e32 v3, v3
	v_min_u32_e32 v3, 32, v3
	v_subrev_u32_e32 v36, 28, v3
	v_cmp_gt_u32_e32 vcc, 8, v28
	v_lshrrev_b32_e32 v29, 3, v28
	v_perm_b32 v32, v10, v18, s78
	v_sub_u32_e32 v3, 29, v3
	v_cndmask_b32_e32 v28, 0, v36, vcc
	v_cndmask_b32_e32 v3, v29, v3, vcc
	v_lshlrev_b64 v[28:29], v28, v[32:33]
	v_lshlrev_b32_e32 v28, 20, v28
	v_lshlrev_b32_e32 v18, 24, v18
	v_and_b32_e32 v28, 0x700000, v28
	v_and_b32_e32 v18, 0x80000000, v18
	v_lshl_add_u32 v3, v3, 23, v31
	v_or3_b32 v3, v18, v3, v28
.LBB6_1288:                             ;   in Loop: Header=BB6_124 Depth=2
	s_or_b64 exec, exec, s[58:59]
.LBB6_1289:                             ;   in Loop: Header=BB6_124 Depth=2
	s_or_b64 exec, exec, s[56:57]
.LBB6_1290:                             ;   in Loop: Header=BB6_124 Depth=2
	s_or_b64 exec, exec, s[22:23]
	v_cmp_ne_u16_sdwa vcc, v12, v39 src0_sel:BYTE_0 src1_sel:DWORD
	s_and_saveexec_b64 s[22:23], vcc
	s_cbranch_execz .LBB6_1296
; %bb.1291:                             ;   in Loop: Header=BB6_124 Depth=2
	v_cmp_ne_u16_sdwa vcc, v12, s76 src0_sel:BYTE_0 src1_sel:DWORD
	v_bfrev_b32_e32 v2, 1
	s_and_saveexec_b64 s[56:57], vcc
	s_cbranch_execz .LBB6_1295
; %bb.1292:                             ;   in Loop: Header=BB6_124 Depth=2
	v_and_b32_e32 v18, 0x7f, v12
	v_cmp_ne_u32_e32 vcc, s75, v18
	v_mov_b32_e32 v2, 0x7f800001
	s_and_saveexec_b64 s[58:59], vcc
	s_cbranch_execz .LBB6_1294
; %bb.1293:                             ;   in Loop: Header=BB6_124 Depth=2
	v_and_b32_e32 v2, 7, v12
	v_ffbh_u32_e32 v2, v2
	v_min_u32_e32 v2, 32, v2
	v_subrev_u32_e32 v29, 28, v2
	v_cmp_gt_u32_e32 vcc, 8, v18
	v_lshrrev_b32_e32 v28, 3, v18
	v_sub_u32_e32 v2, 29, v2
	v_cndmask_b32_e32 v18, 0, v29, vcc
	v_cndmask_b32_e32 v2, v28, v2, vcc
	v_lshlrev_b64 v[28:29], v18, v[12:13]
	v_lshlrev_b32_e32 v18, 20, v28
	v_lshlrev_b32_e32 v28, 24, v12
	v_and_b32_e32 v18, 0x700000, v18
	v_and_b32_e32 v28, 0x80000000, v28
	v_lshl_add_u32 v2, v2, 23, v31
	v_or3_b32 v2, v28, v2, v18
.LBB6_1294:                             ;   in Loop: Header=BB6_124 Depth=2
	s_or_b64 exec, exec, s[58:59]
.LBB6_1295:                             ;   in Loop: Header=BB6_124 Depth=2
	s_or_b64 exec, exec, s[56:57]
.LBB6_1296:                             ;   in Loop: Header=BB6_124 Depth=2
	s_or_b64 exec, exec, s[22:23]
	v_add_f32_e32 v2, v3, v2
	v_and_b32_sdwa v28, v2, s76 dst_sel:DWORD dst_unused:UNUSED_PAD src0_sel:BYTE_3 src1_sel:DWORD
	v_and_b32_e32 v36, 0x7f800000, v2
	v_mov_b32_e32 v37, v39
	v_and_b32_e32 v38, 0x7fffff, v2
	v_or_b32_e32 v18, 0x7e, v28
	v_cmp_ne_u64_e32 vcc, s[42:43], v[36:37]
	s_and_saveexec_b64 s[22:23], vcc
	s_xor_b64 s[56:57], exec, s[22:23]
	s_cbranch_execz .LBB6_1306
; %bb.1297:                             ;   in Loop: Header=BB6_124 Depth=2
	v_and_b32_e32 v36, 0x7fffffff, v2
	v_mov_b32_e32 v37, v39
	v_cmp_gt_u64_e32 vcc, s[44:45], v[36:37]
	s_and_saveexec_b64 s[58:59], vcc
	s_cbranch_execz .LBB6_1305
; %bb.1298:                             ;   in Loop: Header=BB6_124 Depth=2
	v_cmp_ne_u32_e32 vcc, 0, v2
	v_mov_b32_e32 v18, 0
	s_and_saveexec_b64 s[60:61], vcc
	s_cbranch_execz .LBB6_1304
; %bb.1299:                             ;   in Loop: Header=BB6_124 Depth=2
	v_bfe_u32 v2, v2, 23, 8
	v_sub_u32_e32 v18, 0x79, v2
	v_cmp_gt_u32_e32 vcc, s77, v2
	v_cndmask_b32_e32 v18, 0, v18, vcc
	v_cmp_eq_u32_e32 vcc, 0, v2
	v_add_u32_e32 v3, 0xffffff81, v2
	v_or_b32_e32 v29, 0x800000, v38
	v_mov_b32_e32 v2, 0xffffff82
	v_cndmask_b32_e32 v18, v18, v20, vcc
	v_cndmask_b32_e32 v32, v3, v2, vcc
	;; [unrolled: 1-line block ×3, first 2 shown]
	v_add_u32_e32 v2, 20, v18
	v_lshlrev_b64 v[2:3], v2, -1
	v_add_u32_e32 v29, 19, v18
	v_lshrrev_b64 v[52:53], v18, v[38:39]
	v_not_b32_e32 v3, v3
	v_not_b32_e32 v2, v2
	v_lshlrev_b64 v[36:37], v29, 1
	v_lshrrev_b32_e32 v29, 23, v52
	v_and_b32_e32 v3, 0, v3
	v_and_b32_e32 v2, v38, v2
	v_add3_u32 v32, v18, v32, v29
	v_bfe_u32 v18, v52, 20, 1
	v_add_u32_e32 v18, -1, v18
	v_cmp_eq_u64_e32 vcc, v[2:3], v[36:37]
	v_cndmask_b32_e32 v2, 0, v18, vcc
	v_add_u32_e32 v2, v2, v52
	v_and_b32_e32 v2, 0xfffff, v2
	v_add_co_u32_e32 v2, vcc, v2, v52
	v_add_u32_e32 v29, 6, v32
	v_addc_co_u32_e32 v3, vcc, 0, v53, vcc
	v_cmp_ne_u32_e32 vcc, 0, v29
                                        ; implicit-def: $vgpr18
	s_and_saveexec_b64 s[22:23], vcc
	s_xor_b64 s[22:23], exec, s[22:23]
; %bb.1300:                             ;   in Loop: Header=BB6_124 Depth=2
	v_add_u32_e32 v18, 7, v32
	v_cmp_lt_u64_e32 vcc, s[48:49], v[2:3]
	v_cndmask_b32_e32 v18, v29, v18, vcc
	v_cndmask_b32_e64 v29, 0, 1, vcc
	v_lshrrev_b64 v[2:3], v29, v[2:3]
; %bb.1301:                             ;   in Loop: Header=BB6_124 Depth=2
	s_andn2_saveexec_b64 s[22:23], s[22:23]
; %bb.1302:                             ;   in Loop: Header=BB6_124 Depth=2
	v_bfe_u32 v18, v2, 23, 1
; %bb.1303:                             ;   in Loop: Header=BB6_124 Depth=2
	s_or_b64 exec, exec, s[22:23]
	v_lshrrev_b64 v[2:3], 20, v[2:3]
	v_cmp_gt_i32_e32 vcc, 16, v18
	v_cndmask_b32_e32 v3, 0, v3, vcc
	v_cndmask_b32_e32 v2, 7, v2, vcc
	v_cmp_eq_u64_e64 s[22:23], 0, v[2:3]
	v_min_i32_e32 v3, 15, v18
	v_cmp_eq_u32_e32 vcc, 0, v18
	v_lshlrev_b32_e32 v3, 3, v3
	v_and_or_b32 v2, v2, 7, v3
	s_and_b64 s[22:23], vcc, s[22:23]
	v_cndmask_b32_e64 v2, v2, 0, s[22:23]
	v_accvgpr_read_b32 v53, a45
	v_or_b32_e32 v18, v2, v28
	v_accvgpr_read_b32 v52, a44
.LBB6_1304:                             ;   in Loop: Header=BB6_124 Depth=2
	s_or_b64 exec, exec, s[60:61]
.LBB6_1305:                             ;   in Loop: Header=BB6_124 Depth=2
	s_or_b64 exec, exec, s[58:59]
                                        ; implicit-def: $vgpr2
.LBB6_1306:                             ;   in Loop: Header=BB6_124 Depth=2
	s_andn2_saveexec_b64 s[22:23], s[56:57]
; %bb.1307:                             ;   in Loop: Header=BB6_124 Depth=2
	v_or_b32_sdwa v2, v2, s75 dst_sel:DWORD dst_unused:UNUSED_PAD src0_sel:BYTE_3 src1_sel:DWORD
	v_cmp_eq_u64_e32 vcc, 0, v[38:39]
	v_cndmask_b32_e32 v18, v2, v18, vcc
; %bb.1308:                             ;   in Loop: Header=BB6_124 Depth=2
	s_or_b64 exec, exec, s[22:23]
	v_lshrrev_b16_e32 v2, 8, v10
	v_cmp_ne_u16_e32 vcc, 0, v2
	v_mov_b32_e32 v3, 0
	v_mov_b32_e32 v28, 0
	s_and_saveexec_b64 s[22:23], vcc
	s_cbranch_execz .LBB6_1314
; %bb.1309:                             ;   in Loop: Header=BB6_124 Depth=2
	v_cmp_ne_u16_e32 vcc, s76, v2
	v_bfrev_b32_e32 v28, 1
	s_and_saveexec_b64 s[56:57], vcc
	s_cbranch_execz .LBB6_1313
; %bb.1310:                             ;   in Loop: Header=BB6_124 Depth=2
	v_and_b32_e32 v29, 0x7f, v2
	v_cmp_ne_u32_e32 vcc, s75, v29
	v_mov_b32_e32 v28, 0x7f800001
	s_and_saveexec_b64 s[58:59], vcc
	s_cbranch_execz .LBB6_1312
; %bb.1311:                             ;   in Loop: Header=BB6_124 Depth=2
	v_and_b32_e32 v28, 7, v2
	v_ffbh_u32_e32 v36, v28
	v_min_u32_e32 v38, 32, v36
	v_subrev_u32_e32 v36, 28, v38
	v_lshlrev_b64 v[36:37], v36, v[2:3]
	v_lshrrev_b32_e32 v32, 3, v29
	v_sub_u32_e32 v2, 29, v38
	v_and_b32_e32 v36, 7, v36
	v_cmp_gt_u32_e32 vcc, 8, v29
	v_cndmask_b32_e32 v2, v32, v2, vcc
	v_cndmask_b32_e32 v28, v28, v36, vcc
	v_lshlrev_b32_e32 v10, 16, v10
	v_lshlrev_b32_e32 v28, 20, v28
	v_and_b32_e32 v10, 0x80000000, v10
	v_lshl_add_u32 v2, v2, 23, v31
	v_or3_b32 v28, v10, v2, v28
.LBB6_1312:                             ;   in Loop: Header=BB6_124 Depth=2
	s_or_b64 exec, exec, s[58:59]
.LBB6_1313:                             ;   in Loop: Header=BB6_124 Depth=2
	s_or_b64 exec, exec, s[56:57]
.LBB6_1314:                             ;   in Loop: Header=BB6_124 Depth=2
	s_or_b64 exec, exec, s[22:23]
	v_lshrrev_b16_e32 v2, 8, v12
	v_cmp_ne_u16_e32 vcc, 0, v2
	s_and_saveexec_b64 s[22:23], vcc
	s_cbranch_execz .LBB6_1320
; %bb.1315:                             ;   in Loop: Header=BB6_124 Depth=2
	v_cmp_ne_u16_e32 vcc, s76, v2
	v_bfrev_b32_e32 v3, 1
	s_and_saveexec_b64 s[56:57], vcc
	s_cbranch_execz .LBB6_1319
; %bb.1316:                             ;   in Loop: Header=BB6_124 Depth=2
	v_and_b32_e32 v10, 0x7f, v2
	v_cmp_ne_u32_e32 vcc, s75, v10
	v_mov_b32_e32 v3, 0x7f800001
	s_and_saveexec_b64 s[58:59], vcc
	s_cbranch_execz .LBB6_1318
; %bb.1317:                             ;   in Loop: Header=BB6_124 Depth=2
	v_and_b32_e32 v29, 7, v2
	v_ffbh_u32_e32 v3, v29
	v_min_u32_e32 v36, 32, v3
	v_subrev_u32_e32 v3, 28, v36
	v_lshlrev_b64 v[2:3], v3, v[2:3]
	v_lshrrev_b32_e32 v32, 3, v10
	v_sub_u32_e32 v3, 29, v36
	v_and_b32_e32 v2, 7, v2
	v_cmp_gt_u32_e32 vcc, 8, v10
	v_cndmask_b32_e32 v3, v32, v3, vcc
	v_cndmask_b32_e32 v2, v29, v2, vcc
	v_lshlrev_b32_e32 v10, 16, v12
	v_lshlrev_b32_e32 v2, 20, v2
	v_and_b32_e32 v10, 0x80000000, v10
	v_lshl_add_u32 v3, v3, 23, v31
	v_or3_b32 v3, v10, v3, v2
.LBB6_1318:                             ;   in Loop: Header=BB6_124 Depth=2
	s_or_b64 exec, exec, s[58:59]
.LBB6_1319:                             ;   in Loop: Header=BB6_124 Depth=2
	s_or_b64 exec, exec, s[56:57]
.LBB6_1320:                             ;   in Loop: Header=BB6_124 Depth=2
	s_or_b64 exec, exec, s[22:23]
	v_add_f32_e32 v2, v28, v3
	v_and_b32_sdwa v10, v2, s76 dst_sel:DWORD dst_unused:UNUSED_PAD src0_sel:BYTE_3 src1_sel:DWORD
	v_and_b32_e32 v28, 0x7f800000, v2
	v_mov_b32_e32 v29, v39
	v_and_b32_e32 v38, 0x7fffff, v2
	v_or_b32_e32 v32, 0x7e, v10
	v_cmp_ne_u64_e32 vcc, s[42:43], v[28:29]
	s_and_saveexec_b64 s[22:23], vcc
	s_xor_b64 s[56:57], exec, s[22:23]
	s_cbranch_execz .LBB6_1330
; %bb.1321:                             ;   in Loop: Header=BB6_124 Depth=2
	v_and_b32_e32 v28, 0x7fffffff, v2
	v_mov_b32_e32 v29, v39
	v_cmp_gt_u64_e32 vcc, s[44:45], v[28:29]
	s_and_saveexec_b64 s[58:59], vcc
	s_cbranch_execz .LBB6_1329
; %bb.1322:                             ;   in Loop: Header=BB6_124 Depth=2
	v_cmp_ne_u32_e32 vcc, 0, v2
	v_mov_b32_e32 v32, 0
	s_and_saveexec_b64 s[60:61], vcc
	s_cbranch_execz .LBB6_1328
; %bb.1323:                             ;   in Loop: Header=BB6_124 Depth=2
	v_bfe_u32 v2, v2, 23, 8
	v_sub_u32_e32 v28, 0x79, v2
	v_cmp_gt_u32_e32 vcc, s77, v2
	v_cndmask_b32_e32 v28, 0, v28, vcc
	v_cmp_eq_u32_e32 vcc, 0, v2
	v_add_u32_e32 v3, 0xffffff81, v2
	v_or_b32_e32 v29, 0x800000, v38
	v_mov_b32_e32 v2, 0xffffff82
	v_cndmask_b32_e32 v28, v28, v20, vcc
	v_cndmask_b32_e32 v32, v3, v2, vcc
	;; [unrolled: 1-line block ×3, first 2 shown]
	v_add_u32_e32 v2, 20, v28
	v_lshlrev_b64 v[2:3], v2, -1
	v_add_u32_e32 v29, 19, v28
	v_lshrrev_b64 v[52:53], v28, v[38:39]
	v_not_b32_e32 v3, v3
	v_not_b32_e32 v2, v2
	v_lshlrev_b64 v[36:37], v29, 1
	v_lshrrev_b32_e32 v29, 23, v52
	v_and_b32_e32 v3, 0, v3
	v_and_b32_e32 v2, v38, v2
	v_add3_u32 v32, v28, v32, v29
	v_bfe_u32 v28, v52, 20, 1
	v_add_u32_e32 v28, -1, v28
	v_cmp_eq_u64_e32 vcc, v[2:3], v[36:37]
	v_cndmask_b32_e32 v2, 0, v28, vcc
	v_add_u32_e32 v2, v2, v52
	v_and_b32_e32 v2, 0xfffff, v2
	v_add_co_u32_e32 v2, vcc, v2, v52
	v_add_u32_e32 v29, 6, v32
	v_addc_co_u32_e32 v3, vcc, 0, v53, vcc
	v_cmp_ne_u32_e32 vcc, 0, v29
                                        ; implicit-def: $vgpr28
	s_and_saveexec_b64 s[22:23], vcc
	s_xor_b64 s[22:23], exec, s[22:23]
; %bb.1324:                             ;   in Loop: Header=BB6_124 Depth=2
	v_add_u32_e32 v28, 7, v32
	v_cmp_lt_u64_e32 vcc, s[48:49], v[2:3]
	v_cndmask_b32_e32 v28, v29, v28, vcc
	v_cndmask_b32_e64 v29, 0, 1, vcc
	v_lshrrev_b64 v[2:3], v29, v[2:3]
; %bb.1325:                             ;   in Loop: Header=BB6_124 Depth=2
	s_andn2_saveexec_b64 s[22:23], s[22:23]
; %bb.1326:                             ;   in Loop: Header=BB6_124 Depth=2
	v_bfe_u32 v28, v2, 23, 1
; %bb.1327:                             ;   in Loop: Header=BB6_124 Depth=2
	s_or_b64 exec, exec, s[22:23]
	v_lshrrev_b64 v[2:3], 20, v[2:3]
	v_cmp_gt_i32_e32 vcc, 16, v28
	v_cndmask_b32_e32 v3, 0, v3, vcc
	v_cndmask_b32_e32 v2, 7, v2, vcc
	v_cmp_eq_u64_e64 s[22:23], 0, v[2:3]
	v_min_i32_e32 v3, 15, v28
	v_cmp_eq_u32_e32 vcc, 0, v28
	v_lshlrev_b32_e32 v3, 3, v3
	v_and_or_b32 v2, v2, 7, v3
	s_and_b64 s[22:23], vcc, s[22:23]
	v_cndmask_b32_e64 v2, v2, 0, s[22:23]
	v_accvgpr_read_b32 v53, a45
	v_or_b32_e32 v32, v2, v10
	v_accvgpr_read_b32 v52, a44
.LBB6_1328:                             ;   in Loop: Header=BB6_124 Depth=2
	s_or_b64 exec, exec, s[60:61]
.LBB6_1329:                             ;   in Loop: Header=BB6_124 Depth=2
	s_or_b64 exec, exec, s[58:59]
                                        ; implicit-def: $vgpr2
.LBB6_1330:                             ;   in Loop: Header=BB6_124 Depth=2
	s_andn2_saveexec_b64 s[22:23], s[56:57]
; %bb.1331:                             ;   in Loop: Header=BB6_124 Depth=2
	v_or_b32_sdwa v2, v2, s75 dst_sel:DWORD dst_unused:UNUSED_PAD src0_sel:BYTE_3 src1_sel:DWORD
	v_cmp_eq_u64_e32 vcc, 0, v[38:39]
	v_cndmask_b32_e32 v32, v2, v32, vcc
; %bb.1332:                             ;   in Loop: Header=BB6_124 Depth=2
	s_or_b64 exec, exec, s[22:23]
	v_cmp_ne_u16_sdwa vcc, v58, v39 src0_sel:BYTE_0 src1_sel:DWORD
	v_mov_b32_e32 v3, 0
	v_mov_b32_e32 v10, 0
	s_and_saveexec_b64 s[22:23], vcc
	s_cbranch_execz .LBB6_1338
; %bb.1333:                             ;   in Loop: Header=BB6_124 Depth=2
	v_cmp_ne_u16_sdwa vcc, v58, s76 src0_sel:BYTE_0 src1_sel:DWORD
	v_bfrev_b32_e32 v10, 1
	s_and_saveexec_b64 s[56:57], vcc
	s_cbranch_execz .LBB6_1337
; %bb.1334:                             ;   in Loop: Header=BB6_124 Depth=2
	v_and_b32_e32 v2, 0x7f, v58
	v_cmp_ne_u32_e32 vcc, s75, v2
	v_mov_b32_e32 v10, 0x7f800001
	s_and_saveexec_b64 s[58:59], vcc
	s_cbranch_execz .LBB6_1336
; %bb.1335:                             ;   in Loop: Header=BB6_124 Depth=2
	v_and_b32_e32 v10, 7, v58
	v_ffbh_u32_e32 v28, v10
	v_min_u32_e32 v37, 32, v28
	v_subrev_u32_e32 v28, 28, v37
	v_lshlrev_b64 v[28:29], v28, v[58:59]
	v_lshrrev_b32_e32 v36, 3, v2
	v_sub_u32_e32 v29, 29, v37
	v_and_b32_e32 v28, 7, v28
	v_cmp_gt_u32_e32 vcc, 8, v2
	v_cndmask_b32_e32 v2, v36, v29, vcc
	v_cndmask_b32_e32 v10, v10, v28, vcc
	v_lshlrev_b32_e32 v28, 24, v58
	v_lshlrev_b32_e32 v10, 20, v10
	v_and_b32_e32 v28, 0x80000000, v28
	v_lshl_add_u32 v2, v2, 23, v31
	v_or3_b32 v10, v28, v2, v10
.LBB6_1336:                             ;   in Loop: Header=BB6_124 Depth=2
	s_or_b64 exec, exec, s[58:59]
.LBB6_1337:                             ;   in Loop: Header=BB6_124 Depth=2
	s_or_b64 exec, exec, s[56:57]
.LBB6_1338:                             ;   in Loop: Header=BB6_124 Depth=2
	s_or_b64 exec, exec, s[22:23]
	v_lshrrev_b32_e32 v2, 16, v12
	v_cmp_ne_u16_sdwa vcc, v2, v39 src0_sel:BYTE_0 src1_sel:DWORD
	s_and_saveexec_b64 s[22:23], vcc
	s_cbranch_execz .LBB6_1344
; %bb.1339:                             ;   in Loop: Header=BB6_124 Depth=2
	v_cmp_ne_u16_sdwa vcc, v2, s76 src0_sel:BYTE_0 src1_sel:DWORD
	v_bfrev_b32_e32 v3, 1
	s_and_saveexec_b64 s[56:57], vcc
	s_cbranch_execz .LBB6_1343
; %bb.1340:                             ;   in Loop: Header=BB6_124 Depth=2
	v_bfe_u32 v28, v12, 16, 7
	v_cmp_ne_u32_e32 vcc, s75, v28
	v_mov_b32_e32 v3, 0x7f800001
	s_and_saveexec_b64 s[58:59], vcc
	s_cbranch_execz .LBB6_1342
; %bb.1341:                             ;   in Loop: Header=BB6_124 Depth=2
	v_and_b32_e32 v29, 7, v2
	v_ffbh_u32_e32 v3, v29
	v_min_u32_e32 v37, 32, v3
	v_subrev_u32_e32 v3, 28, v37
	v_lshlrev_b64 v[2:3], v3, v[2:3]
	v_lshrrev_b32_e32 v36, 3, v28
	v_sub_u32_e32 v3, 29, v37
	v_and_b32_e32 v2, 7, v2
	v_cmp_gt_u32_e32 vcc, 8, v28
	v_cndmask_b32_e32 v3, v36, v3, vcc
	v_cndmask_b32_e32 v2, v29, v2, vcc
	v_lshlrev_b32_e32 v28, 8, v12
	v_lshlrev_b32_e32 v2, 20, v2
	v_and_b32_e32 v28, 0x80000000, v28
	v_lshl_add_u32 v3, v3, 23, v31
	v_or3_b32 v3, v28, v3, v2
.LBB6_1342:                             ;   in Loop: Header=BB6_124 Depth=2
	s_or_b64 exec, exec, s[58:59]
.LBB6_1343:                             ;   in Loop: Header=BB6_124 Depth=2
	s_or_b64 exec, exec, s[56:57]
.LBB6_1344:                             ;   in Loop: Header=BB6_124 Depth=2
	s_or_b64 exec, exec, s[22:23]
	v_add_f32_e32 v2, v10, v3
	v_and_b32_sdwa v10, v2, s76 dst_sel:DWORD dst_unused:UNUSED_PAD src0_sel:BYTE_3 src1_sel:DWORD
	v_and_b32_e32 v36, 0x7f800000, v2
	v_mov_b32_e32 v37, v39
	v_and_b32_e32 v38, 0x7fffff, v2
	v_or_b32_e32 v28, 0x7e, v10
	v_cmp_ne_u64_e32 vcc, s[42:43], v[36:37]
	s_and_saveexec_b64 s[22:23], vcc
	s_xor_b64 s[56:57], exec, s[22:23]
	s_cbranch_execz .LBB6_1354
; %bb.1345:                             ;   in Loop: Header=BB6_124 Depth=2
	v_and_b32_e32 v36, 0x7fffffff, v2
	v_mov_b32_e32 v37, v39
	v_cmp_gt_u64_e32 vcc, s[44:45], v[36:37]
	s_and_saveexec_b64 s[58:59], vcc
	s_cbranch_execz .LBB6_1353
; %bb.1346:                             ;   in Loop: Header=BB6_124 Depth=2
	v_cmp_ne_u32_e32 vcc, 0, v2
	v_mov_b32_e32 v28, 0
	s_and_saveexec_b64 s[60:61], vcc
	s_cbranch_execz .LBB6_1352
; %bb.1347:                             ;   in Loop: Header=BB6_124 Depth=2
	v_bfe_u32 v2, v2, 23, 8
	v_sub_u32_e32 v28, 0x79, v2
	v_cmp_gt_u32_e32 vcc, s77, v2
	v_cndmask_b32_e32 v28, 0, v28, vcc
	v_cmp_eq_u32_e32 vcc, 0, v2
	v_add_u32_e32 v3, 0xffffff81, v2
	v_or_b32_e32 v29, 0x800000, v38
	v_mov_b32_e32 v2, 0xffffff82
	v_cndmask_b32_e32 v28, v28, v20, vcc
	v_cndmask_b32_e32 v51, v3, v2, vcc
	;; [unrolled: 1-line block ×3, first 2 shown]
	v_add_u32_e32 v2, 20, v28
	v_lshlrev_b64 v[2:3], v2, -1
	v_add_u32_e32 v29, 19, v28
	v_lshrrev_b64 v[52:53], v28, v[38:39]
	v_not_b32_e32 v3, v3
	v_not_b32_e32 v2, v2
	v_lshlrev_b64 v[36:37], v29, 1
	v_lshrrev_b32_e32 v29, 23, v52
	v_and_b32_e32 v3, 0, v3
	v_and_b32_e32 v2, v38, v2
	v_add3_u32 v38, v28, v51, v29
	v_bfe_u32 v28, v52, 20, 1
	v_add_u32_e32 v28, -1, v28
	v_cmp_eq_u64_e32 vcc, v[2:3], v[36:37]
	v_cndmask_b32_e32 v2, 0, v28, vcc
	v_add_u32_e32 v2, v2, v52
	v_and_b32_e32 v2, 0xfffff, v2
	v_add_co_u32_e32 v2, vcc, v2, v52
	v_add_u32_e32 v29, 6, v38
	v_addc_co_u32_e32 v3, vcc, 0, v53, vcc
	v_cmp_ne_u32_e32 vcc, 0, v29
                                        ; implicit-def: $vgpr28
	s_and_saveexec_b64 s[22:23], vcc
	s_xor_b64 s[22:23], exec, s[22:23]
; %bb.1348:                             ;   in Loop: Header=BB6_124 Depth=2
	v_add_u32_e32 v28, 7, v38
	v_cmp_lt_u64_e32 vcc, s[48:49], v[2:3]
	v_cndmask_b32_e32 v28, v29, v28, vcc
	v_cndmask_b32_e64 v29, 0, 1, vcc
	v_lshrrev_b64 v[2:3], v29, v[2:3]
; %bb.1349:                             ;   in Loop: Header=BB6_124 Depth=2
	s_andn2_saveexec_b64 s[22:23], s[22:23]
; %bb.1350:                             ;   in Loop: Header=BB6_124 Depth=2
	v_bfe_u32 v28, v2, 23, 1
; %bb.1351:                             ;   in Loop: Header=BB6_124 Depth=2
	s_or_b64 exec, exec, s[22:23]
	v_lshrrev_b64 v[2:3], 20, v[2:3]
	v_cmp_gt_i32_e32 vcc, 16, v28
	v_cndmask_b32_e32 v3, 0, v3, vcc
	v_cndmask_b32_e32 v2, 7, v2, vcc
	v_cmp_eq_u64_e64 s[22:23], 0, v[2:3]
	v_min_i32_e32 v3, 15, v28
	v_cmp_eq_u32_e32 vcc, 0, v28
	v_lshlrev_b32_e32 v3, 3, v3
	v_and_or_b32 v2, v2, 7, v3
	s_and_b64 s[22:23], vcc, s[22:23]
	v_cndmask_b32_e64 v2, v2, 0, s[22:23]
	v_accvgpr_read_b32 v53, a45
	v_or_b32_e32 v28, v2, v10
	v_accvgpr_read_b32 v52, a44
.LBB6_1352:                             ;   in Loop: Header=BB6_124 Depth=2
	s_or_b64 exec, exec, s[60:61]
.LBB6_1353:                             ;   in Loop: Header=BB6_124 Depth=2
	s_or_b64 exec, exec, s[58:59]
                                        ; implicit-def: $vgpr2
.LBB6_1354:                             ;   in Loop: Header=BB6_124 Depth=2
	s_andn2_saveexec_b64 s[22:23], s[56:57]
; %bb.1355:                             ;   in Loop: Header=BB6_124 Depth=2
	v_or_b32_sdwa v2, v2, s75 dst_sel:DWORD dst_unused:UNUSED_PAD src0_sel:BYTE_3 src1_sel:DWORD
	v_cmp_eq_u64_e32 vcc, 0, v[38:39]
	v_cndmask_b32_e32 v28, v2, v28, vcc
; %bb.1356:                             ;   in Loop: Header=BB6_124 Depth=2
	s_or_b64 exec, exec, s[22:23]
	v_lshlrev_b32_e32 v2, 8, v4
	v_and_b32_e32 v2, 0xff00, v2
	v_cmp_ne_u32_e32 vcc, 0, v2
	v_mov_b32_e32 v3, 0
	v_mov_b32_e32 v4, 0
	s_and_saveexec_b64 s[22:23], vcc
	s_cbranch_execz .LBB6_1362
; %bb.1357:                             ;   in Loop: Header=BB6_124 Depth=2
	v_cmp_ne_u32_e32 vcc, s79, v2
	v_bfrev_b32_e32 v4, 1
	s_and_saveexec_b64 s[56:57], vcc
	s_cbranch_execz .LBB6_1361
; %bb.1358:                             ;   in Loop: Header=BB6_124 Depth=2
	v_bfe_u32 v10, v2, 8, 7
	v_cmp_ne_u32_e32 vcc, s75, v10
	v_mov_b32_e32 v4, 0x7f800001
	s_and_saveexec_b64 s[58:59], vcc
	s_cbranch_execz .LBB6_1360
; %bb.1359:                             ;   in Loop: Header=BB6_124 Depth=2
	v_lshrrev_b32_e32 v4, 8, v2
	v_and_b32_e32 v29, 7, v4
	v_ffbh_u32_e32 v36, v29
	v_min_u32_e32 v51, 32, v36
	v_subrev_u32_e32 v36, 28, v51
	v_lshlrev_b64 v[36:37], v36, v[4:5]
	v_lshrrev_b32_e32 v38, 3, v10
	v_sub_u32_e32 v4, 29, v51
	v_and_b32_e32 v36, 7, v36
	v_cmp_gt_u32_e32 vcc, 8, v10
	v_cndmask_b32_e32 v4, v38, v4, vcc
	v_cndmask_b32_e32 v10, v29, v36, vcc
	v_lshlrev_b32_e32 v2, 16, v2
	v_lshlrev_b32_e32 v10, 20, v10
	v_and_b32_e32 v2, 0x80000000, v2
	v_lshl_add_u32 v4, v4, 23, v31
	v_or3_b32 v4, v2, v4, v10
.LBB6_1360:                             ;   in Loop: Header=BB6_124 Depth=2
	s_or_b64 exec, exec, s[58:59]
.LBB6_1361:                             ;   in Loop: Header=BB6_124 Depth=2
	s_or_b64 exec, exec, s[56:57]
.LBB6_1362:                             ;   in Loop: Header=BB6_124 Depth=2
	s_or_b64 exec, exec, s[22:23]
	v_cmp_lt_u32_e32 vcc, s47, v12
	s_and_saveexec_b64 s[22:23], vcc
	s_cbranch_execz .LBB6_1368
; %bb.1363:                             ;   in Loop: Header=BB6_124 Depth=2
	v_lshrrev_b32_e32 v2, 24, v12
	v_cmp_ne_u32_e32 vcc, s76, v2
	v_bfrev_b32_e32 v3, 1
	s_and_saveexec_b64 s[56:57], vcc
	s_cbranch_execz .LBB6_1367
; %bb.1364:                             ;   in Loop: Header=BB6_124 Depth=2
	v_bfe_u32 v10, v12, 24, 7
	v_cmp_ne_u32_e32 vcc, s75, v10
	v_mov_b32_e32 v3, 0x7f800001
	s_and_saveexec_b64 s[58:59], vcc
	s_cbranch_execz .LBB6_1366
; %bb.1365:                             ;   in Loop: Header=BB6_124 Depth=2
	v_and_b32_e32 v3, 7, v2
	v_ffbh_u32_e32 v36, v3
	v_min_u32_e32 v38, 32, v36
	v_subrev_u32_e32 v36, 28, v38
	v_lshlrev_b64 v[36:37], v36, v[2:3]
	v_lshrrev_b32_e32 v29, 3, v10
	v_sub_u32_e32 v37, 29, v38
	v_and_b32_e32 v36, 7, v36
	v_cmp_gt_u32_e32 vcc, 8, v10
	v_cndmask_b32_e32 v10, v29, v37, vcc
	v_cndmask_b32_e32 v3, v3, v36, vcc
	v_lshlrev_b32_e32 v2, 24, v2
	v_lshlrev_b32_e32 v3, 20, v3
	v_and_b32_e32 v2, 0x80000000, v2
	v_lshl_add_u32 v10, v10, 23, v31
	v_or3_b32 v3, v2, v10, v3
.LBB6_1366:                             ;   in Loop: Header=BB6_124 Depth=2
	s_or_b64 exec, exec, s[58:59]
.LBB6_1367:                             ;   in Loop: Header=BB6_124 Depth=2
	s_or_b64 exec, exec, s[56:57]
.LBB6_1368:                             ;   in Loop: Header=BB6_124 Depth=2
	s_or_b64 exec, exec, s[22:23]
	v_add_f32_e32 v2, v4, v3
	v_and_b32_sdwa v10, v2, s76 dst_sel:DWORD dst_unused:UNUSED_PAD src0_sel:BYTE_3 src1_sel:DWORD
	v_and_b32_e32 v36, 0x7f800000, v2
	v_mov_b32_e32 v37, v39
	v_and_b32_e32 v38, 0x7fffff, v2
	v_or_b32_e32 v4, 0x7e, v10
	v_cmp_ne_u64_e32 vcc, s[42:43], v[36:37]
	s_and_saveexec_b64 s[22:23], vcc
	s_xor_b64 s[56:57], exec, s[22:23]
	s_cbranch_execz .LBB6_1378
; %bb.1369:                             ;   in Loop: Header=BB6_124 Depth=2
	v_and_b32_e32 v36, 0x7fffffff, v2
	v_mov_b32_e32 v37, v39
	v_cmp_gt_u64_e32 vcc, s[44:45], v[36:37]
	s_and_saveexec_b64 s[58:59], vcc
	s_cbranch_execz .LBB6_1377
; %bb.1370:                             ;   in Loop: Header=BB6_124 Depth=2
	v_cmp_ne_u32_e32 vcc, 0, v2
	v_mov_b32_e32 v4, 0
	s_and_saveexec_b64 s[60:61], vcc
	s_cbranch_execz .LBB6_1376
; %bb.1371:                             ;   in Loop: Header=BB6_124 Depth=2
	v_bfe_u32 v2, v2, 23, 8
	v_sub_u32_e32 v4, 0x79, v2
	v_cmp_gt_u32_e32 vcc, s77, v2
	v_cndmask_b32_e32 v4, 0, v4, vcc
	v_cmp_eq_u32_e32 vcc, 0, v2
	v_add_u32_e32 v3, 0xffffff81, v2
	v_or_b32_e32 v29, 0x800000, v38
	v_mov_b32_e32 v2, 0xffffff82
	v_cndmask_b32_e32 v4, v4, v20, vcc
	v_cndmask_b32_e32 v51, v3, v2, vcc
	;; [unrolled: 1-line block ×3, first 2 shown]
	v_add_u32_e32 v2, 20, v4
	v_lshlrev_b64 v[2:3], v2, -1
	v_add_u32_e32 v29, 19, v4
	v_lshrrev_b64 v[52:53], v4, v[38:39]
	v_not_b32_e32 v3, v3
	v_not_b32_e32 v2, v2
	v_lshlrev_b64 v[36:37], v29, 1
	v_lshrrev_b32_e32 v29, 23, v52
	v_and_b32_e32 v3, 0, v3
	v_and_b32_e32 v2, v38, v2
	v_add3_u32 v38, v4, v51, v29
	v_bfe_u32 v4, v52, 20, 1
	v_add_u32_e32 v4, -1, v4
	v_cmp_eq_u64_e32 vcc, v[2:3], v[36:37]
	v_cndmask_b32_e32 v2, 0, v4, vcc
	v_add_u32_e32 v2, v2, v52
	v_and_b32_e32 v2, 0xfffff, v2
	v_add_co_u32_e32 v2, vcc, v2, v52
	v_add_u32_e32 v29, 6, v38
	v_addc_co_u32_e32 v3, vcc, 0, v53, vcc
	v_cmp_ne_u32_e32 vcc, 0, v29
                                        ; implicit-def: $vgpr4
	s_and_saveexec_b64 s[22:23], vcc
	s_xor_b64 s[22:23], exec, s[22:23]
; %bb.1372:                             ;   in Loop: Header=BB6_124 Depth=2
	v_add_u32_e32 v4, 7, v38
	v_cmp_lt_u64_e32 vcc, s[48:49], v[2:3]
	v_cndmask_b32_e32 v4, v29, v4, vcc
	v_cndmask_b32_e64 v29, 0, 1, vcc
	v_lshrrev_b64 v[2:3], v29, v[2:3]
; %bb.1373:                             ;   in Loop: Header=BB6_124 Depth=2
	s_andn2_saveexec_b64 s[22:23], s[22:23]
; %bb.1374:                             ;   in Loop: Header=BB6_124 Depth=2
	v_bfe_u32 v4, v2, 23, 1
; %bb.1375:                             ;   in Loop: Header=BB6_124 Depth=2
	s_or_b64 exec, exec, s[22:23]
	v_lshrrev_b64 v[2:3], 20, v[2:3]
	v_cmp_gt_i32_e32 vcc, 16, v4
	v_cndmask_b32_e32 v3, 0, v3, vcc
	v_cndmask_b32_e32 v2, 7, v2, vcc
	v_cmp_eq_u64_e64 s[22:23], 0, v[2:3]
	v_min_i32_e32 v3, 15, v4
	v_cmp_eq_u32_e32 vcc, 0, v4
	v_lshlrev_b32_e32 v3, 3, v3
	v_and_or_b32 v2, v2, 7, v3
	s_and_b64 s[22:23], vcc, s[22:23]
	v_cndmask_b32_e64 v2, v2, 0, s[22:23]
	v_accvgpr_read_b32 v53, a45
	v_or_b32_e32 v4, v2, v10
	v_accvgpr_read_b32 v52, a44
.LBB6_1376:                             ;   in Loop: Header=BB6_124 Depth=2
	s_or_b64 exec, exec, s[60:61]
.LBB6_1377:                             ;   in Loop: Header=BB6_124 Depth=2
	s_or_b64 exec, exec, s[58:59]
                                        ; implicit-def: $vgpr2
.LBB6_1378:                             ;   in Loop: Header=BB6_124 Depth=2
	s_andn2_saveexec_b64 s[22:23], s[56:57]
; %bb.1379:                             ;   in Loop: Header=BB6_124 Depth=2
	v_or_b32_sdwa v2, v2, s75 dst_sel:DWORD dst_unused:UNUSED_PAD src0_sel:BYTE_3 src1_sel:DWORD
	v_cmp_eq_u64_e32 vcc, 0, v[38:39]
	v_cndmask_b32_e32 v4, v2, v4, vcc
; %bb.1380:                             ;   in Loop: Header=BB6_124 Depth=2
	s_or_b64 exec, exec, s[22:23]
	v_lshlrev_b32_e32 v10, 8, v19
	v_lshlrev_b32_e32 v2, 24, v21
	v_perm_b32 v3, v27, v1, s80
	v_or3_b32 v38, v3, v2, v10
	v_cmp_ne_u16_sdwa vcc, v1, v39 src0_sel:BYTE_0 src1_sel:DWORD
	v_mov_b32_e32 v3, 0
	v_mov_b32_e32 v2, 0
	s_and_saveexec_b64 s[22:23], vcc
	s_cbranch_execz .LBB6_1386
; %bb.1381:                             ;   in Loop: Header=BB6_124 Depth=2
	v_cmp_ne_u16_sdwa vcc, v1, s76 src0_sel:BYTE_0 src1_sel:DWORD
	v_bfrev_b32_e32 v2, 1
	s_and_saveexec_b64 s[56:57], vcc
	s_cbranch_execz .LBB6_1385
; %bb.1382:                             ;   in Loop: Header=BB6_124 Depth=2
	v_and_b32_e32 v19, 0x7f, v1
	v_cmp_ne_u32_e32 vcc, s75, v19
	v_mov_b32_e32 v2, 0x7f800001
	s_and_saveexec_b64 s[58:59], vcc
	s_cbranch_execz .LBB6_1384
; %bb.1383:                             ;   in Loop: Header=BB6_124 Depth=2
	v_and_b32_e32 v1, 7, v1
	v_ffbh_u32_e32 v1, v1
	v_min_u32_e32 v1, 32, v1
	v_lshrrev_b32_e32 v2, 3, v19
	v_subrev_u32_e32 v21, 28, v1
	v_sub_u32_e32 v1, 29, v1
	v_cmp_gt_u32_e32 vcc, 8, v19
	v_cndmask_b32_e32 v1, v2, v1, vcc
	v_cndmask_b32_e32 v2, 0, v21, vcc
	v_lshlrev_b64 v[36:37], v2, v[38:39]
	v_lshlrev_b32_e32 v2, 20, v36
	v_lshlrev_b32_e32 v19, 24, v38
	v_and_b32_e32 v2, 0x700000, v2
	v_and_b32_e32 v19, 0x80000000, v19
	v_lshl_add_u32 v1, v1, 23, v31
	v_or3_b32 v2, v19, v1, v2
.LBB6_1384:                             ;   in Loop: Header=BB6_124 Depth=2
	s_or_b64 exec, exec, s[58:59]
.LBB6_1385:                             ;   in Loop: Header=BB6_124 Depth=2
	s_or_b64 exec, exec, s[56:57]
.LBB6_1386:                             ;   in Loop: Header=BB6_124 Depth=2
	s_or_b64 exec, exec, s[22:23]
	v_cmp_ne_u16_sdwa vcc, v13, v39 src0_sel:BYTE_0 src1_sel:DWORD
	s_and_saveexec_b64 s[22:23], vcc
	s_cbranch_execz .LBB6_1392
; %bb.1387:                             ;   in Loop: Header=BB6_124 Depth=2
	v_cmp_ne_u16_sdwa vcc, v13, s76 src0_sel:BYTE_0 src1_sel:DWORD
	v_bfrev_b32_e32 v3, 1
	s_and_saveexec_b64 s[56:57], vcc
	s_cbranch_execz .LBB6_1391
; %bb.1388:                             ;   in Loop: Header=BB6_124 Depth=2
	v_and_b32_e32 v1, 0x7f, v13
	v_cmp_ne_u32_e32 vcc, s75, v1
	v_mov_b32_e32 v3, 0x7f800001
	s_and_saveexec_b64 s[58:59], vcc
	s_cbranch_execz .LBB6_1390
; %bb.1389:                             ;   in Loop: Header=BB6_124 Depth=2
	v_and_b32_e32 v3, 7, v13
	v_ffbh_u32_e32 v3, v3
	v_min_u32_e32 v3, 32, v3
	v_lshrrev_b32_e32 v19, 3, v1
	v_subrev_u32_e32 v21, 28, v3
	v_sub_u32_e32 v3, 29, v3
	v_cmp_gt_u32_e32 vcc, 8, v1
	v_mov_b32_e32 v36, v13
	v_mov_b32_e32 v37, v39
	v_cndmask_b32_e32 v1, v19, v3, vcc
	v_cndmask_b32_e32 v3, 0, v21, vcc
	v_lshlrev_b64 v[52:53], v3, v[36:37]
	v_lshlrev_b32_e32 v3, 20, v52
	v_lshlrev_b32_e32 v19, 24, v36
	v_accvgpr_read_b32 v53, a45
	v_and_b32_e32 v3, 0x700000, v3
	v_and_b32_e32 v19, 0x80000000, v19
	v_lshl_add_u32 v1, v1, 23, v31
	v_accvgpr_read_b32 v52, a44
	v_or3_b32 v3, v19, v1, v3
.LBB6_1390:                             ;   in Loop: Header=BB6_124 Depth=2
	s_or_b64 exec, exec, s[58:59]
.LBB6_1391:                             ;   in Loop: Header=BB6_124 Depth=2
	s_or_b64 exec, exec, s[56:57]
.LBB6_1392:                             ;   in Loop: Header=BB6_124 Depth=2
	s_or_b64 exec, exec, s[22:23]
	v_add_f32_e32 v21, v2, v3
	v_and_b32_sdwa v19, v21, s76 dst_sel:DWORD dst_unused:UNUSED_PAD src0_sel:BYTE_3 src1_sel:DWORD
	v_and_b32_e32 v36, 0x7f800000, v21
	v_mov_b32_e32 v37, v39
	v_and_b32_e32 v2, 0x7fffff, v21
	v_mov_b32_e32 v3, v39
	v_or_b32_e32 v1, 0x7e, v19
	v_cmp_ne_u64_e32 vcc, s[42:43], v[36:37]
	s_and_saveexec_b64 s[22:23], vcc
	s_xor_b64 s[56:57], exec, s[22:23]
	s_cbranch_execz .LBB6_1402
; %bb.1393:                             ;   in Loop: Header=BB6_124 Depth=2
	v_and_b32_e32 v36, 0x7fffffff, v21
	v_mov_b32_e32 v37, v39
	v_cmp_gt_u64_e32 vcc, s[44:45], v[36:37]
	s_and_saveexec_b64 s[58:59], vcc
	s_cbranch_execz .LBB6_1401
; %bb.1394:                             ;   in Loop: Header=BB6_124 Depth=2
	v_cmp_ne_u32_e32 vcc, 0, v21
	v_mov_b32_e32 v1, 0
	s_and_saveexec_b64 s[60:61], vcc
	s_cbranch_execz .LBB6_1400
; %bb.1395:                             ;   in Loop: Header=BB6_124 Depth=2
	v_bfe_u32 v1, v21, 23, 8
	v_sub_u32_e32 v27, 0x79, v1
	v_cmp_gt_u32_e32 vcc, s77, v1
	v_add_u32_e32 v21, 0xffffff81, v1
	v_cndmask_b32_e32 v27, 0, v27, vcc
	v_cmp_eq_u32_e32 vcc, 0, v1
	v_mov_b32_e32 v1, 0xffffff82
	v_cndmask_b32_e32 v1, v21, v1, vcc
	v_cndmask_b32_e32 v21, v27, v20, vcc
	v_add_u32_e32 v27, 20, v21
	v_or_b32_e32 v29, 0x800000, v2
	v_lshlrev_b64 v[36:37], v27, -1
	v_cndmask_b32_e32 v2, v29, v2, vcc
	v_not_b32_e32 v27, v37
	v_not_b32_e32 v29, v36
	v_and_b32_e32 v37, 0, v27
	v_and_b32_e32 v36, v2, v29
	v_add_u32_e32 v27, 19, v21
	v_lshrrev_b64 v[2:3], v21, v[2:3]
	v_lshlrev_b64 v[52:53], v27, 1
	v_lshrrev_b32_e32 v27, 23, v2
	v_add3_u32 v27, v21, v1, v27
	v_bfe_u32 v1, v2, 20, 1
	v_add_u32_e32 v1, -1, v1
	v_cmp_eq_u64_e32 vcc, v[36:37], v[52:53]
	v_cndmask_b32_e32 v1, 0, v1, vcc
	v_add_u32_e32 v1, v1, v2
	v_and_b32_e32 v1, 0xfffff, v1
	v_add_co_u32_e32 v2, vcc, v1, v2
	v_add_u32_e32 v21, 6, v27
	v_addc_co_u32_e32 v3, vcc, 0, v3, vcc
	v_cmp_ne_u32_e32 vcc, 0, v21
                                        ; implicit-def: $vgpr1
	s_and_saveexec_b64 s[22:23], vcc
	s_xor_b64 s[22:23], exec, s[22:23]
; %bb.1396:                             ;   in Loop: Header=BB6_124 Depth=2
	v_add_u32_e32 v1, 7, v27
	v_cmp_lt_u64_e32 vcc, s[48:49], v[2:3]
	v_cndmask_b32_e32 v1, v21, v1, vcc
	v_cndmask_b32_e64 v21, 0, 1, vcc
	v_lshrrev_b64 v[2:3], v21, v[2:3]
; %bb.1397:                             ;   in Loop: Header=BB6_124 Depth=2
	s_andn2_saveexec_b64 s[22:23], s[22:23]
; %bb.1398:                             ;   in Loop: Header=BB6_124 Depth=2
	v_bfe_u32 v1, v2, 23, 1
; %bb.1399:                             ;   in Loop: Header=BB6_124 Depth=2
	s_or_b64 exec, exec, s[22:23]
	v_lshrrev_b64 v[2:3], 20, v[2:3]
	v_cmp_gt_i32_e32 vcc, 16, v1
	v_cndmask_b32_e32 v3, 0, v3, vcc
	v_cndmask_b32_e32 v2, 7, v2, vcc
	v_cmp_eq_u32_e32 vcc, 0, v1
	v_min_i32_e32 v1, 15, v1
	v_cmp_eq_u64_e64 s[22:23], 0, v[2:3]
	v_lshlrev_b32_e32 v1, 3, v1
	v_and_or_b32 v1, v2, 7, v1
	s_and_b64 s[22:23], vcc, s[22:23]
	v_cndmask_b32_e64 v1, v1, 0, s[22:23]
	v_accvgpr_read_b32 v53, a45
	v_or_b32_e32 v1, v1, v19
	v_accvgpr_read_b32 v52, a44
.LBB6_1400:                             ;   in Loop: Header=BB6_124 Depth=2
	s_or_b64 exec, exec, s[60:61]
.LBB6_1401:                             ;   in Loop: Header=BB6_124 Depth=2
	s_or_b64 exec, exec, s[58:59]
                                        ; implicit-def: $vgpr21
                                        ; implicit-def: $vgpr2_vgpr3
.LBB6_1402:                             ;   in Loop: Header=BB6_124 Depth=2
	s_andn2_saveexec_b64 s[22:23], s[56:57]
; %bb.1403:                             ;   in Loop: Header=BB6_124 Depth=2
	v_or_b32_sdwa v19, v21, s75 dst_sel:DWORD dst_unused:UNUSED_PAD src0_sel:BYTE_3 src1_sel:DWORD
	v_cmp_eq_u64_e32 vcc, 0, v[2:3]
	v_cndmask_b32_e32 v1, v19, v1, vcc
; %bb.1404:                             ;   in Loop: Header=BB6_124 Depth=2
	s_or_b64 exec, exec, s[22:23]
	v_lshrrev_b16_e32 v2, 8, v10
	v_cmp_ne_u16_e32 vcc, 0, v2
	v_mov_b32_e32 v3, 0
	v_mov_b32_e32 v19, 0
	s_and_saveexec_b64 s[22:23], vcc
	s_cbranch_execz .LBB6_1410
; %bb.1405:                             ;   in Loop: Header=BB6_124 Depth=2
	v_cmp_ne_u16_e32 vcc, s76, v2
	v_bfrev_b32_e32 v19, 1
	s_and_saveexec_b64 s[56:57], vcc
	s_cbranch_execz .LBB6_1409
; %bb.1406:                             ;   in Loop: Header=BB6_124 Depth=2
	v_and_b32_e32 v21, 0x7f, v2
	v_cmp_ne_u32_e32 vcc, s75, v21
	v_mov_b32_e32 v19, 0x7f800001
	s_and_saveexec_b64 s[58:59], vcc
	s_cbranch_execz .LBB6_1408
; %bb.1407:                             ;   in Loop: Header=BB6_124 Depth=2
	v_and_b32_e32 v19, 7, v2
	v_ffbh_u32_e32 v29, v19
	v_min_u32_e32 v29, 32, v29
	v_subrev_u32_e32 v36, 28, v29
	v_lshlrev_b64 v[36:37], v36, v[2:3]
	v_lshrrev_b32_e32 v27, 3, v21
	v_sub_u32_e32 v2, 29, v29
	v_and_b32_e32 v29, 7, v36
	v_cmp_gt_u32_e32 vcc, 8, v21
	v_cndmask_b32_e32 v2, v27, v2, vcc
	v_cndmask_b32_e32 v19, v19, v29, vcc
	v_lshlrev_b32_e32 v10, 16, v10
	v_lshlrev_b32_e32 v19, 20, v19
	v_and_b32_e32 v10, 0x80000000, v10
	v_lshl_add_u32 v2, v2, 23, v31
	v_or3_b32 v19, v10, v2, v19
.LBB6_1408:                             ;   in Loop: Header=BB6_124 Depth=2
	s_or_b64 exec, exec, s[58:59]
.LBB6_1409:                             ;   in Loop: Header=BB6_124 Depth=2
	s_or_b64 exec, exec, s[56:57]
.LBB6_1410:                             ;   in Loop: Header=BB6_124 Depth=2
	s_or_b64 exec, exec, s[22:23]
	v_mov_b32_e32 v2, v13
	v_lshrrev_b16_e32 v10, 8, v2
	v_cmp_ne_u16_e32 vcc, 0, v10
	s_and_saveexec_b64 s[22:23], vcc
	s_cbranch_execz .LBB6_1416
; %bb.1411:                             ;   in Loop: Header=BB6_124 Depth=2
	v_cmp_ne_u16_e32 vcc, s76, v10
	v_bfrev_b32_e32 v3, 1
	s_and_saveexec_b64 s[56:57], vcc
	s_cbranch_execz .LBB6_1415
; %bb.1412:                             ;   in Loop: Header=BB6_124 Depth=2
	v_and_b32_e32 v21, 0x7f, v10
	v_cmp_ne_u32_e32 vcc, s75, v21
	v_mov_b32_e32 v3, 0x7f800001
	s_and_saveexec_b64 s[58:59], vcc
	s_cbranch_execz .LBB6_1414
; %bb.1413:                             ;   in Loop: Header=BB6_124 Depth=2
	v_and_b32_e32 v3, 7, v10
	v_ffbh_u32_e32 v29, v3
	v_min_u32_e32 v29, 32, v29
	v_subrev_u32_e32 v36, 28, v29
	v_lshlrev_b64 v[36:37], v36, v[10:11]
	v_lshrrev_b32_e32 v27, 3, v21
	v_sub_u32_e32 v10, 29, v29
	v_and_b32_e32 v29, 7, v36
	v_cmp_gt_u32_e32 vcc, 8, v21
	v_cndmask_b32_e32 v10, v27, v10, vcc
	v_cndmask_b32_e32 v3, v3, v29, vcc
	v_lshlrev_b32_e32 v2, 16, v2
	v_lshlrev_b32_e32 v3, 20, v3
	v_and_b32_e32 v2, 0x80000000, v2
	v_lshl_add_u32 v10, v10, 23, v31
	v_or3_b32 v3, v2, v10, v3
.LBB6_1414:                             ;   in Loop: Header=BB6_124 Depth=2
	s_or_b64 exec, exec, s[58:59]
.LBB6_1415:                             ;   in Loop: Header=BB6_124 Depth=2
	s_or_b64 exec, exec, s[56:57]
.LBB6_1416:                             ;   in Loop: Header=BB6_124 Depth=2
	s_or_b64 exec, exec, s[22:23]
	v_add_f32_e32 v21, v19, v3
	v_and_b32_sdwa v19, v21, s76 dst_sel:DWORD dst_unused:UNUSED_PAD src0_sel:BYTE_3 src1_sel:DWORD
	v_and_b32_e32 v36, 0x7f800000, v21
	v_mov_b32_e32 v37, v39
	v_and_b32_e32 v2, 0x7fffff, v21
	v_mov_b32_e32 v3, v39
	v_or_b32_e32 v10, 0x7e, v19
	v_cmp_ne_u64_e32 vcc, s[42:43], v[36:37]
	s_and_saveexec_b64 s[22:23], vcc
	s_xor_b64 s[56:57], exec, s[22:23]
	s_cbranch_execz .LBB6_1426
; %bb.1417:                             ;   in Loop: Header=BB6_124 Depth=2
	v_and_b32_e32 v36, 0x7fffffff, v21
	v_mov_b32_e32 v37, v39
	v_cmp_gt_u64_e32 vcc, s[44:45], v[36:37]
	s_and_saveexec_b64 s[58:59], vcc
	s_cbranch_execz .LBB6_1425
; %bb.1418:                             ;   in Loop: Header=BB6_124 Depth=2
	v_cmp_ne_u32_e32 vcc, 0, v21
	v_mov_b32_e32 v10, 0
	s_and_saveexec_b64 s[60:61], vcc
	s_cbranch_execz .LBB6_1424
; %bb.1419:                             ;   in Loop: Header=BB6_124 Depth=2
	v_bfe_u32 v10, v21, 23, 8
	v_sub_u32_e32 v27, 0x79, v10
	v_cmp_gt_u32_e32 vcc, s77, v10
	v_add_u32_e32 v21, 0xffffff81, v10
	v_cndmask_b32_e32 v27, 0, v27, vcc
	v_cmp_eq_u32_e32 vcc, 0, v10
	v_mov_b32_e32 v10, 0xffffff82
	v_cndmask_b32_e32 v10, v21, v10, vcc
	v_cndmask_b32_e32 v21, v27, v20, vcc
	v_add_u32_e32 v27, 20, v21
	v_or_b32_e32 v29, 0x800000, v2
	v_lshlrev_b64 v[36:37], v27, -1
	v_cndmask_b32_e32 v2, v29, v2, vcc
	v_not_b32_e32 v27, v37
	v_not_b32_e32 v29, v36
	v_and_b32_e32 v37, 0, v27
	v_and_b32_e32 v36, v2, v29
	v_add_u32_e32 v27, 19, v21
	v_lshrrev_b64 v[2:3], v21, v[2:3]
	v_lshlrev_b64 v[52:53], v27, 1
	v_lshrrev_b32_e32 v27, 23, v2
	v_add3_u32 v27, v21, v10, v27
	v_bfe_u32 v10, v2, 20, 1
	v_add_u32_e32 v10, -1, v10
	v_cmp_eq_u64_e32 vcc, v[36:37], v[52:53]
	v_cndmask_b32_e32 v10, 0, v10, vcc
	v_add_u32_e32 v10, v10, v2
	v_and_b32_e32 v10, 0xfffff, v10
	v_add_co_u32_e32 v2, vcc, v10, v2
	v_add_u32_e32 v21, 6, v27
	v_addc_co_u32_e32 v3, vcc, 0, v3, vcc
	v_cmp_ne_u32_e32 vcc, 0, v21
                                        ; implicit-def: $vgpr10
	s_and_saveexec_b64 s[22:23], vcc
	s_xor_b64 s[22:23], exec, s[22:23]
; %bb.1420:                             ;   in Loop: Header=BB6_124 Depth=2
	v_add_u32_e32 v10, 7, v27
	v_cmp_lt_u64_e32 vcc, s[48:49], v[2:3]
	v_cndmask_b32_e32 v10, v21, v10, vcc
	v_cndmask_b32_e64 v21, 0, 1, vcc
	v_lshrrev_b64 v[2:3], v21, v[2:3]
; %bb.1421:                             ;   in Loop: Header=BB6_124 Depth=2
	s_andn2_saveexec_b64 s[22:23], s[22:23]
; %bb.1422:                             ;   in Loop: Header=BB6_124 Depth=2
	v_bfe_u32 v10, v2, 23, 1
; %bb.1423:                             ;   in Loop: Header=BB6_124 Depth=2
	s_or_b64 exec, exec, s[22:23]
	v_lshrrev_b64 v[2:3], 20, v[2:3]
	v_cmp_gt_i32_e32 vcc, 16, v10
	v_cndmask_b32_e32 v3, 0, v3, vcc
	v_cndmask_b32_e32 v2, 7, v2, vcc
	v_cmp_eq_u64_e64 s[22:23], 0, v[2:3]
	v_min_i32_e32 v3, 15, v10
	v_cmp_eq_u32_e32 vcc, 0, v10
	v_lshlrev_b32_e32 v3, 3, v3
	v_and_or_b32 v2, v2, 7, v3
	s_and_b64 s[22:23], vcc, s[22:23]
	v_cndmask_b32_e64 v2, v2, 0, s[22:23]
	v_accvgpr_read_b32 v53, a45
	v_or_b32_e32 v10, v2, v19
	v_accvgpr_read_b32 v52, a44
.LBB6_1424:                             ;   in Loop: Header=BB6_124 Depth=2
	s_or_b64 exec, exec, s[60:61]
.LBB6_1425:                             ;   in Loop: Header=BB6_124 Depth=2
	s_or_b64 exec, exec, s[58:59]
                                        ; implicit-def: $vgpr21
                                        ; implicit-def: $vgpr2_vgpr3
.LBB6_1426:                             ;   in Loop: Header=BB6_124 Depth=2
	s_andn2_saveexec_b64 s[22:23], s[56:57]
; %bb.1427:                             ;   in Loop: Header=BB6_124 Depth=2
	v_or_b32_sdwa v19, v21, s75 dst_sel:DWORD dst_unused:UNUSED_PAD src0_sel:BYTE_3 src1_sel:DWORD
	v_cmp_eq_u64_e32 vcc, 0, v[2:3]
	v_cndmask_b32_e32 v10, v19, v10, vcc
; %bb.1428:                             ;   in Loop: Header=BB6_124 Depth=2
	s_or_b64 exec, exec, s[22:23]
	v_lshrrev_b32_e32 v2, 16, v38
	v_cmp_ne_u16_sdwa vcc, v2, v39 src0_sel:BYTE_0 src1_sel:DWORD
	v_mov_b32_e32 v3, 0
	v_mov_b32_e32 v19, 0
	s_and_saveexec_b64 s[22:23], vcc
	s_cbranch_execz .LBB6_1434
; %bb.1429:                             ;   in Loop: Header=BB6_124 Depth=2
	v_cmp_ne_u16_sdwa vcc, v2, s76 src0_sel:BYTE_0 src1_sel:DWORD
	v_bfrev_b32_e32 v19, 1
	s_and_saveexec_b64 s[56:57], vcc
	s_cbranch_execz .LBB6_1433
; %bb.1430:                             ;   in Loop: Header=BB6_124 Depth=2
	v_bfe_u32 v21, v38, 16, 7
	v_cmp_ne_u32_e32 vcc, s75, v21
	v_mov_b32_e32 v19, 0x7f800001
	s_and_saveexec_b64 s[58:59], vcc
	s_cbranch_execz .LBB6_1432
; %bb.1431:                             ;   in Loop: Header=BB6_124 Depth=2
	v_and_b32_e32 v19, 7, v2
	v_ffbh_u32_e32 v29, v19
	v_min_u32_e32 v29, 32, v29
	v_subrev_u32_e32 v36, 28, v29
	v_lshlrev_b64 v[36:37], v36, v[2:3]
	v_lshrrev_b32_e32 v27, 3, v21
	v_sub_u32_e32 v29, 29, v29
	v_and_b32_e32 v36, 7, v36
	v_cmp_gt_u32_e32 vcc, 8, v21
	v_cndmask_b32_e32 v21, v27, v29, vcc
	v_cndmask_b32_e32 v19, v19, v36, vcc
	v_lshlrev_b32_e32 v2, 24, v2
	v_lshlrev_b32_e32 v19, 20, v19
	v_and_b32_e32 v2, 0x80000000, v2
	v_lshl_add_u32 v21, v21, 23, v31
	v_or3_b32 v19, v2, v21, v19
.LBB6_1432:                             ;   in Loop: Header=BB6_124 Depth=2
	s_or_b64 exec, exec, s[58:59]
.LBB6_1433:                             ;   in Loop: Header=BB6_124 Depth=2
	s_or_b64 exec, exec, s[56:57]
.LBB6_1434:                             ;   in Loop: Header=BB6_124 Depth=2
	s_or_b64 exec, exec, s[22:23]
	v_lshrrev_b32_e32 v2, 16, v13
	v_cmp_ne_u16_sdwa vcc, v2, v39 src0_sel:BYTE_0 src1_sel:DWORD
	s_and_saveexec_b64 s[22:23], vcc
	s_cbranch_execz .LBB6_1440
; %bb.1435:                             ;   in Loop: Header=BB6_124 Depth=2
	v_cmp_ne_u16_sdwa vcc, v2, s76 src0_sel:BYTE_0 src1_sel:DWORD
	v_bfrev_b32_e32 v3, 1
	s_and_saveexec_b64 s[56:57], vcc
	s_cbranch_execz .LBB6_1439
; %bb.1436:                             ;   in Loop: Header=BB6_124 Depth=2
	v_bfe_u32 v21, v13, 16, 7
	v_cmp_ne_u32_e32 vcc, s75, v21
	v_mov_b32_e32 v3, 0x7f800001
	s_and_saveexec_b64 s[58:59], vcc
	s_cbranch_execz .LBB6_1438
; %bb.1437:                             ;   in Loop: Header=BB6_124 Depth=2
	v_and_b32_e32 v27, 7, v2
	v_ffbh_u32_e32 v3, v27
	v_min_u32_e32 v36, 32, v3
	v_subrev_u32_e32 v3, 28, v36
	v_lshlrev_b64 v[2:3], v3, v[2:3]
	v_lshrrev_b32_e32 v29, 3, v21
	v_sub_u32_e32 v3, 29, v36
	v_and_b32_e32 v2, 7, v2
	v_cmp_gt_u32_e32 vcc, 8, v21
	v_cndmask_b32_e32 v3, v29, v3, vcc
	v_cndmask_b32_e32 v2, v27, v2, vcc
	v_lshlrev_b32_e32 v21, 8, v13
	v_lshlrev_b32_e32 v2, 20, v2
	v_and_b32_e32 v21, 0x80000000, v21
	v_lshl_add_u32 v3, v3, 23, v31
	v_or3_b32 v3, v21, v3, v2
.LBB6_1438:                             ;   in Loop: Header=BB6_124 Depth=2
	s_or_b64 exec, exec, s[58:59]
.LBB6_1439:                             ;   in Loop: Header=BB6_124 Depth=2
	s_or_b64 exec, exec, s[56:57]
.LBB6_1440:                             ;   in Loop: Header=BB6_124 Depth=2
	s_or_b64 exec, exec, s[22:23]
	v_add_f32_e32 v27, v19, v3
	v_and_b32_sdwa v21, v27, s76 dst_sel:DWORD dst_unused:UNUSED_PAD src0_sel:BYTE_3 src1_sel:DWORD
	v_and_b32_e32 v36, 0x7f800000, v27
	v_mov_b32_e32 v37, v39
	v_and_b32_e32 v2, 0x7fffff, v27
	v_mov_b32_e32 v3, v39
	v_or_b32_e32 v19, 0x7e, v21
	v_cmp_ne_u64_e32 vcc, s[42:43], v[36:37]
	s_and_saveexec_b64 s[22:23], vcc
	s_xor_b64 s[56:57], exec, s[22:23]
	s_cbranch_execz .LBB6_1450
; %bb.1441:                             ;   in Loop: Header=BB6_124 Depth=2
	v_and_b32_e32 v36, 0x7fffffff, v27
	v_mov_b32_e32 v37, v39
	v_cmp_gt_u64_e32 vcc, s[44:45], v[36:37]
	s_and_saveexec_b64 s[58:59], vcc
	s_cbranch_execz .LBB6_1449
; %bb.1442:                             ;   in Loop: Header=BB6_124 Depth=2
	v_cmp_ne_u32_e32 vcc, 0, v27
	v_mov_b32_e32 v19, 0
	s_and_saveexec_b64 s[60:61], vcc
	s_cbranch_execz .LBB6_1448
; %bb.1443:                             ;   in Loop: Header=BB6_124 Depth=2
	v_bfe_u32 v19, v27, 23, 8
	v_sub_u32_e32 v29, 0x79, v19
	v_cmp_gt_u32_e32 vcc, s77, v19
	v_add_u32_e32 v27, 0xffffff81, v19
	v_cndmask_b32_e32 v29, 0, v29, vcc
	v_cmp_eq_u32_e32 vcc, 0, v19
	v_mov_b32_e32 v19, 0xffffff82
	v_cndmask_b32_e32 v19, v27, v19, vcc
	v_cndmask_b32_e32 v27, v29, v20, vcc
	v_or_b32_e32 v36, 0x800000, v2
	v_add_u32_e32 v29, 20, v27
	v_cndmask_b32_e32 v2, v36, v2, vcc
	v_lshlrev_b64 v[36:37], v29, -1
	v_not_b32_e32 v29, v37
	v_not_b32_e32 v36, v36
	v_and_b32_e32 v37, 0, v29
	v_and_b32_e32 v36, v2, v36
	v_add_u32_e32 v29, 19, v27
	v_lshrrev_b64 v[2:3], v27, v[2:3]
	v_lshlrev_b64 v[52:53], v29, 1
	v_lshrrev_b32_e32 v29, 23, v2
	v_add3_u32 v29, v27, v19, v29
	v_bfe_u32 v19, v2, 20, 1
	v_add_u32_e32 v19, -1, v19
	v_cmp_eq_u64_e32 vcc, v[36:37], v[52:53]
	v_cndmask_b32_e32 v19, 0, v19, vcc
	v_add_u32_e32 v19, v19, v2
	v_and_b32_e32 v19, 0xfffff, v19
	v_add_co_u32_e32 v2, vcc, v19, v2
	v_add_u32_e32 v27, 6, v29
	v_addc_co_u32_e32 v3, vcc, 0, v3, vcc
	v_cmp_ne_u32_e32 vcc, 0, v27
                                        ; implicit-def: $vgpr19
	s_and_saveexec_b64 s[22:23], vcc
	s_xor_b64 s[22:23], exec, s[22:23]
; %bb.1444:                             ;   in Loop: Header=BB6_124 Depth=2
	v_add_u32_e32 v19, 7, v29
	v_cmp_lt_u64_e32 vcc, s[48:49], v[2:3]
	v_cndmask_b32_e32 v19, v27, v19, vcc
	v_cndmask_b32_e64 v27, 0, 1, vcc
	v_lshrrev_b64 v[2:3], v27, v[2:3]
; %bb.1445:                             ;   in Loop: Header=BB6_124 Depth=2
	s_andn2_saveexec_b64 s[22:23], s[22:23]
; %bb.1446:                             ;   in Loop: Header=BB6_124 Depth=2
	v_bfe_u32 v19, v2, 23, 1
; %bb.1447:                             ;   in Loop: Header=BB6_124 Depth=2
	s_or_b64 exec, exec, s[22:23]
	v_lshrrev_b64 v[2:3], 20, v[2:3]
	v_cmp_gt_i32_e32 vcc, 16, v19
	v_cndmask_b32_e32 v3, 0, v3, vcc
	v_cndmask_b32_e32 v2, 7, v2, vcc
	v_cmp_eq_u64_e64 s[22:23], 0, v[2:3]
	v_min_i32_e32 v3, 15, v19
	v_lshlrev_b32_e32 v3, 3, v3
	v_cmp_eq_u32_e32 vcc, 0, v19
	v_and_b32_e32 v3, 0xf8, v3
	v_and_or_b32 v2, v2, 7, v3
	s_and_b64 s[22:23], vcc, s[22:23]
	v_cndmask_b32_e64 v2, v2, 0, s[22:23]
	v_accvgpr_read_b32 v53, a45
	v_or_b32_e32 v19, v2, v21
	v_accvgpr_read_b32 v52, a44
.LBB6_1448:                             ;   in Loop: Header=BB6_124 Depth=2
	s_or_b64 exec, exec, s[60:61]
.LBB6_1449:                             ;   in Loop: Header=BB6_124 Depth=2
	s_or_b64 exec, exec, s[58:59]
                                        ; implicit-def: $vgpr27
                                        ; implicit-def: $vgpr2_vgpr3
.LBB6_1450:                             ;   in Loop: Header=BB6_124 Depth=2
	s_andn2_saveexec_b64 s[22:23], s[56:57]
; %bb.1451:                             ;   in Loop: Header=BB6_124 Depth=2
	v_or_b32_sdwa v21, v27, s75 dst_sel:DWORD dst_unused:UNUSED_PAD src0_sel:BYTE_3 src1_sel:DWORD
	v_cmp_eq_u64_e32 vcc, 0, v[2:3]
	v_cndmask_b32_e32 v19, v21, v19, vcc
; %bb.1452:                             ;   in Loop: Header=BB6_124 Depth=2
	s_or_b64 exec, exec, s[22:23]
	v_cmp_lt_u32_e32 vcc, s47, v38
	v_mov_b32_e32 v3, 0
	v_mov_b32_e32 v21, 0
	s_and_saveexec_b64 s[22:23], vcc
	s_cbranch_execz .LBB6_1458
; %bb.1453:                             ;   in Loop: Header=BB6_124 Depth=2
	v_lshrrev_b32_e32 v2, 24, v38
	v_cmp_ne_u32_sdwa vcc, v38, s76 src0_sel:BYTE_3 src1_sel:DWORD
	v_bfrev_b32_e32 v21, 1
	s_and_saveexec_b64 s[56:57], vcc
	s_cbranch_execz .LBB6_1457
; %bb.1454:                             ;   in Loop: Header=BB6_124 Depth=2
	v_bfe_u32 v27, v38, 24, 7
	v_cmp_ne_u32_e32 vcc, s75, v27
	v_mov_b32_e32 v21, 0x7f800001
	s_and_saveexec_b64 s[58:59], vcc
	s_cbranch_execz .LBB6_1456
; %bb.1455:                             ;   in Loop: Header=BB6_124 Depth=2
	v_and_b32_e32 v21, 7, v2
	v_ffbh_u32_e32 v36, v21
	v_min_u32_e32 v51, 32, v36
	v_subrev_u32_e32 v36, 28, v51
	v_lshlrev_b64 v[36:37], v36, v[2:3]
	v_lshrrev_b32_e32 v29, 3, v27
	v_sub_u32_e32 v2, 29, v51
	v_and_b32_e32 v36, 7, v36
	v_cmp_gt_u32_e32 vcc, 8, v27
	v_mov_b32_e32 v27, 24
	v_cndmask_b32_e32 v2, v29, v2, vcc
	v_cndmask_b32_e32 v21, v21, v36, vcc
	v_lshlrev_b32_sdwa v27, v27, v38 dst_sel:DWORD dst_unused:UNUSED_PAD src0_sel:DWORD src1_sel:BYTE_3
	v_lshlrev_b32_e32 v21, 20, v21
	v_and_b32_e32 v27, 0x80000000, v27
	v_lshl_add_u32 v2, v2, 23, v31
	v_or3_b32 v21, v27, v2, v21
.LBB6_1456:                             ;   in Loop: Header=BB6_124 Depth=2
	s_or_b64 exec, exec, s[58:59]
.LBB6_1457:                             ;   in Loop: Header=BB6_124 Depth=2
	s_or_b64 exec, exec, s[56:57]
.LBB6_1458:                             ;   in Loop: Header=BB6_124 Depth=2
	s_or_b64 exec, exec, s[22:23]
	v_cmp_lt_u64_e32 vcc, s[46:47], v[12:13]
	s_and_saveexec_b64 s[22:23], vcc
	s_cbranch_execz .LBB6_1464
; %bb.1459:                             ;   in Loop: Header=BB6_124 Depth=2
	v_lshrrev_b32_e32 v2, 24, v13
	v_cmp_ne_u32_e32 vcc, s76, v2
	v_bfrev_b32_e32 v3, 1
	s_and_saveexec_b64 s[56:57], vcc
	s_cbranch_execz .LBB6_1463
; %bb.1460:                             ;   in Loop: Header=BB6_124 Depth=2
	v_bfe_u32 v12, v13, 24, 7
	v_cmp_ne_u32_e32 vcc, s75, v12
	v_mov_b32_e32 v3, 0x7f800001
	s_and_saveexec_b64 s[58:59], vcc
	s_cbranch_execz .LBB6_1462
; %bb.1461:                             ;   in Loop: Header=BB6_124 Depth=2
	v_and_b32_e32 v3, 7, v2
	v_ffbh_u32_e32 v27, v3
	v_min_u32_e32 v27, 32, v27
	v_subrev_u32_e32 v29, 28, v27
	v_lshlrev_b64 v[36:37], v29, v[2:3]
	v_lshrrev_b32_e32 v13, 3, v12
	v_sub_u32_e32 v27, 29, v27
	v_and_b32_e32 v29, 7, v36
	v_cmp_gt_u32_e32 vcc, 8, v12
	v_cndmask_b32_e32 v12, v13, v27, vcc
	v_cndmask_b32_e32 v3, v3, v29, vcc
	v_lshlrev_b32_e32 v2, 24, v2
	v_lshlrev_b32_e32 v3, 20, v3
	v_and_b32_e32 v2, 0x80000000, v2
	v_lshl_add_u32 v12, v12, 23, v31
	v_or3_b32 v3, v2, v12, v3
.LBB6_1462:                             ;   in Loop: Header=BB6_124 Depth=2
	s_or_b64 exec, exec, s[58:59]
.LBB6_1463:                             ;   in Loop: Header=BB6_124 Depth=2
	s_or_b64 exec, exec, s[56:57]
.LBB6_1464:                             ;   in Loop: Header=BB6_124 Depth=2
	s_or_b64 exec, exec, s[22:23]
	v_add_f32_e32 v3, v21, v3
	v_and_b32_sdwa v12, v3, s76 dst_sel:DWORD dst_unused:UNUSED_PAD src0_sel:BYTE_3 src1_sel:DWORD
	v_and_b32_e32 v36, 0x7f800000, v3
	v_mov_b32_e32 v37, v39
	v_and_b32_e32 v38, 0x7fffff, v3
	v_or_b32_e32 v2, 0x7e, v12
	v_cmp_ne_u64_e32 vcc, s[42:43], v[36:37]
	s_and_saveexec_b64 s[22:23], vcc
	s_xor_b64 s[56:57], exec, s[22:23]
	s_cbranch_execz .LBB6_1474
; %bb.1465:                             ;   in Loop: Header=BB6_124 Depth=2
	v_and_b32_e32 v36, 0x7fffffff, v3
	v_mov_b32_e32 v37, v39
	v_cmp_gt_u64_e32 vcc, s[44:45], v[36:37]
	s_and_saveexec_b64 s[58:59], vcc
	s_cbranch_execz .LBB6_1473
; %bb.1466:                             ;   in Loop: Header=BB6_124 Depth=2
	v_cmp_ne_u32_e32 vcc, 0, v3
	v_mov_b32_e32 v2, 0
	s_and_saveexec_b64 s[60:61], vcc
	s_cbranch_execz .LBB6_1472
; %bb.1467:                             ;   in Loop: Header=BB6_124 Depth=2
	v_bfe_u32 v2, v3, 23, 8
	v_sub_u32_e32 v13, 0x79, v2
	v_cmp_gt_u32_e32 vcc, s77, v2
	v_cndmask_b32_e32 v13, 0, v13, vcc
	v_cmp_eq_u32_e32 vcc, 0, v2
	v_add_u32_e32 v3, 0xffffff81, v2
	v_or_b32_e32 v21, 0x800000, v38
	v_mov_b32_e32 v2, 0xffffff82
	v_cndmask_b32_e32 v13, v13, v20, vcc
	v_cndmask_b32_e32 v27, v3, v2, vcc
	;; [unrolled: 1-line block ×3, first 2 shown]
	v_add_u32_e32 v2, 20, v13
	v_lshlrev_b64 v[2:3], v2, -1
	v_add_u32_e32 v21, 19, v13
	v_lshrrev_b64 v[52:53], v13, v[38:39]
	v_not_b32_e32 v3, v3
	v_not_b32_e32 v2, v2
	v_lshlrev_b64 v[36:37], v21, 1
	v_lshrrev_b32_e32 v21, 23, v52
	v_and_b32_e32 v3, 0, v3
	v_and_b32_e32 v2, v38, v2
	v_add3_u32 v27, v13, v27, v21
	v_bfe_u32 v13, v52, 20, 1
	v_add_u32_e32 v13, -1, v13
	v_cmp_eq_u64_e32 vcc, v[2:3], v[36:37]
	v_cndmask_b32_e32 v2, 0, v13, vcc
	v_add_u32_e32 v2, v2, v52
	v_and_b32_e32 v2, 0xfffff, v2
	v_add_co_u32_e32 v2, vcc, v2, v52
	v_add_u32_e32 v21, 6, v27
	v_addc_co_u32_e32 v3, vcc, 0, v53, vcc
	v_cmp_ne_u32_e32 vcc, 0, v21
                                        ; implicit-def: $vgpr13
	s_and_saveexec_b64 s[22:23], vcc
	s_xor_b64 s[22:23], exec, s[22:23]
; %bb.1468:                             ;   in Loop: Header=BB6_124 Depth=2
	v_add_u32_e32 v13, 7, v27
	v_cmp_lt_u64_e32 vcc, s[48:49], v[2:3]
	v_cndmask_b32_e32 v13, v21, v13, vcc
	v_cndmask_b32_e64 v21, 0, 1, vcc
	v_lshrrev_b64 v[2:3], v21, v[2:3]
; %bb.1469:                             ;   in Loop: Header=BB6_124 Depth=2
	s_andn2_saveexec_b64 s[22:23], s[22:23]
; %bb.1470:                             ;   in Loop: Header=BB6_124 Depth=2
	v_bfe_u32 v13, v2, 23, 1
; %bb.1471:                             ;   in Loop: Header=BB6_124 Depth=2
	s_or_b64 exec, exec, s[22:23]
	v_lshrrev_b64 v[2:3], 20, v[2:3]
	v_cmp_gt_i32_e32 vcc, 16, v13
	v_cndmask_b32_e32 v3, 0, v3, vcc
	v_cndmask_b32_e32 v2, 7, v2, vcc
	v_cmp_eq_u64_e64 s[22:23], 0, v[2:3]
	v_min_i32_e32 v3, 15, v13
	v_lshlrev_b32_e32 v3, 3, v3
	v_cmp_eq_u32_e32 vcc, 0, v13
	v_and_b32_e32 v3, 0xf8, v3
	v_and_or_b32 v2, v2, 7, v3
	s_and_b64 s[22:23], vcc, s[22:23]
	v_cndmask_b32_e64 v2, v2, 0, s[22:23]
	v_accvgpr_read_b32 v53, a45
	v_or_b32_e32 v2, v2, v12
	v_accvgpr_read_b32 v52, a44
.LBB6_1472:                             ;   in Loop: Header=BB6_124 Depth=2
	s_or_b64 exec, exec, s[60:61]
.LBB6_1473:                             ;   in Loop: Header=BB6_124 Depth=2
	s_or_b64 exec, exec, s[58:59]
                                        ; implicit-def: $vgpr3
.LBB6_1474:                             ;   in Loop: Header=BB6_124 Depth=2
	s_andn2_saveexec_b64 s[22:23], s[56:57]
	s_cbranch_execz .LBB6_123
; %bb.1475:                             ;   in Loop: Header=BB6_124 Depth=2
	v_or_b32_sdwa v3, v3, s75 dst_sel:DWORD dst_unused:UNUSED_PAD src0_sel:BYTE_3 src1_sel:DWORD
	v_cmp_eq_u64_e32 vcc, 0, v[38:39]
	v_cndmask_b32_e32 v2, v3, v2, vcc
	s_branch .LBB6_123
.LBB6_1476:                             ;   in Loop: Header=BB6_49 Depth=1
	s_or_b64 exec, exec, s[54:55]
	v_accvgpr_read_b32 v57, a5
	v_accvgpr_read_b32 v56, a33
.LBB6_1477:                             ;   in Loop: Header=BB6_49 Depth=1
	s_or_b64 exec, exec, s[24:25]
	v_accvgpr_read_b32 v0, a43
	v_and_b32_e32 v3, 0x3ffff800, v0
	v_cmp_ne_u32_e32 vcc, v3, v0
	s_mov_b64 s[22:23], 0
	v_mov_b32_e32 v0, 0
                                        ; implicit-def: $vgpr1
                                        ; implicit-def: $vgpr16
                                        ; implicit-def: $vgpr2
	s_and_saveexec_b64 s[54:55], vcc
	s_cbranch_execz .LBB6_2165
; %bb.1478:                             ;   in Loop: Header=BB6_49 Depth=1
	v_lshlrev_b32_e32 v0, 6, v41
	v_accvgpr_read_b32 v1, a21
	v_sub_u32_e32 v0, v1, v0
	v_ashrrev_i32_e32 v1, 31, v0
	v_lshrrev_b32_e32 v1, 26, v1
	v_add_u32_e32 v1, v0, v1
	v_accvgpr_read_b32 v7, a43
	v_ashrrev_i32_e32 v5, 6, v1
	v_and_b32_e32 v1, 0xffffffc0, v1
	v_and_b32_e32 v2, 0x7ff, v7
	v_sub_u32_e32 v4, v0, v1
	v_bfe_u32 v6, v7, 10, 1
	v_and_b32_e32 v7, 0x400, v7
	v_lshlrev_b32_e32 v0, 4, v4
	v_sub_u32_e32 v18, v2, v7
	v_lshl_add_u32 v1, v5, 10, v0
	v_cmp_lt_i32_e64 s[22:23], 15, v18
	v_sub_u32_e32 v0, v2, v1
	v_addc_co_u32_e64 v2, vcc, 0, v6, s[22:23]
	v_sub_u32_e32 v5, v2, v5
	v_cmp_lt_i32_e32 vcc, 15, v0
	s_and_saveexec_b64 s[56:57], vcc
	s_cbranch_execz .LBB6_2162
; %bb.1479:                             ;   in Loop: Header=BB6_49 Depth=1
	s_trap 2
	ds_read_b128 v[6:9], v0
	ds_read_b64 v[14:15], v0
	v_add_u32_e32 v1, v1, v3
	v_ashrrev_i32_e32 v2, 31, v1
	s_waitcnt lgkmcnt(0)
	v_add_co_u32_e32 v16, vcc, v6, v1
	v_addc_co_u32_e32 v17, vcc, v7, v2, vcc
	v_add_co_u32_e32 v42, vcc, v8, v1
	v_readfirstlane_b32 s24, v14
	v_addc_co_u32_e32 v43, vcc, v9, v2, vcc
	s_and_b32 s25, s24, 7
	v_add_co_u32_e32 v44, vcc, v14, v1
	s_flbit_i32_b32 s25, s25
	v_addc_co_u32_e32 v45, vcc, v15, v2, vcc
	s_min_u32 s25, s25, 32
	s_and_b32 vcc_lo, s24, 0x7f
	s_bfe_u32 vcc_hi, s24, 0x40003
	s_sub_i32 s58, s25, 28
	s_sub_i32 s25, 29, s25
	s_cmp_lt_u32 vcc_lo, 8
	s_cselect_b32 s25, s25, vcc_hi
	s_cselect_b32 vcc_hi, s58, 0
	s_lshl_b32 s24, s24, 24
	s_lshl_b32 s25, s25, 23
	v_lshlrev_b64 v[2:3], vcc_hi, v[14:15]
	s_and_b32 s24, s24, 0x80000000
	s_add_i32 s25, s25, 0x3c000000
	v_lshlrev_b32_e32 v1, 20, v2
	s_or_b32 s24, s24, s25
	v_and_b32_e32 v1, 0x700000, v1
	s_cmpk_lg_i32 vcc_lo, 0x7f
	v_or_b32_e32 v1, s24, v1
	s_cselect_b64 vcc, -1, 0
	v_mov_b32_e32 v2, 0x7f800001
	v_cndmask_b32_e32 v1, v2, v1, vcc
	s_mov_b64 s[58:59], 0
	s_branch .LBB6_1481
.LBB6_1480:                             ;   in Loop: Header=BB6_1481 Depth=2
	s_or_b64 exec, exec, s[24:25]
	v_lshlrev_b32_e32 v3, 8, v32
	v_perm_b32 v3, v3, v22, s78
	v_lshl_or_b32 v3, v25, 16, v3
	v_lshl_or_b32 v23, v24, 24, v3
	v_and_b32_e32 v3, 0xff, v21
	v_lshlrev_b32_e32 v9, 8, v9
	v_lshlrev_b32_e32 v12, 24, v27
	;; [unrolled: 1-line block ×3, first 2 shown]
	v_perm_b32 v6, v9, v6, s78
	v_or3_b32 v22, v12, v3, v6
	v_and_b32_e32 v3, 0xff, v26
	v_lshlrev_b32_e32 v6, 24, v8
	v_lshlrev_b32_e32 v8, 8, v11
	v_lshlrev_b32_e32 v3, 16, v3
	v_perm_b32 v8, v8, v15, s78
	v_or3_b32 v24, v6, v3, v8
	v_lshlrev_b32_e32 v3, 8, v10
	v_perm_b32 v3, v3, v7, s78
	v_lshl_or_b32 v3, v19, 16, v3
	v_lshl_or_b32 v25, v2, 24, v3
	v_accvgpr_read_b32 v2, a39
	v_add_co_u32_e32 v16, vcc, v16, v2
	v_accvgpr_read_b32 v3, a40
	v_addc_co_u32_e32 v17, vcc, v17, v3, vcc
	v_add_co_u32_e32 v42, vcc, v42, v2
	v_addc_co_u32_e32 v43, vcc, v43, v3, vcc
	global_store_dwordx4 v[44:45], v[22:25], off glc slc
	v_add_co_u32_e32 v44, vcc, v44, v2
	v_accvgpr_read_b32 v2, a38
	v_addc_co_u32_e32 v45, vcc, v45, v3, vcc
	v_sub_u32_e32 v0, v0, v2
	v_cmp_gt_i32_e32 vcc, 16, v0
	v_accvgpr_read_b32 v2, a32
	s_or_b64 s[58:59], vcc, s[58:59]
	v_sub_u32_e32 v5, v5, v2
	s_andn2_b64 exec, exec, s[58:59]
	s_cbranch_execz .LBB6_2161
.LBB6_1481:                             ;   Parent Loop BB6_49 Depth=1
                                        ; =>  This Inner Loop Header: Depth=2
	v_cmp_lt_i16_sdwa s[24:25], v14, s76 src0_sel:BYTE_0 src1_sel:DWORD
	s_and_b64 vcc, exec, s[24:25]
	s_cbranch_vccnz .LBB6_1485
; %bb.1482:                             ;   in Loop: Header=BB6_1481 Depth=2
	v_cmp_eq_u16_sdwa vcc, v14, s76 src0_sel:BYTE_0 src1_sel:DWORD
	s_mov_b64 s[24:25], -1
	s_and_b64 vcc, exec, vcc
                                        ; implicit-def: $sgpr60
	s_cbranch_vccz .LBB6_1484
; %bb.1483:                             ;   in Loop: Header=BB6_1481 Depth=2
	s_mov_b64 s[24:25], 0
	s_brev_b32 s60, 1
.LBB6_1484:                             ;   in Loop: Header=BB6_1481 Depth=2
	s_branch .LBB6_1487
.LBB6_1485:                             ;   in Loop: Header=BB6_1481 Depth=2
	s_mov_b64 s[24:25], 0
                                        ; implicit-def: $sgpr60
	s_cbranch_execz .LBB6_1487
; %bb.1486:                             ;   in Loop: Header=BB6_1481 Depth=2
	v_cmp_ne_u16_sdwa s[24:25], v14, v39 src0_sel:BYTE_0 src1_sel:DWORD
	s_mov_b32 s60, 0
.LBB6_1487:                             ;   in Loop: Header=BB6_1481 Depth=2
	s_andn2_b64 vcc, exec, s[24:25]
	v_mov_b32_e32 v9, s60
	s_cbranch_vccnz .LBB6_1489
; %bb.1488:                             ;   in Loop: Header=BB6_1481 Depth=2
	v_mov_b32_e32 v9, v1
.LBB6_1489:                             ;   in Loop: Header=BB6_1481 Depth=2
	global_load_dwordx4 v[10:13], v[16:17], off glc slc
	v_mov_b32_e32 v2, 0
	s_waitcnt vmcnt(0)
	v_cmp_ne_u16_sdwa vcc, v10, v39 src0_sel:BYTE_0 src1_sel:DWORD
	s_and_saveexec_b64 s[24:25], vcc
	s_cbranch_execz .LBB6_1495
; %bb.1490:                             ;   in Loop: Header=BB6_1481 Depth=2
	v_cmp_ne_u16_sdwa vcc, v10, s76 src0_sel:BYTE_0 src1_sel:DWORD
	v_bfrev_b32_e32 v2, 1
	s_and_saveexec_b64 s[60:61], vcc
	s_cbranch_execz .LBB6_1494
; %bb.1491:                             ;   in Loop: Header=BB6_1481 Depth=2
	v_and_b32_e32 v3, 0x7f, v10
	v_cmp_ne_u32_e32 vcc, s75, v3
	v_mov_b32_e32 v2, 0x7f800001
	s_and_saveexec_b64 s[62:63], vcc
	s_cbranch_execz .LBB6_1493
; %bb.1492:                             ;   in Loop: Header=BB6_1481 Depth=2
	v_and_b32_e32 v2, 7, v10
	v_ffbh_u32_e32 v2, v2
	v_min_u32_e32 v2, 32, v2
	v_lshrrev_b32_e32 v6, 3, v3
	v_subrev_u32_e32 v7, 28, v2
	v_sub_u32_e32 v2, 29, v2
	v_cmp_gt_u32_e32 vcc, 8, v3
	v_cndmask_b32_e32 v6, v6, v2, vcc
	v_cndmask_b32_e32 v2, 0, v7, vcc
	v_lshlrev_b64 v[2:3], v2, v[10:11]
	v_lshlrev_b32_e32 v2, 20, v2
	v_lshlrev_b32_e32 v3, 24, v10
	v_and_b32_e32 v2, 0x700000, v2
	v_and_b32_e32 v3, 0x80000000, v3
	v_lshl_add_u32 v6, v6, 23, v31
	v_or3_b32 v2, v3, v6, v2
.LBB6_1493:                             ;   in Loop: Header=BB6_1481 Depth=2
	s_or_b64 exec, exec, s[62:63]
.LBB6_1494:                             ;   in Loop: Header=BB6_1481 Depth=2
	s_or_b64 exec, exec, s[60:61]
.LBB6_1495:                             ;   in Loop: Header=BB6_1481 Depth=2
	s_or_b64 exec, exec, s[24:25]
	v_mul_f32_e32 v2, v9, v2
	v_and_b32_sdwa v7, v2, s76 dst_sel:DWORD dst_unused:UNUSED_PAD src0_sel:BYTE_3 src1_sel:DWORD
	v_and_b32_e32 v22, 0x7f800000, v2
	v_mov_b32_e32 v23, v39
	v_and_b32_e32 v38, 0x7fffff, v2
	v_or_b32_e32 v6, 0x7e, v7
	v_cmp_ne_u64_e32 vcc, s[42:43], v[22:23]
	s_and_saveexec_b64 s[24:25], vcc
	s_xor_b64 s[60:61], exec, s[24:25]
	s_cbranch_execz .LBB6_1505
; %bb.1496:                             ;   in Loop: Header=BB6_1481 Depth=2
	v_and_b32_e32 v22, 0x7fffffff, v2
	v_mov_b32_e32 v23, v39
	v_cmp_gt_u64_e32 vcc, s[44:45], v[22:23]
	s_and_saveexec_b64 s[62:63], vcc
	s_cbranch_execz .LBB6_1504
; %bb.1497:                             ;   in Loop: Header=BB6_1481 Depth=2
	v_cmp_ne_u32_e32 vcc, 0, v2
	v_mov_b32_e32 v6, 0
	s_and_saveexec_b64 s[64:65], vcc
	s_cbranch_execz .LBB6_1503
; %bb.1498:                             ;   in Loop: Header=BB6_1481 Depth=2
	v_bfe_u32 v2, v2, 23, 8
	v_sub_u32_e32 v6, 0x79, v2
	v_cmp_gt_u32_e32 vcc, s77, v2
	v_cndmask_b32_e32 v6, 0, v6, vcc
	v_cmp_eq_u32_e32 vcc, 0, v2
	v_add_u32_e32 v3, 0xffffff81, v2
	v_or_b32_e32 v8, 0x800000, v38
	v_mov_b32_e32 v2, 0xffffff82
	v_cndmask_b32_e32 v6, v6, v20, vcc
	v_cndmask_b32_e32 v15, v3, v2, vcc
	;; [unrolled: 1-line block ×3, first 2 shown]
	v_add_u32_e32 v2, 20, v6
	v_lshlrev_b64 v[2:3], v2, -1
	v_add_u32_e32 v8, 19, v6
	v_lshrrev_b64 v[24:25], v6, v[38:39]
	v_not_b32_e32 v3, v3
	v_not_b32_e32 v2, v2
	v_lshlrev_b64 v[22:23], v8, 1
	v_lshrrev_b32_e32 v8, 23, v24
	v_and_b32_e32 v3, 0, v3
	v_and_b32_e32 v2, v38, v2
	v_add3_u32 v15, v6, v15, v8
	v_bfe_u32 v6, v24, 20, 1
	v_add_u32_e32 v6, -1, v6
	v_cmp_eq_u64_e32 vcc, v[2:3], v[22:23]
	v_cndmask_b32_e32 v2, 0, v6, vcc
	v_add_u32_e32 v2, v2, v24
	v_and_b32_e32 v2, 0xfffff, v2
	v_add_co_u32_e32 v2, vcc, v2, v24
	v_add_u32_e32 v8, 6, v15
	v_addc_co_u32_e32 v3, vcc, 0, v25, vcc
	v_cmp_ne_u32_e32 vcc, 0, v8
                                        ; implicit-def: $vgpr6
	s_and_saveexec_b64 s[24:25], vcc
	s_xor_b64 s[24:25], exec, s[24:25]
; %bb.1499:                             ;   in Loop: Header=BB6_1481 Depth=2
	v_add_u32_e32 v6, 7, v15
	v_cmp_lt_u64_e32 vcc, s[48:49], v[2:3]
	v_cndmask_b32_e32 v6, v8, v6, vcc
	v_cndmask_b32_e64 v8, 0, 1, vcc
	v_lshrrev_b64 v[2:3], v8, v[2:3]
; %bb.1500:                             ;   in Loop: Header=BB6_1481 Depth=2
	s_andn2_saveexec_b64 s[24:25], s[24:25]
; %bb.1501:                             ;   in Loop: Header=BB6_1481 Depth=2
	v_bfe_u32 v6, v2, 23, 1
; %bb.1502:                             ;   in Loop: Header=BB6_1481 Depth=2
	s_or_b64 exec, exec, s[24:25]
	v_lshrrev_b64 v[2:3], 20, v[2:3]
	v_cmp_gt_i32_e32 vcc, 16, v6
	v_cndmask_b32_e32 v3, 0, v3, vcc
	v_cndmask_b32_e32 v2, 7, v2, vcc
	v_cmp_eq_u64_e64 s[24:25], 0, v[2:3]
	v_min_i32_e32 v3, 15, v6
	v_cmp_eq_u32_e32 vcc, 0, v6
	v_lshlrev_b32_e32 v3, 3, v3
	v_and_or_b32 v2, v2, 7, v3
	s_and_b64 s[24:25], vcc, s[24:25]
	v_cndmask_b32_e64 v2, v2, 0, s[24:25]
	v_or_b32_e32 v6, v2, v7
.LBB6_1503:                             ;   in Loop: Header=BB6_1481 Depth=2
	s_or_b64 exec, exec, s[64:65]
.LBB6_1504:                             ;   in Loop: Header=BB6_1481 Depth=2
	s_or_b64 exec, exec, s[62:63]
                                        ; implicit-def: $vgpr2
.LBB6_1505:                             ;   in Loop: Header=BB6_1481 Depth=2
	s_andn2_saveexec_b64 s[24:25], s[60:61]
; %bb.1506:                             ;   in Loop: Header=BB6_1481 Depth=2
	v_or_b32_sdwa v2, v2, s75 dst_sel:DWORD dst_unused:UNUSED_PAD src0_sel:BYTE_3 src1_sel:DWORD
	v_cmp_eq_u64_e32 vcc, 0, v[38:39]
	v_cndmask_b32_e32 v6, v2, v6, vcc
; %bb.1507:                             ;   in Loop: Header=BB6_1481 Depth=2
	s_or_b64 exec, exec, s[24:25]
	v_lshrrev_b16_e32 v2, 8, v10
	v_cmp_ne_u16_e32 vcc, 0, v2
	v_mov_b32_e32 v3, 0
	s_and_saveexec_b64 s[24:25], vcc
	s_cbranch_execz .LBB6_1513
; %bb.1508:                             ;   in Loop: Header=BB6_1481 Depth=2
	v_cmp_ne_u16_e32 vcc, s76, v2
	v_bfrev_b32_e32 v3, 1
	s_and_saveexec_b64 s[60:61], vcc
	s_cbranch_execz .LBB6_1512
; %bb.1509:                             ;   in Loop: Header=BB6_1481 Depth=2
	v_and_b32_e32 v7, 0x7f, v2
	v_cmp_ne_u32_e32 vcc, s75, v7
	v_mov_b32_e32 v3, 0x7f800001
	s_and_saveexec_b64 s[62:63], vcc
	s_cbranch_execz .LBB6_1511
; %bb.1510:                             ;   in Loop: Header=BB6_1481 Depth=2
	v_and_b32_e32 v8, 7, v2
	v_ffbh_u32_e32 v3, v8
	v_min_u32_e32 v19, 32, v3
	v_subrev_u32_e32 v3, 28, v19
	v_lshlrev_b64 v[2:3], v3, v[2:3]
	v_lshrrev_b32_e32 v15, 3, v7
	v_sub_u32_e32 v3, 29, v19
	v_and_b32_e32 v2, 7, v2
	v_cmp_gt_u32_e32 vcc, 8, v7
	v_cndmask_b32_e32 v3, v15, v3, vcc
	v_cndmask_b32_e32 v2, v8, v2, vcc
	v_lshlrev_b32_e32 v7, 16, v10
	v_lshlrev_b32_e32 v2, 20, v2
	v_and_b32_e32 v7, 0x80000000, v7
	v_lshl_add_u32 v3, v3, 23, v31
	v_or3_b32 v3, v7, v3, v2
.LBB6_1511:                             ;   in Loop: Header=BB6_1481 Depth=2
	s_or_b64 exec, exec, s[62:63]
.LBB6_1512:                             ;   in Loop: Header=BB6_1481 Depth=2
	s_or_b64 exec, exec, s[60:61]
.LBB6_1513:                             ;   in Loop: Header=BB6_1481 Depth=2
	s_or_b64 exec, exec, s[24:25]
	v_mul_f32_e32 v2, v9, v3
	v_and_b32_sdwa v7, v2, s76 dst_sel:DWORD dst_unused:UNUSED_PAD src0_sel:BYTE_3 src1_sel:DWORD
	v_and_b32_e32 v22, 0x7f800000, v2
	v_mov_b32_e32 v23, v39
	v_and_b32_e32 v38, 0x7fffff, v2
	v_or_b32_e32 v21, 0x7e, v7
	v_cmp_ne_u64_e32 vcc, s[42:43], v[22:23]
	s_and_saveexec_b64 s[24:25], vcc
	s_xor_b64 s[60:61], exec, s[24:25]
	s_cbranch_execz .LBB6_1523
; %bb.1514:                             ;   in Loop: Header=BB6_1481 Depth=2
	v_and_b32_e32 v22, 0x7fffffff, v2
	v_mov_b32_e32 v23, v39
	v_cmp_gt_u64_e32 vcc, s[44:45], v[22:23]
	s_and_saveexec_b64 s[62:63], vcc
	s_cbranch_execz .LBB6_1522
; %bb.1515:                             ;   in Loop: Header=BB6_1481 Depth=2
	v_cmp_ne_u32_e32 vcc, 0, v2
	v_mov_b32_e32 v21, 0
	s_and_saveexec_b64 s[64:65], vcc
	s_cbranch_execz .LBB6_1521
; %bb.1516:                             ;   in Loop: Header=BB6_1481 Depth=2
	v_bfe_u32 v2, v2, 23, 8
	v_sub_u32_e32 v8, 0x79, v2
	v_cmp_gt_u32_e32 vcc, s77, v2
	v_cndmask_b32_e32 v8, 0, v8, vcc
	v_cmp_eq_u32_e32 vcc, 0, v2
	v_add_u32_e32 v3, 0xffffff81, v2
	v_or_b32_e32 v15, 0x800000, v38
	v_mov_b32_e32 v2, 0xffffff82
	v_cndmask_b32_e32 v8, v8, v20, vcc
	v_cndmask_b32_e32 v19, v3, v2, vcc
	;; [unrolled: 1-line block ×3, first 2 shown]
	v_add_u32_e32 v2, 20, v8
	v_lshlrev_b64 v[2:3], v2, -1
	v_add_u32_e32 v15, 19, v8
	v_lshrrev_b64 v[24:25], v8, v[38:39]
	v_not_b32_e32 v3, v3
	v_not_b32_e32 v2, v2
	v_lshlrev_b64 v[22:23], v15, 1
	v_lshrrev_b32_e32 v15, 23, v24
	v_and_b32_e32 v3, 0, v3
	v_and_b32_e32 v2, v38, v2
	v_add3_u32 v19, v8, v19, v15
	v_bfe_u32 v8, v24, 20, 1
	v_add_u32_e32 v8, -1, v8
	v_cmp_eq_u64_e32 vcc, v[2:3], v[22:23]
	v_cndmask_b32_e32 v2, 0, v8, vcc
	v_add_u32_e32 v2, v2, v24
	v_and_b32_e32 v2, 0xfffff, v2
	v_add_co_u32_e32 v2, vcc, v2, v24
	v_add_u32_e32 v15, 6, v19
	v_addc_co_u32_e32 v3, vcc, 0, v25, vcc
	v_cmp_ne_u32_e32 vcc, 0, v15
                                        ; implicit-def: $vgpr8
	s_and_saveexec_b64 s[24:25], vcc
	s_xor_b64 s[24:25], exec, s[24:25]
; %bb.1517:                             ;   in Loop: Header=BB6_1481 Depth=2
	v_add_u32_e32 v8, 7, v19
	v_cmp_lt_u64_e32 vcc, s[48:49], v[2:3]
	v_cndmask_b32_e32 v8, v15, v8, vcc
	v_cndmask_b32_e64 v15, 0, 1, vcc
	v_lshrrev_b64 v[2:3], v15, v[2:3]
; %bb.1518:                             ;   in Loop: Header=BB6_1481 Depth=2
	s_andn2_saveexec_b64 s[24:25], s[24:25]
; %bb.1519:                             ;   in Loop: Header=BB6_1481 Depth=2
	v_bfe_u32 v8, v2, 23, 1
; %bb.1520:                             ;   in Loop: Header=BB6_1481 Depth=2
	s_or_b64 exec, exec, s[24:25]
	v_lshrrev_b64 v[2:3], 20, v[2:3]
	v_cmp_gt_i32_e32 vcc, 16, v8
	v_cndmask_b32_e32 v3, 0, v3, vcc
	v_cndmask_b32_e32 v2, 7, v2, vcc
	v_cmp_eq_u64_e64 s[24:25], 0, v[2:3]
	v_min_i32_e32 v3, 15, v8
	v_cmp_eq_u32_e32 vcc, 0, v8
	v_lshlrev_b32_e32 v3, 3, v3
	v_and_or_b32 v2, v2, 7, v3
	s_and_b64 s[24:25], vcc, s[24:25]
	v_cndmask_b32_e64 v2, v2, 0, s[24:25]
	v_or_b32_e32 v21, v2, v7
.LBB6_1521:                             ;   in Loop: Header=BB6_1481 Depth=2
	s_or_b64 exec, exec, s[64:65]
.LBB6_1522:                             ;   in Loop: Header=BB6_1481 Depth=2
	s_or_b64 exec, exec, s[62:63]
                                        ; implicit-def: $vgpr2
.LBB6_1523:                             ;   in Loop: Header=BB6_1481 Depth=2
	s_andn2_saveexec_b64 s[24:25], s[60:61]
; %bb.1524:                             ;   in Loop: Header=BB6_1481 Depth=2
	v_or_b32_sdwa v2, v2, s75 dst_sel:DWORD dst_unused:UNUSED_PAD src0_sel:BYTE_3 src1_sel:DWORD
	v_cmp_eq_u64_e32 vcc, 0, v[38:39]
	v_cndmask_b32_e32 v21, v2, v21, vcc
; %bb.1525:                             ;   in Loop: Header=BB6_1481 Depth=2
	s_or_b64 exec, exec, s[24:25]
	v_lshrrev_b32_e32 v2, 16, v10
	v_cmp_ne_u16_sdwa vcc, v2, v39 src0_sel:BYTE_0 src1_sel:DWORD
	v_mov_b32_e32 v3, 0
	s_and_saveexec_b64 s[24:25], vcc
	s_cbranch_execz .LBB6_1531
; %bb.1526:                             ;   in Loop: Header=BB6_1481 Depth=2
	v_cmp_ne_u16_sdwa vcc, v2, s76 src0_sel:BYTE_0 src1_sel:DWORD
	v_bfrev_b32_e32 v3, 1
	s_and_saveexec_b64 s[60:61], vcc
	s_cbranch_execz .LBB6_1530
; %bb.1527:                             ;   in Loop: Header=BB6_1481 Depth=2
	v_bfe_u32 v7, v10, 16, 7
	v_cmp_ne_u32_e32 vcc, s75, v7
	v_mov_b32_e32 v3, 0x7f800001
	s_and_saveexec_b64 s[62:63], vcc
	s_cbranch_execz .LBB6_1529
; %bb.1528:                             ;   in Loop: Header=BB6_1481 Depth=2
	v_and_b32_e32 v3, 7, v2
	v_ffbh_u32_e32 v15, v3
	v_min_u32_e32 v15, 32, v15
	v_subrev_u32_e32 v19, 28, v15
	v_lshlrev_b64 v[22:23], v19, v[2:3]
	v_lshrrev_b32_e32 v8, 3, v7
	v_sub_u32_e32 v15, 29, v15
	v_and_b32_e32 v19, 7, v22
	v_cmp_gt_u32_e32 vcc, 8, v7
	v_cndmask_b32_e32 v7, v8, v15, vcc
	v_cndmask_b32_e32 v3, v3, v19, vcc
	v_lshlrev_b32_e32 v2, 24, v2
	v_lshlrev_b32_e32 v3, 20, v3
	v_and_b32_e32 v2, 0x80000000, v2
	v_lshl_add_u32 v7, v7, 23, v31
	v_or3_b32 v3, v2, v7, v3
.LBB6_1529:                             ;   in Loop: Header=BB6_1481 Depth=2
	s_or_b64 exec, exec, s[62:63]
.LBB6_1530:                             ;   in Loop: Header=BB6_1481 Depth=2
	s_or_b64 exec, exec, s[60:61]
.LBB6_1531:                             ;   in Loop: Header=BB6_1481 Depth=2
	s_or_b64 exec, exec, s[24:25]
	v_mul_f32_e32 v2, v9, v3
	v_and_b32_sdwa v7, v2, s76 dst_sel:DWORD dst_unused:UNUSED_PAD src0_sel:BYTE_3 src1_sel:DWORD
	v_and_b32_e32 v22, 0x7f800000, v2
	v_mov_b32_e32 v23, v39
	v_and_b32_e32 v38, 0x7fffff, v2
	v_or_b32_e32 v48, 0x7e, v7
	v_cmp_ne_u64_e32 vcc, s[42:43], v[22:23]
	s_and_saveexec_b64 s[24:25], vcc
	s_xor_b64 s[60:61], exec, s[24:25]
	s_cbranch_execz .LBB6_1541
; %bb.1532:                             ;   in Loop: Header=BB6_1481 Depth=2
	v_and_b32_e32 v22, 0x7fffffff, v2
	v_mov_b32_e32 v23, v39
	v_cmp_gt_u64_e32 vcc, s[44:45], v[22:23]
	s_and_saveexec_b64 s[62:63], vcc
	s_cbranch_execz .LBB6_1540
; %bb.1533:                             ;   in Loop: Header=BB6_1481 Depth=2
	v_cmp_ne_u32_e32 vcc, 0, v2
	v_mov_b32_e32 v48, 0
	s_and_saveexec_b64 s[64:65], vcc
	s_cbranch_execz .LBB6_1539
; %bb.1534:                             ;   in Loop: Header=BB6_1481 Depth=2
	v_bfe_u32 v2, v2, 23, 8
	v_sub_u32_e32 v8, 0x79, v2
	v_cmp_gt_u32_e32 vcc, s77, v2
	v_cndmask_b32_e32 v8, 0, v8, vcc
	v_cmp_eq_u32_e32 vcc, 0, v2
	v_add_u32_e32 v3, 0xffffff81, v2
	v_or_b32_e32 v15, 0x800000, v38
	v_mov_b32_e32 v2, 0xffffff82
	v_cndmask_b32_e32 v8, v8, v20, vcc
	v_cndmask_b32_e32 v19, v3, v2, vcc
	;; [unrolled: 1-line block ×3, first 2 shown]
	v_add_u32_e32 v2, 20, v8
	v_lshlrev_b64 v[2:3], v2, -1
	v_add_u32_e32 v15, 19, v8
	v_lshrrev_b64 v[24:25], v8, v[38:39]
	v_not_b32_e32 v3, v3
	v_not_b32_e32 v2, v2
	v_lshlrev_b64 v[22:23], v15, 1
	v_lshrrev_b32_e32 v15, 23, v24
	v_and_b32_e32 v3, 0, v3
	v_and_b32_e32 v2, v38, v2
	v_add3_u32 v19, v8, v19, v15
	v_bfe_u32 v8, v24, 20, 1
	v_add_u32_e32 v8, -1, v8
	v_cmp_eq_u64_e32 vcc, v[2:3], v[22:23]
	v_cndmask_b32_e32 v2, 0, v8, vcc
	v_add_u32_e32 v2, v2, v24
	v_and_b32_e32 v2, 0xfffff, v2
	v_add_co_u32_e32 v2, vcc, v2, v24
	v_add_u32_e32 v15, 6, v19
	v_addc_co_u32_e32 v3, vcc, 0, v25, vcc
	v_cmp_ne_u32_e32 vcc, 0, v15
                                        ; implicit-def: $vgpr8
	s_and_saveexec_b64 s[24:25], vcc
	s_xor_b64 s[24:25], exec, s[24:25]
; %bb.1535:                             ;   in Loop: Header=BB6_1481 Depth=2
	v_add_u32_e32 v8, 7, v19
	v_cmp_lt_u64_e32 vcc, s[48:49], v[2:3]
	v_cndmask_b32_e32 v8, v15, v8, vcc
	v_cndmask_b32_e64 v15, 0, 1, vcc
	v_lshrrev_b64 v[2:3], v15, v[2:3]
; %bb.1536:                             ;   in Loop: Header=BB6_1481 Depth=2
	s_andn2_saveexec_b64 s[24:25], s[24:25]
; %bb.1537:                             ;   in Loop: Header=BB6_1481 Depth=2
	v_bfe_u32 v8, v2, 23, 1
; %bb.1538:                             ;   in Loop: Header=BB6_1481 Depth=2
	s_or_b64 exec, exec, s[24:25]
	v_lshrrev_b64 v[2:3], 20, v[2:3]
	v_cmp_gt_i32_e32 vcc, 16, v8
	v_cndmask_b32_e32 v3, 0, v3, vcc
	v_cndmask_b32_e32 v2, 7, v2, vcc
	v_cmp_eq_u64_e64 s[24:25], 0, v[2:3]
	v_min_i32_e32 v3, 15, v8
	v_cmp_eq_u32_e32 vcc, 0, v8
	v_lshlrev_b32_e32 v3, 3, v3
	v_and_or_b32 v2, v2, 7, v3
	s_and_b64 s[24:25], vcc, s[24:25]
	v_cndmask_b32_e64 v2, v2, 0, s[24:25]
	v_or_b32_e32 v48, v2, v7
.LBB6_1539:                             ;   in Loop: Header=BB6_1481 Depth=2
	s_or_b64 exec, exec, s[64:65]
.LBB6_1540:                             ;   in Loop: Header=BB6_1481 Depth=2
	s_or_b64 exec, exec, s[62:63]
                                        ; implicit-def: $vgpr2
.LBB6_1541:                             ;   in Loop: Header=BB6_1481 Depth=2
	s_andn2_saveexec_b64 s[24:25], s[60:61]
; %bb.1542:                             ;   in Loop: Header=BB6_1481 Depth=2
	v_or_b32_sdwa v2, v2, s75 dst_sel:DWORD dst_unused:UNUSED_PAD src0_sel:BYTE_3 src1_sel:DWORD
	v_cmp_eq_u64_e32 vcc, 0, v[38:39]
	v_cndmask_b32_e32 v48, v2, v48, vcc
; %bb.1543:                             ;   in Loop: Header=BB6_1481 Depth=2
	s_or_b64 exec, exec, s[24:25]
	v_cmp_lt_u32_e32 vcc, s47, v10
	v_mov_b32_e32 v3, 0
	s_and_saveexec_b64 s[24:25], vcc
	s_cbranch_execz .LBB6_1549
; %bb.1544:                             ;   in Loop: Header=BB6_1481 Depth=2
	v_lshrrev_b32_e32 v2, 24, v10
	v_cmp_ne_u32_e32 vcc, s76, v2
	v_bfrev_b32_e32 v3, 1
	s_and_saveexec_b64 s[60:61], vcc
	s_cbranch_execz .LBB6_1548
; %bb.1545:                             ;   in Loop: Header=BB6_1481 Depth=2
	v_bfe_u32 v7, v10, 24, 7
	v_cmp_ne_u32_e32 vcc, s75, v7
	v_mov_b32_e32 v3, 0x7f800001
	s_and_saveexec_b64 s[62:63], vcc
	s_cbranch_execz .LBB6_1547
; %bb.1546:                             ;   in Loop: Header=BB6_1481 Depth=2
	v_and_b32_e32 v3, 7, v2
	v_ffbh_u32_e32 v15, v3
	v_min_u32_e32 v15, 32, v15
	v_subrev_u32_e32 v19, 28, v15
	v_lshlrev_b64 v[22:23], v19, v[2:3]
	v_lshrrev_b32_e32 v8, 3, v7
	v_sub_u32_e32 v15, 29, v15
	v_and_b32_e32 v19, 7, v22
	v_cmp_gt_u32_e32 vcc, 8, v7
	v_cndmask_b32_e32 v7, v8, v15, vcc
	v_cndmask_b32_e32 v3, v3, v19, vcc
	v_lshlrev_b32_e32 v2, 24, v2
	v_lshlrev_b32_e32 v3, 20, v3
	v_and_b32_e32 v2, 0x80000000, v2
	v_lshl_add_u32 v7, v7, 23, v31
	v_or3_b32 v3, v2, v7, v3
.LBB6_1547:                             ;   in Loop: Header=BB6_1481 Depth=2
	s_or_b64 exec, exec, s[62:63]
.LBB6_1548:                             ;   in Loop: Header=BB6_1481 Depth=2
	s_or_b64 exec, exec, s[60:61]
.LBB6_1549:                             ;   in Loop: Header=BB6_1481 Depth=2
	s_or_b64 exec, exec, s[24:25]
	v_mul_f32_e32 v2, v9, v3
	v_and_b32_sdwa v7, v2, s76 dst_sel:DWORD dst_unused:UNUSED_PAD src0_sel:BYTE_3 src1_sel:DWORD
	v_and_b32_e32 v22, 0x7f800000, v2
	v_mov_b32_e32 v23, v39
	v_and_b32_e32 v38, 0x7fffff, v2
	v_or_b32_e32 v27, 0x7e, v7
	v_cmp_ne_u64_e32 vcc, s[42:43], v[22:23]
	s_and_saveexec_b64 s[24:25], vcc
	s_xor_b64 s[60:61], exec, s[24:25]
	s_cbranch_execz .LBB6_1559
; %bb.1550:                             ;   in Loop: Header=BB6_1481 Depth=2
	v_and_b32_e32 v22, 0x7fffffff, v2
	v_mov_b32_e32 v23, v39
	v_cmp_gt_u64_e32 vcc, s[44:45], v[22:23]
	s_and_saveexec_b64 s[62:63], vcc
	s_cbranch_execz .LBB6_1558
; %bb.1551:                             ;   in Loop: Header=BB6_1481 Depth=2
	v_cmp_ne_u32_e32 vcc, 0, v2
	v_mov_b32_e32 v27, 0
	s_and_saveexec_b64 s[64:65], vcc
	s_cbranch_execz .LBB6_1557
; %bb.1552:                             ;   in Loop: Header=BB6_1481 Depth=2
	v_bfe_u32 v2, v2, 23, 8
	v_sub_u32_e32 v8, 0x79, v2
	v_cmp_gt_u32_e32 vcc, s77, v2
	v_cndmask_b32_e32 v8, 0, v8, vcc
	v_cmp_eq_u32_e32 vcc, 0, v2
	v_add_u32_e32 v3, 0xffffff81, v2
	v_or_b32_e32 v15, 0x800000, v38
	v_mov_b32_e32 v2, 0xffffff82
	v_cndmask_b32_e32 v8, v8, v20, vcc
	v_cndmask_b32_e32 v19, v3, v2, vcc
	;; [unrolled: 1-line block ×3, first 2 shown]
	v_add_u32_e32 v2, 20, v8
	v_lshlrev_b64 v[2:3], v2, -1
	v_add_u32_e32 v15, 19, v8
	v_lshrrev_b64 v[24:25], v8, v[38:39]
	v_not_b32_e32 v3, v3
	v_not_b32_e32 v2, v2
	v_lshlrev_b64 v[22:23], v15, 1
	v_lshrrev_b32_e32 v15, 23, v24
	v_and_b32_e32 v3, 0, v3
	v_and_b32_e32 v2, v38, v2
	v_add3_u32 v19, v8, v19, v15
	v_bfe_u32 v8, v24, 20, 1
	v_add_u32_e32 v8, -1, v8
	v_cmp_eq_u64_e32 vcc, v[2:3], v[22:23]
	v_cndmask_b32_e32 v2, 0, v8, vcc
	v_add_u32_e32 v2, v2, v24
	v_and_b32_e32 v2, 0xfffff, v2
	v_add_co_u32_e32 v2, vcc, v2, v24
	v_add_u32_e32 v15, 6, v19
	v_addc_co_u32_e32 v3, vcc, 0, v25, vcc
	v_cmp_ne_u32_e32 vcc, 0, v15
                                        ; implicit-def: $vgpr8
	s_and_saveexec_b64 s[24:25], vcc
	s_xor_b64 s[24:25], exec, s[24:25]
; %bb.1553:                             ;   in Loop: Header=BB6_1481 Depth=2
	v_add_u32_e32 v8, 7, v19
	v_cmp_lt_u64_e32 vcc, s[48:49], v[2:3]
	v_cndmask_b32_e32 v8, v15, v8, vcc
	v_cndmask_b32_e64 v15, 0, 1, vcc
	v_lshrrev_b64 v[2:3], v15, v[2:3]
; %bb.1554:                             ;   in Loop: Header=BB6_1481 Depth=2
	s_andn2_saveexec_b64 s[24:25], s[24:25]
; %bb.1555:                             ;   in Loop: Header=BB6_1481 Depth=2
	v_bfe_u32 v8, v2, 23, 1
; %bb.1556:                             ;   in Loop: Header=BB6_1481 Depth=2
	s_or_b64 exec, exec, s[24:25]
	v_lshrrev_b64 v[2:3], 20, v[2:3]
	v_cmp_gt_i32_e32 vcc, 16, v8
	v_cndmask_b32_e32 v3, 0, v3, vcc
	v_cndmask_b32_e32 v2, 7, v2, vcc
	v_cmp_eq_u64_e64 s[24:25], 0, v[2:3]
	v_min_i32_e32 v3, 15, v8
	v_cmp_eq_u32_e32 vcc, 0, v8
	v_lshlrev_b32_e32 v3, 3, v3
	v_and_or_b32 v2, v2, 7, v3
	s_and_b64 s[24:25], vcc, s[24:25]
	v_cndmask_b32_e64 v2, v2, 0, s[24:25]
	v_or_b32_e32 v27, v2, v7
.LBB6_1557:                             ;   in Loop: Header=BB6_1481 Depth=2
	s_or_b64 exec, exec, s[64:65]
.LBB6_1558:                             ;   in Loop: Header=BB6_1481 Depth=2
	s_or_b64 exec, exec, s[62:63]
                                        ; implicit-def: $vgpr2
.LBB6_1559:                             ;   in Loop: Header=BB6_1481 Depth=2
	s_andn2_saveexec_b64 s[24:25], s[60:61]
; %bb.1560:                             ;   in Loop: Header=BB6_1481 Depth=2
	v_or_b32_sdwa v2, v2, s75 dst_sel:DWORD dst_unused:UNUSED_PAD src0_sel:BYTE_3 src1_sel:DWORD
	v_cmp_eq_u64_e32 vcc, 0, v[38:39]
	v_cndmask_b32_e32 v27, v2, v27, vcc
; %bb.1561:                             ;   in Loop: Header=BB6_1481 Depth=2
	s_or_b64 exec, exec, s[24:25]
	v_mov_b32_e32 v38, v11
	v_cmp_ne_u16_sdwa vcc, v11, v39 src0_sel:BYTE_0 src1_sel:DWORD
	v_mov_b32_e32 v2, 0
	s_and_saveexec_b64 s[24:25], vcc
	s_cbranch_execz .LBB6_1567
; %bb.1562:                             ;   in Loop: Header=BB6_1481 Depth=2
	v_cmp_ne_u16_sdwa vcc, v11, s76 src0_sel:BYTE_0 src1_sel:DWORD
	v_bfrev_b32_e32 v2, 1
	s_and_saveexec_b64 s[60:61], vcc
	s_cbranch_execz .LBB6_1566
; %bb.1563:                             ;   in Loop: Header=BB6_1481 Depth=2
	v_and_b32_e32 v3, 0x7f, v11
	v_cmp_ne_u32_e32 vcc, s75, v3
	v_mov_b32_e32 v2, 0x7f800001
	s_and_saveexec_b64 s[62:63], vcc
	s_cbranch_execz .LBB6_1565
; %bb.1564:                             ;   in Loop: Header=BB6_1481 Depth=2
	v_and_b32_e32 v2, 7, v11
	v_ffbh_u32_e32 v2, v2
	v_min_u32_e32 v2, 32, v2
	v_lshrrev_b32_e32 v7, 3, v3
	v_subrev_u32_e32 v8, 28, v2
	v_sub_u32_e32 v2, 29, v2
	v_cmp_gt_u32_e32 vcc, 8, v3
	v_cndmask_b32_e32 v7, v7, v2, vcc
	v_cndmask_b32_e32 v2, 0, v8, vcc
	v_lshlrev_b64 v[2:3], v2, v[38:39]
	v_lshlrev_b32_e32 v2, 20, v2
	v_lshlrev_b32_e32 v3, 24, v38
	v_and_b32_e32 v2, 0x700000, v2
	v_and_b32_e32 v3, 0x80000000, v3
	v_lshl_add_u32 v7, v7, 23, v31
	v_or3_b32 v2, v3, v7, v2
.LBB6_1565:                             ;   in Loop: Header=BB6_1481 Depth=2
	s_or_b64 exec, exec, s[62:63]
.LBB6_1566:                             ;   in Loop: Header=BB6_1481 Depth=2
	s_or_b64 exec, exec, s[60:61]
.LBB6_1567:                             ;   in Loop: Header=BB6_1481 Depth=2
	s_or_b64 exec, exec, s[24:25]
	v_mul_f32_e32 v8, v9, v2
	v_and_b32_sdwa v7, v8, s76 dst_sel:DWORD dst_unused:UNUSED_PAD src0_sel:BYTE_3 src1_sel:DWORD
	v_and_b32_e32 v24, 0x7f800000, v8
	v_mov_b32_e32 v25, v39
	v_and_b32_e32 v2, 0x7fffff, v8
	v_mov_b32_e32 v3, v39
	v_or_b32_e32 v22, 0x7e, v7
	v_cmp_ne_u64_e32 vcc, s[42:43], v[24:25]
	s_and_saveexec_b64 s[24:25], vcc
	s_xor_b64 s[60:61], exec, s[24:25]
	s_cbranch_execz .LBB6_1577
; %bb.1568:                             ;   in Loop: Header=BB6_1481 Depth=2
	v_and_b32_e32 v24, 0x7fffffff, v8
	v_mov_b32_e32 v25, v39
	v_cmp_gt_u64_e32 vcc, s[44:45], v[24:25]
	s_and_saveexec_b64 s[62:63], vcc
	s_cbranch_execz .LBB6_1576
; %bb.1569:                             ;   in Loop: Header=BB6_1481 Depth=2
	v_cmp_ne_u32_e32 vcc, 0, v8
	v_mov_b32_e32 v22, 0
	s_and_saveexec_b64 s[64:65], vcc
	s_cbranch_execz .LBB6_1575
; %bb.1570:                             ;   in Loop: Header=BB6_1481 Depth=2
	v_bfe_u32 v8, v8, 23, 8
	v_sub_u32_e32 v19, 0x79, v8
	v_cmp_gt_u32_e32 vcc, s77, v8
	v_add_u32_e32 v15, 0xffffff81, v8
	v_cndmask_b32_e32 v19, 0, v19, vcc
	v_cmp_eq_u32_e32 vcc, 0, v8
	v_mov_b32_e32 v8, 0xffffff82
	v_cndmask_b32_e32 v8, v15, v8, vcc
	v_cndmask_b32_e32 v15, v19, v20, vcc
	v_or_b32_e32 v22, 0x800000, v2
	v_add_u32_e32 v19, 20, v15
	v_cndmask_b32_e32 v2, v22, v2, vcc
	v_lshlrev_b64 v[22:23], v19, -1
	v_not_b32_e32 v19, v23
	v_not_b32_e32 v22, v22
	v_and_b32_e32 v23, 0, v19
	v_and_b32_e32 v22, v2, v22
	v_add_u32_e32 v19, 19, v15
	v_lshrrev_b64 v[2:3], v15, v[2:3]
	v_lshlrev_b64 v[24:25], v19, 1
	v_lshrrev_b32_e32 v19, 23, v2
	v_add3_u32 v19, v15, v8, v19
	v_bfe_u32 v8, v2, 20, 1
	v_add_u32_e32 v8, -1, v8
	v_cmp_eq_u64_e32 vcc, v[22:23], v[24:25]
	v_cndmask_b32_e32 v8, 0, v8, vcc
	v_add_u32_e32 v8, v8, v2
	v_and_b32_e32 v8, 0xfffff, v8
	v_add_co_u32_e32 v2, vcc, v8, v2
	v_add_u32_e32 v15, 6, v19
	v_addc_co_u32_e32 v3, vcc, 0, v3, vcc
	v_cmp_ne_u32_e32 vcc, 0, v15
                                        ; implicit-def: $vgpr8
	s_and_saveexec_b64 s[24:25], vcc
	s_xor_b64 s[24:25], exec, s[24:25]
; %bb.1571:                             ;   in Loop: Header=BB6_1481 Depth=2
	v_add_u32_e32 v8, 7, v19
	v_cmp_lt_u64_e32 vcc, s[48:49], v[2:3]
	v_cndmask_b32_e32 v8, v15, v8, vcc
	v_cndmask_b32_e64 v15, 0, 1, vcc
	v_lshrrev_b64 v[2:3], v15, v[2:3]
; %bb.1572:                             ;   in Loop: Header=BB6_1481 Depth=2
	s_andn2_saveexec_b64 s[24:25], s[24:25]
; %bb.1573:                             ;   in Loop: Header=BB6_1481 Depth=2
	v_bfe_u32 v8, v2, 23, 1
; %bb.1574:                             ;   in Loop: Header=BB6_1481 Depth=2
	s_or_b64 exec, exec, s[24:25]
	v_lshrrev_b64 v[2:3], 20, v[2:3]
	v_cmp_gt_i32_e32 vcc, 16, v8
	v_cndmask_b32_e32 v3, 0, v3, vcc
	v_cndmask_b32_e32 v2, 7, v2, vcc
	v_cmp_eq_u64_e64 s[24:25], 0, v[2:3]
	v_min_i32_e32 v3, 15, v8
	v_cmp_eq_u32_e32 vcc, 0, v8
	v_lshlrev_b32_e32 v3, 3, v3
	v_and_or_b32 v2, v2, 7, v3
	s_and_b64 s[24:25], vcc, s[24:25]
	v_cndmask_b32_e64 v2, v2, 0, s[24:25]
	v_or_b32_e32 v22, v2, v7
.LBB6_1575:                             ;   in Loop: Header=BB6_1481 Depth=2
	s_or_b64 exec, exec, s[64:65]
.LBB6_1576:                             ;   in Loop: Header=BB6_1481 Depth=2
	s_or_b64 exec, exec, s[62:63]
                                        ; implicit-def: $vgpr8
                                        ; implicit-def: $vgpr2_vgpr3
.LBB6_1577:                             ;   in Loop: Header=BB6_1481 Depth=2
	s_andn2_saveexec_b64 s[24:25], s[60:61]
; %bb.1578:                             ;   in Loop: Header=BB6_1481 Depth=2
	v_or_b32_sdwa v7, v8, s75 dst_sel:DWORD dst_unused:UNUSED_PAD src0_sel:BYTE_3 src1_sel:DWORD
	v_cmp_eq_u64_e32 vcc, 0, v[2:3]
	v_cndmask_b32_e32 v22, v7, v22, vcc
; %bb.1579:                             ;   in Loop: Header=BB6_1481 Depth=2
	s_or_b64 exec, exec, s[24:25]
	v_lshrrev_b16_e32 v2, 8, v38
	v_cmp_ne_u16_e32 vcc, 0, v2
	v_mov_b32_e32 v3, 0
	s_and_saveexec_b64 s[24:25], vcc
	s_cbranch_execz .LBB6_1585
; %bb.1580:                             ;   in Loop: Header=BB6_1481 Depth=2
	v_cmp_ne_u16_e32 vcc, s76, v2
	v_bfrev_b32_e32 v3, 1
	s_and_saveexec_b64 s[60:61], vcc
	s_cbranch_execz .LBB6_1584
; %bb.1581:                             ;   in Loop: Header=BB6_1481 Depth=2
	v_and_b32_e32 v7, 0x7f, v2
	v_cmp_ne_u32_e32 vcc, s75, v7
	v_mov_b32_e32 v3, 0x7f800001
	s_and_saveexec_b64 s[62:63], vcc
	s_cbranch_execz .LBB6_1583
; %bb.1582:                             ;   in Loop: Header=BB6_1481 Depth=2
	v_and_b32_e32 v8, 7, v2
	v_ffbh_u32_e32 v3, v8
	v_min_u32_e32 v19, 32, v3
	v_subrev_u32_e32 v3, 28, v19
	v_lshlrev_b64 v[2:3], v3, v[2:3]
	v_lshrrev_b32_e32 v15, 3, v7
	v_sub_u32_e32 v3, 29, v19
	v_and_b32_e32 v2, 7, v2
	v_cmp_gt_u32_e32 vcc, 8, v7
	v_cndmask_b32_e32 v3, v15, v3, vcc
	v_cndmask_b32_e32 v2, v8, v2, vcc
	v_lshlrev_b32_e32 v7, 16, v38
	v_lshlrev_b32_e32 v2, 20, v2
	v_and_b32_e32 v7, 0x80000000, v7
	v_lshl_add_u32 v3, v3, 23, v31
	v_or3_b32 v3, v7, v3, v2
.LBB6_1583:                             ;   in Loop: Header=BB6_1481 Depth=2
	s_or_b64 exec, exec, s[62:63]
.LBB6_1584:                             ;   in Loop: Header=BB6_1481 Depth=2
	s_or_b64 exec, exec, s[60:61]
.LBB6_1585:                             ;   in Loop: Header=BB6_1481 Depth=2
	s_or_b64 exec, exec, s[24:25]
	v_mul_f32_e32 v2, v9, v3
	v_and_b32_sdwa v7, v2, s76 dst_sel:DWORD dst_unused:UNUSED_PAD src0_sel:BYTE_3 src1_sel:DWORD
	v_and_b32_e32 v24, 0x7f800000, v2
	v_mov_b32_e32 v25, v39
	v_and_b32_e32 v38, 0x7fffff, v2
	v_or_b32_e32 v32, 0x7e, v7
	v_cmp_ne_u64_e32 vcc, s[42:43], v[24:25]
	s_and_saveexec_b64 s[24:25], vcc
	s_xor_b64 s[60:61], exec, s[24:25]
	s_cbranch_execz .LBB6_1595
; %bb.1586:                             ;   in Loop: Header=BB6_1481 Depth=2
	v_and_b32_e32 v24, 0x7fffffff, v2
	v_mov_b32_e32 v25, v39
	v_cmp_gt_u64_e32 vcc, s[44:45], v[24:25]
	s_and_saveexec_b64 s[62:63], vcc
	s_cbranch_execz .LBB6_1594
; %bb.1587:                             ;   in Loop: Header=BB6_1481 Depth=2
	v_cmp_ne_u32_e32 vcc, 0, v2
	v_mov_b32_e32 v32, 0
	s_and_saveexec_b64 s[64:65], vcc
	s_cbranch_execz .LBB6_1593
; %bb.1588:                             ;   in Loop: Header=BB6_1481 Depth=2
	v_bfe_u32 v2, v2, 23, 8
	v_sub_u32_e32 v8, 0x79, v2
	v_cmp_gt_u32_e32 vcc, s77, v2
	v_cndmask_b32_e32 v8, 0, v8, vcc
	v_cmp_eq_u32_e32 vcc, 0, v2
	v_add_u32_e32 v3, 0xffffff81, v2
	v_or_b32_e32 v15, 0x800000, v38
	v_mov_b32_e32 v2, 0xffffff82
	v_cndmask_b32_e32 v8, v8, v20, vcc
	v_cndmask_b32_e32 v19, v3, v2, vcc
	;; [unrolled: 1-line block ×3, first 2 shown]
	v_add_u32_e32 v2, 20, v8
	v_lshlrev_b64 v[2:3], v2, -1
	v_add_u32_e32 v15, 19, v8
	v_lshrrev_b64 v[28:29], v8, v[38:39]
	v_not_b32_e32 v3, v3
	v_not_b32_e32 v2, v2
	v_lshlrev_b64 v[24:25], v15, 1
	v_lshrrev_b32_e32 v15, 23, v28
	v_and_b32_e32 v3, 0, v3
	v_and_b32_e32 v2, v38, v2
	v_add3_u32 v19, v8, v19, v15
	v_bfe_u32 v8, v28, 20, 1
	v_add_u32_e32 v8, -1, v8
	v_cmp_eq_u64_e32 vcc, v[2:3], v[24:25]
	v_cndmask_b32_e32 v2, 0, v8, vcc
	v_add_u32_e32 v2, v2, v28
	v_and_b32_e32 v2, 0xfffff, v2
	v_add_co_u32_e32 v2, vcc, v2, v28
	v_add_u32_e32 v15, 6, v19
	v_addc_co_u32_e32 v3, vcc, 0, v29, vcc
	v_cmp_ne_u32_e32 vcc, 0, v15
                                        ; implicit-def: $vgpr8
	s_and_saveexec_b64 s[24:25], vcc
	s_xor_b64 s[24:25], exec, s[24:25]
; %bb.1589:                             ;   in Loop: Header=BB6_1481 Depth=2
	v_add_u32_e32 v8, 7, v19
	v_cmp_lt_u64_e32 vcc, s[48:49], v[2:3]
	v_cndmask_b32_e32 v8, v15, v8, vcc
	v_cndmask_b32_e64 v15, 0, 1, vcc
	v_lshrrev_b64 v[2:3], v15, v[2:3]
; %bb.1590:                             ;   in Loop: Header=BB6_1481 Depth=2
	s_andn2_saveexec_b64 s[24:25], s[24:25]
; %bb.1591:                             ;   in Loop: Header=BB6_1481 Depth=2
	v_bfe_u32 v8, v2, 23, 1
; %bb.1592:                             ;   in Loop: Header=BB6_1481 Depth=2
	s_or_b64 exec, exec, s[24:25]
	v_lshrrev_b64 v[2:3], 20, v[2:3]
	v_cmp_gt_i32_e32 vcc, 16, v8
	v_cndmask_b32_e32 v3, 0, v3, vcc
	v_cndmask_b32_e32 v2, 7, v2, vcc
	v_cmp_eq_u64_e64 s[24:25], 0, v[2:3]
	v_min_i32_e32 v3, 15, v8
	v_lshlrev_b32_e32 v3, 3, v3
	v_cmp_eq_u32_e32 vcc, 0, v8
	v_and_b32_e32 v3, 0xf8, v3
	v_and_or_b32 v2, v2, 7, v3
	s_and_b64 s[24:25], vcc, s[24:25]
	v_cndmask_b32_e64 v2, v2, 0, s[24:25]
	v_or_b32_e32 v32, v2, v7
.LBB6_1593:                             ;   in Loop: Header=BB6_1481 Depth=2
	s_or_b64 exec, exec, s[64:65]
.LBB6_1594:                             ;   in Loop: Header=BB6_1481 Depth=2
	s_or_b64 exec, exec, s[62:63]
                                        ; implicit-def: $vgpr2
.LBB6_1595:                             ;   in Loop: Header=BB6_1481 Depth=2
	s_andn2_saveexec_b64 s[24:25], s[60:61]
; %bb.1596:                             ;   in Loop: Header=BB6_1481 Depth=2
	v_or_b32_sdwa v2, v2, s75 dst_sel:DWORD dst_unused:UNUSED_PAD src0_sel:BYTE_3 src1_sel:DWORD
	v_cmp_eq_u64_e32 vcc, 0, v[38:39]
	v_cndmask_b32_e32 v32, v2, v32, vcc
; %bb.1597:                             ;   in Loop: Header=BB6_1481 Depth=2
	s_or_b64 exec, exec, s[24:25]
	v_lshrrev_b32_e32 v2, 16, v11
	v_cmp_ne_u16_sdwa vcc, v2, v39 src0_sel:BYTE_0 src1_sel:DWORD
	v_mov_b32_e32 v3, 0
	s_and_saveexec_b64 s[24:25], vcc
	s_cbranch_execz .LBB6_1603
; %bb.1598:                             ;   in Loop: Header=BB6_1481 Depth=2
	v_cmp_ne_u16_sdwa vcc, v2, s76 src0_sel:BYTE_0 src1_sel:DWORD
	v_bfrev_b32_e32 v3, 1
	s_and_saveexec_b64 s[60:61], vcc
	s_cbranch_execz .LBB6_1602
; %bb.1599:                             ;   in Loop: Header=BB6_1481 Depth=2
	v_bfe_u32 v7, v11, 16, 7
	v_cmp_ne_u32_e32 vcc, s75, v7
	v_mov_b32_e32 v3, 0x7f800001
	s_and_saveexec_b64 s[62:63], vcc
	s_cbranch_execz .LBB6_1601
; %bb.1600:                             ;   in Loop: Header=BB6_1481 Depth=2
	v_and_b32_e32 v3, 7, v2
	v_ffbh_u32_e32 v15, v3
	v_min_u32_e32 v15, 32, v15
	v_subrev_u32_e32 v19, 28, v15
	v_lshlrev_b64 v[24:25], v19, v[2:3]
	v_lshrrev_b32_e32 v8, 3, v7
	v_sub_u32_e32 v15, 29, v15
	v_and_b32_e32 v19, 7, v24
	v_cmp_gt_u32_e32 vcc, 8, v7
	v_cndmask_b32_e32 v7, v8, v15, vcc
	v_cndmask_b32_e32 v3, v3, v19, vcc
	v_lshlrev_b32_e32 v2, 24, v2
	v_lshlrev_b32_e32 v3, 20, v3
	v_and_b32_e32 v2, 0x80000000, v2
	v_lshl_add_u32 v7, v7, 23, v31
	v_or3_b32 v3, v2, v7, v3
.LBB6_1601:                             ;   in Loop: Header=BB6_1481 Depth=2
	s_or_b64 exec, exec, s[62:63]
.LBB6_1602:                             ;   in Loop: Header=BB6_1481 Depth=2
	s_or_b64 exec, exec, s[60:61]
.LBB6_1603:                             ;   in Loop: Header=BB6_1481 Depth=2
	s_or_b64 exec, exec, s[24:25]
	v_mul_f32_e32 v2, v9, v3
	v_and_b32_sdwa v7, v2, s76 dst_sel:DWORD dst_unused:UNUSED_PAD src0_sel:BYTE_3 src1_sel:DWORD
	v_and_b32_e32 v24, 0x7f800000, v2
	v_mov_b32_e32 v25, v39
	v_and_b32_e32 v38, 0x7fffff, v2
	v_or_b32_e32 v33, 0x7e, v7
	v_cmp_ne_u64_e32 vcc, s[42:43], v[24:25]
	s_and_saveexec_b64 s[24:25], vcc
	s_xor_b64 s[60:61], exec, s[24:25]
	s_cbranch_execz .LBB6_1613
; %bb.1604:                             ;   in Loop: Header=BB6_1481 Depth=2
	v_and_b32_e32 v24, 0x7fffffff, v2
	v_mov_b32_e32 v25, v39
	v_cmp_gt_u64_e32 vcc, s[44:45], v[24:25]
	s_and_saveexec_b64 s[62:63], vcc
	s_cbranch_execz .LBB6_1612
; %bb.1605:                             ;   in Loop: Header=BB6_1481 Depth=2
	v_cmp_ne_u32_e32 vcc, 0, v2
	v_mov_b32_e32 v33, 0
	s_and_saveexec_b64 s[64:65], vcc
	s_cbranch_execz .LBB6_1611
; %bb.1606:                             ;   in Loop: Header=BB6_1481 Depth=2
	v_bfe_u32 v2, v2, 23, 8
	v_sub_u32_e32 v8, 0x79, v2
	v_cmp_gt_u32_e32 vcc, s77, v2
	v_cndmask_b32_e32 v8, 0, v8, vcc
	v_cmp_eq_u32_e32 vcc, 0, v2
	v_add_u32_e32 v3, 0xffffff81, v2
	v_or_b32_e32 v15, 0x800000, v38
	v_mov_b32_e32 v2, 0xffffff82
	v_cndmask_b32_e32 v8, v8, v20, vcc
	v_cndmask_b32_e32 v19, v3, v2, vcc
	;; [unrolled: 1-line block ×3, first 2 shown]
	v_add_u32_e32 v2, 20, v8
	v_lshlrev_b64 v[2:3], v2, -1
	v_add_u32_e32 v15, 19, v8
	v_lshrrev_b64 v[28:29], v8, v[38:39]
	v_not_b32_e32 v3, v3
	v_not_b32_e32 v2, v2
	v_lshlrev_b64 v[24:25], v15, 1
	v_lshrrev_b32_e32 v15, 23, v28
	v_and_b32_e32 v3, 0, v3
	v_and_b32_e32 v2, v38, v2
	v_add3_u32 v19, v8, v19, v15
	v_bfe_u32 v8, v28, 20, 1
	v_add_u32_e32 v8, -1, v8
	v_cmp_eq_u64_e32 vcc, v[2:3], v[24:25]
	v_cndmask_b32_e32 v2, 0, v8, vcc
	v_add_u32_e32 v2, v2, v28
	v_and_b32_e32 v2, 0xfffff, v2
	v_add_co_u32_e32 v2, vcc, v2, v28
	v_add_u32_e32 v15, 6, v19
	v_addc_co_u32_e32 v3, vcc, 0, v29, vcc
	v_cmp_ne_u32_e32 vcc, 0, v15
                                        ; implicit-def: $vgpr8
	s_and_saveexec_b64 s[24:25], vcc
	s_xor_b64 s[24:25], exec, s[24:25]
; %bb.1607:                             ;   in Loop: Header=BB6_1481 Depth=2
	v_add_u32_e32 v8, 7, v19
	v_cmp_lt_u64_e32 vcc, s[48:49], v[2:3]
	v_cndmask_b32_e32 v8, v15, v8, vcc
	v_cndmask_b32_e64 v15, 0, 1, vcc
	v_lshrrev_b64 v[2:3], v15, v[2:3]
; %bb.1608:                             ;   in Loop: Header=BB6_1481 Depth=2
	s_andn2_saveexec_b64 s[24:25], s[24:25]
; %bb.1609:                             ;   in Loop: Header=BB6_1481 Depth=2
	v_bfe_u32 v8, v2, 23, 1
; %bb.1610:                             ;   in Loop: Header=BB6_1481 Depth=2
	s_or_b64 exec, exec, s[24:25]
	v_lshrrev_b64 v[2:3], 20, v[2:3]
	v_cmp_gt_i32_e32 vcc, 16, v8
	v_cndmask_b32_e32 v3, 0, v3, vcc
	v_cndmask_b32_e32 v2, 7, v2, vcc
	v_cmp_eq_u64_e64 s[24:25], 0, v[2:3]
	v_min_i32_e32 v3, 15, v8
	v_lshlrev_b32_e32 v3, 3, v3
	v_cmp_eq_u32_e32 vcc, 0, v8
	v_and_b32_e32 v3, 0xf8, v3
	v_and_or_b32 v2, v2, 7, v3
	s_and_b64 s[24:25], vcc, s[24:25]
	v_cndmask_b32_e64 v2, v2, 0, s[24:25]
	v_or_b32_e32 v33, v2, v7
.LBB6_1611:                             ;   in Loop: Header=BB6_1481 Depth=2
	s_or_b64 exec, exec, s[64:65]
.LBB6_1612:                             ;   in Loop: Header=BB6_1481 Depth=2
	s_or_b64 exec, exec, s[62:63]
                                        ; implicit-def: $vgpr2
.LBB6_1613:                             ;   in Loop: Header=BB6_1481 Depth=2
	s_andn2_saveexec_b64 s[24:25], s[60:61]
; %bb.1614:                             ;   in Loop: Header=BB6_1481 Depth=2
	v_or_b32_sdwa v2, v2, s75 dst_sel:DWORD dst_unused:UNUSED_PAD src0_sel:BYTE_3 src1_sel:DWORD
	v_cmp_eq_u64_e32 vcc, 0, v[38:39]
	v_cndmask_b32_e32 v33, v2, v33, vcc
; %bb.1615:                             ;   in Loop: Header=BB6_1481 Depth=2
	s_or_b64 exec, exec, s[24:25]
	v_cmp_lt_u64_e32 vcc, s[46:47], v[10:11]
	v_mov_b32_e32 v3, 0
	s_and_saveexec_b64 s[24:25], vcc
	s_cbranch_execz .LBB6_1621
; %bb.1616:                             ;   in Loop: Header=BB6_1481 Depth=2
	v_lshrrev_b32_e32 v2, 24, v11
	v_cmp_ne_u32_e32 vcc, s76, v2
	v_bfrev_b32_e32 v3, 1
	s_and_saveexec_b64 s[60:61], vcc
	s_cbranch_execz .LBB6_1620
; %bb.1617:                             ;   in Loop: Header=BB6_1481 Depth=2
	v_bfe_u32 v7, v11, 24, 7
	v_cmp_ne_u32_e32 vcc, s75, v7
	v_mov_b32_e32 v3, 0x7f800001
	s_and_saveexec_b64 s[62:63], vcc
	s_cbranch_execz .LBB6_1619
; %bb.1618:                             ;   in Loop: Header=BB6_1481 Depth=2
	v_and_b32_e32 v3, 7, v2
	v_ffbh_u32_e32 v10, v3
	v_min_u32_e32 v15, 32, v10
	v_subrev_u32_e32 v10, 28, v15
	v_lshlrev_b64 v[10:11], v10, v[2:3]
	v_lshrrev_b32_e32 v8, 3, v7
	v_sub_u32_e32 v11, 29, v15
	v_and_b32_e32 v10, 7, v10
	v_cmp_gt_u32_e32 vcc, 8, v7
	v_cndmask_b32_e32 v7, v8, v11, vcc
	v_cndmask_b32_e32 v3, v3, v10, vcc
	v_lshlrev_b32_e32 v2, 24, v2
	v_lshlrev_b32_e32 v3, 20, v3
	v_and_b32_e32 v2, 0x80000000, v2
	v_lshl_add_u32 v7, v7, 23, v31
	v_or3_b32 v3, v2, v7, v3
.LBB6_1619:                             ;   in Loop: Header=BB6_1481 Depth=2
	s_or_b64 exec, exec, s[62:63]
.LBB6_1620:                             ;   in Loop: Header=BB6_1481 Depth=2
	s_or_b64 exec, exec, s[60:61]
.LBB6_1621:                             ;   in Loop: Header=BB6_1481 Depth=2
	s_or_b64 exec, exec, s[24:25]
	v_mul_f32_e32 v2, v9, v3
	v_and_b32_sdwa v7, v2, s76 dst_sel:DWORD dst_unused:UNUSED_PAD src0_sel:BYTE_3 src1_sel:DWORD
	v_and_b32_e32 v10, 0x7f800000, v2
	v_mov_b32_e32 v11, v39
	v_and_b32_e32 v38, 0x7fffff, v2
	v_or_b32_e32 v34, 0x7e, v7
	v_cmp_ne_u64_e32 vcc, s[42:43], v[10:11]
	s_and_saveexec_b64 s[24:25], vcc
	s_xor_b64 s[60:61], exec, s[24:25]
	s_cbranch_execz .LBB6_1631
; %bb.1622:                             ;   in Loop: Header=BB6_1481 Depth=2
	v_and_b32_e32 v10, 0x7fffffff, v2
	v_mov_b32_e32 v11, v39
	v_cmp_gt_u64_e32 vcc, s[44:45], v[10:11]
	s_and_saveexec_b64 s[62:63], vcc
	s_cbranch_execz .LBB6_1630
; %bb.1623:                             ;   in Loop: Header=BB6_1481 Depth=2
	v_cmp_ne_u32_e32 vcc, 0, v2
	v_mov_b32_e32 v34, 0
	s_and_saveexec_b64 s[64:65], vcc
	s_cbranch_execz .LBB6_1629
; %bb.1624:                             ;   in Loop: Header=BB6_1481 Depth=2
	v_bfe_u32 v2, v2, 23, 8
	v_sub_u32_e32 v8, 0x79, v2
	v_cmp_gt_u32_e32 vcc, s77, v2
	v_cndmask_b32_e32 v8, 0, v8, vcc
	v_cmp_eq_u32_e32 vcc, 0, v2
	v_add_u32_e32 v3, 0xffffff81, v2
	v_or_b32_e32 v10, 0x800000, v38
	v_mov_b32_e32 v2, 0xffffff82
	v_cndmask_b32_e32 v8, v8, v20, vcc
	v_cndmask_b32_e32 v11, v3, v2, vcc
	;; [unrolled: 1-line block ×3, first 2 shown]
	v_add_u32_e32 v2, 20, v8
	v_lshlrev_b64 v[2:3], v2, -1
	v_add_u32_e32 v10, 19, v8
	v_lshrrev_b64 v[28:29], v8, v[38:39]
	v_not_b32_e32 v3, v3
	v_not_b32_e32 v2, v2
	v_lshlrev_b64 v[24:25], v10, 1
	v_lshrrev_b32_e32 v10, 23, v28
	v_and_b32_e32 v3, 0, v3
	v_and_b32_e32 v2, v38, v2
	v_add3_u32 v11, v8, v11, v10
	v_bfe_u32 v8, v28, 20, 1
	v_add_u32_e32 v8, -1, v8
	v_cmp_eq_u64_e32 vcc, v[2:3], v[24:25]
	v_cndmask_b32_e32 v2, 0, v8, vcc
	v_add_u32_e32 v2, v2, v28
	v_and_b32_e32 v2, 0xfffff, v2
	v_add_co_u32_e32 v2, vcc, v2, v28
	v_add_u32_e32 v10, 6, v11
	v_addc_co_u32_e32 v3, vcc, 0, v29, vcc
	v_cmp_ne_u32_e32 vcc, 0, v10
                                        ; implicit-def: $vgpr8
	s_and_saveexec_b64 s[24:25], vcc
	s_xor_b64 s[24:25], exec, s[24:25]
; %bb.1625:                             ;   in Loop: Header=BB6_1481 Depth=2
	v_add_u32_e32 v8, 7, v11
	v_cmp_lt_u64_e32 vcc, s[48:49], v[2:3]
	v_cndmask_b32_e32 v8, v10, v8, vcc
	v_cndmask_b32_e64 v10, 0, 1, vcc
	v_lshrrev_b64 v[2:3], v10, v[2:3]
; %bb.1626:                             ;   in Loop: Header=BB6_1481 Depth=2
	s_andn2_saveexec_b64 s[24:25], s[24:25]
; %bb.1627:                             ;   in Loop: Header=BB6_1481 Depth=2
	v_bfe_u32 v8, v2, 23, 1
; %bb.1628:                             ;   in Loop: Header=BB6_1481 Depth=2
	s_or_b64 exec, exec, s[24:25]
	v_lshrrev_b64 v[2:3], 20, v[2:3]
	v_cmp_gt_i32_e32 vcc, 16, v8
	v_cndmask_b32_e32 v3, 0, v3, vcc
	v_cndmask_b32_e32 v2, 7, v2, vcc
	v_cmp_eq_u64_e64 s[24:25], 0, v[2:3]
	v_min_i32_e32 v3, 15, v8
	v_lshlrev_b32_e32 v3, 3, v3
	v_cmp_eq_u32_e32 vcc, 0, v8
	v_and_b32_e32 v3, 0xf8, v3
	v_and_or_b32 v2, v2, 7, v3
	s_and_b64 s[24:25], vcc, s[24:25]
	v_cndmask_b32_e64 v2, v2, 0, s[24:25]
	v_or_b32_e32 v34, v2, v7
.LBB6_1629:                             ;   in Loop: Header=BB6_1481 Depth=2
	s_or_b64 exec, exec, s[64:65]
.LBB6_1630:                             ;   in Loop: Header=BB6_1481 Depth=2
	s_or_b64 exec, exec, s[62:63]
                                        ; implicit-def: $vgpr2
.LBB6_1631:                             ;   in Loop: Header=BB6_1481 Depth=2
	s_andn2_saveexec_b64 s[24:25], s[60:61]
; %bb.1632:                             ;   in Loop: Header=BB6_1481 Depth=2
	v_or_b32_sdwa v2, v2, s75 dst_sel:DWORD dst_unused:UNUSED_PAD src0_sel:BYTE_3 src1_sel:DWORD
	v_cmp_eq_u64_e32 vcc, 0, v[38:39]
	v_cndmask_b32_e32 v34, v2, v34, vcc
; %bb.1633:                             ;   in Loop: Header=BB6_1481 Depth=2
	s_or_b64 exec, exec, s[24:25]
	v_cmp_ne_u16_sdwa vcc, v12, v39 src0_sel:BYTE_0 src1_sel:DWORD
	v_mov_b32_e32 v2, 0
	s_and_saveexec_b64 s[24:25], vcc
	s_cbranch_execz .LBB6_1639
; %bb.1634:                             ;   in Loop: Header=BB6_1481 Depth=2
	v_cmp_ne_u16_sdwa vcc, v12, s76 src0_sel:BYTE_0 src1_sel:DWORD
	v_bfrev_b32_e32 v2, 1
	s_and_saveexec_b64 s[60:61], vcc
	s_cbranch_execz .LBB6_1638
; %bb.1635:                             ;   in Loop: Header=BB6_1481 Depth=2
	v_and_b32_e32 v3, 0x7f, v12
	v_cmp_ne_u32_e32 vcc, s75, v3
	v_mov_b32_e32 v2, 0x7f800001
	s_and_saveexec_b64 s[62:63], vcc
	s_cbranch_execz .LBB6_1637
; %bb.1636:                             ;   in Loop: Header=BB6_1481 Depth=2
	v_and_b32_e32 v2, 7, v12
	v_ffbh_u32_e32 v2, v2
	v_min_u32_e32 v2, 32, v2
	v_lshrrev_b32_e32 v7, 3, v3
	v_subrev_u32_e32 v8, 28, v2
	v_sub_u32_e32 v2, 29, v2
	v_cmp_gt_u32_e32 vcc, 8, v3
	v_cndmask_b32_e32 v7, v7, v2, vcc
	v_cndmask_b32_e32 v2, 0, v8, vcc
	v_lshlrev_b64 v[2:3], v2, v[12:13]
	v_lshlrev_b32_e32 v2, 20, v2
	v_lshlrev_b32_e32 v3, 24, v12
	v_and_b32_e32 v2, 0x700000, v2
	v_and_b32_e32 v3, 0x80000000, v3
	v_lshl_add_u32 v7, v7, 23, v31
	v_or3_b32 v2, v3, v7, v2
.LBB6_1637:                             ;   in Loop: Header=BB6_1481 Depth=2
	s_or_b64 exec, exec, s[62:63]
.LBB6_1638:                             ;   in Loop: Header=BB6_1481 Depth=2
	s_or_b64 exec, exec, s[60:61]
.LBB6_1639:                             ;   in Loop: Header=BB6_1481 Depth=2
	s_or_b64 exec, exec, s[24:25]
	v_mul_f32_e32 v2, v9, v2
	v_and_b32_sdwa v7, v2, s76 dst_sel:DWORD dst_unused:UNUSED_PAD src0_sel:BYTE_3 src1_sel:DWORD
	v_and_b32_e32 v10, 0x7f800000, v2
	v_mov_b32_e32 v11, v39
	v_and_b32_e32 v38, 0x7fffff, v2
	v_or_b32_e32 v15, 0x7e, v7
	v_cmp_ne_u64_e32 vcc, s[42:43], v[10:11]
	s_and_saveexec_b64 s[24:25], vcc
	s_xor_b64 s[60:61], exec, s[24:25]
	s_cbranch_execz .LBB6_1649
; %bb.1640:                             ;   in Loop: Header=BB6_1481 Depth=2
	v_and_b32_e32 v10, 0x7fffffff, v2
	v_mov_b32_e32 v11, v39
	v_cmp_gt_u64_e32 vcc, s[44:45], v[10:11]
	s_and_saveexec_b64 s[62:63], vcc
	s_cbranch_execz .LBB6_1648
; %bb.1641:                             ;   in Loop: Header=BB6_1481 Depth=2
	v_cmp_ne_u32_e32 vcc, 0, v2
	v_mov_b32_e32 v15, 0
	s_and_saveexec_b64 s[64:65], vcc
	s_cbranch_execz .LBB6_1647
; %bb.1642:                             ;   in Loop: Header=BB6_1481 Depth=2
	v_bfe_u32 v2, v2, 23, 8
	v_sub_u32_e32 v8, 0x79, v2
	v_cmp_gt_u32_e32 vcc, s77, v2
	v_cndmask_b32_e32 v8, 0, v8, vcc
	v_cmp_eq_u32_e32 vcc, 0, v2
	v_add_u32_e32 v3, 0xffffff81, v2
	v_or_b32_e32 v10, 0x800000, v38
	v_mov_b32_e32 v2, 0xffffff82
	v_cndmask_b32_e32 v8, v8, v20, vcc
	v_cndmask_b32_e32 v11, v3, v2, vcc
	;; [unrolled: 1-line block ×3, first 2 shown]
	v_add_u32_e32 v2, 20, v8
	v_lshlrev_b64 v[2:3], v2, -1
	v_add_u32_e32 v10, 19, v8
	v_lshrrev_b64 v[28:29], v8, v[38:39]
	v_not_b32_e32 v3, v3
	v_not_b32_e32 v2, v2
	v_lshlrev_b64 v[24:25], v10, 1
	v_lshrrev_b32_e32 v10, 23, v28
	v_and_b32_e32 v3, 0, v3
	v_and_b32_e32 v2, v38, v2
	v_add3_u32 v11, v8, v11, v10
	v_bfe_u32 v8, v28, 20, 1
	v_add_u32_e32 v8, -1, v8
	v_cmp_eq_u64_e32 vcc, v[2:3], v[24:25]
	v_cndmask_b32_e32 v2, 0, v8, vcc
	v_add_u32_e32 v2, v2, v28
	v_and_b32_e32 v2, 0xfffff, v2
	v_add_co_u32_e32 v2, vcc, v2, v28
	v_add_u32_e32 v10, 6, v11
	v_addc_co_u32_e32 v3, vcc, 0, v29, vcc
	v_cmp_ne_u32_e32 vcc, 0, v10
                                        ; implicit-def: $vgpr8
	s_and_saveexec_b64 s[24:25], vcc
	s_xor_b64 s[24:25], exec, s[24:25]
; %bb.1643:                             ;   in Loop: Header=BB6_1481 Depth=2
	v_add_u32_e32 v8, 7, v11
	v_cmp_lt_u64_e32 vcc, s[48:49], v[2:3]
	v_cndmask_b32_e32 v8, v10, v8, vcc
	v_cndmask_b32_e64 v10, 0, 1, vcc
	v_lshrrev_b64 v[2:3], v10, v[2:3]
; %bb.1644:                             ;   in Loop: Header=BB6_1481 Depth=2
	s_andn2_saveexec_b64 s[24:25], s[24:25]
; %bb.1645:                             ;   in Loop: Header=BB6_1481 Depth=2
	v_bfe_u32 v8, v2, 23, 1
; %bb.1646:                             ;   in Loop: Header=BB6_1481 Depth=2
	s_or_b64 exec, exec, s[24:25]
	v_lshrrev_b64 v[2:3], 20, v[2:3]
	v_cmp_gt_i32_e32 vcc, 16, v8
	v_cndmask_b32_e32 v3, 0, v3, vcc
	v_cndmask_b32_e32 v2, 7, v2, vcc
	v_cmp_eq_u64_e64 s[24:25], 0, v[2:3]
	v_min_i32_e32 v3, 15, v8
	v_cmp_eq_u32_e32 vcc, 0, v8
	v_lshlrev_b32_e32 v3, 3, v3
	v_and_or_b32 v2, v2, 7, v3
	s_and_b64 s[24:25], vcc, s[24:25]
	v_cndmask_b32_e64 v2, v2, 0, s[24:25]
	v_or_b32_e32 v15, v2, v7
.LBB6_1647:                             ;   in Loop: Header=BB6_1481 Depth=2
	s_or_b64 exec, exec, s[64:65]
.LBB6_1648:                             ;   in Loop: Header=BB6_1481 Depth=2
	s_or_b64 exec, exec, s[62:63]
                                        ; implicit-def: $vgpr2
.LBB6_1649:                             ;   in Loop: Header=BB6_1481 Depth=2
	s_andn2_saveexec_b64 s[24:25], s[60:61]
; %bb.1650:                             ;   in Loop: Header=BB6_1481 Depth=2
	v_or_b32_sdwa v2, v2, s75 dst_sel:DWORD dst_unused:UNUSED_PAD src0_sel:BYTE_3 src1_sel:DWORD
	v_cmp_eq_u64_e32 vcc, 0, v[38:39]
	v_cndmask_b32_e32 v15, v2, v15, vcc
; %bb.1651:                             ;   in Loop: Header=BB6_1481 Depth=2
	s_or_b64 exec, exec, s[24:25]
	v_lshrrev_b16_e32 v2, 8, v12
	v_cmp_ne_u16_e32 vcc, 0, v2
	v_mov_b32_e32 v3, 0
	s_and_saveexec_b64 s[24:25], vcc
	s_cbranch_execz .LBB6_1657
; %bb.1652:                             ;   in Loop: Header=BB6_1481 Depth=2
	v_cmp_ne_u16_e32 vcc, s76, v2
	v_bfrev_b32_e32 v3, 1
	s_and_saveexec_b64 s[60:61], vcc
	s_cbranch_execz .LBB6_1656
; %bb.1653:                             ;   in Loop: Header=BB6_1481 Depth=2
	v_and_b32_e32 v7, 0x7f, v2
	v_cmp_ne_u32_e32 vcc, s75, v7
	v_mov_b32_e32 v3, 0x7f800001
	s_and_saveexec_b64 s[62:63], vcc
	s_cbranch_execz .LBB6_1655
; %bb.1654:                             ;   in Loop: Header=BB6_1481 Depth=2
	v_and_b32_e32 v8, 7, v2
	v_ffbh_u32_e32 v3, v8
	v_min_u32_e32 v11, 32, v3
	v_subrev_u32_e32 v3, 28, v11
	v_lshlrev_b64 v[2:3], v3, v[2:3]
	v_lshrrev_b32_e32 v10, 3, v7
	v_sub_u32_e32 v3, 29, v11
	v_and_b32_e32 v2, 7, v2
	v_cmp_gt_u32_e32 vcc, 8, v7
	v_cndmask_b32_e32 v3, v10, v3, vcc
	v_cndmask_b32_e32 v2, v8, v2, vcc
	v_lshlrev_b32_e32 v7, 16, v12
	v_lshlrev_b32_e32 v2, 20, v2
	v_and_b32_e32 v7, 0x80000000, v7
	v_lshl_add_u32 v3, v3, 23, v31
	v_or3_b32 v3, v7, v3, v2
.LBB6_1655:                             ;   in Loop: Header=BB6_1481 Depth=2
	s_or_b64 exec, exec, s[62:63]
.LBB6_1656:                             ;   in Loop: Header=BB6_1481 Depth=2
	s_or_b64 exec, exec, s[60:61]
.LBB6_1657:                             ;   in Loop: Header=BB6_1481 Depth=2
	s_or_b64 exec, exec, s[24:25]
	v_mul_f32_e32 v2, v9, v3
	v_and_b32_sdwa v7, v2, s76 dst_sel:DWORD dst_unused:UNUSED_PAD src0_sel:BYTE_3 src1_sel:DWORD
	v_and_b32_e32 v10, 0x7f800000, v2
	v_mov_b32_e32 v11, v39
	v_and_b32_e32 v38, 0x7fffff, v2
	v_or_b32_e32 v26, 0x7e, v7
	v_cmp_ne_u64_e32 vcc, s[42:43], v[10:11]
	s_and_saveexec_b64 s[24:25], vcc
	s_xor_b64 s[60:61], exec, s[24:25]
	s_cbranch_execz .LBB6_1667
; %bb.1658:                             ;   in Loop: Header=BB6_1481 Depth=2
	v_and_b32_e32 v10, 0x7fffffff, v2
	v_mov_b32_e32 v11, v39
	v_cmp_gt_u64_e32 vcc, s[44:45], v[10:11]
	s_and_saveexec_b64 s[62:63], vcc
	s_cbranch_execz .LBB6_1666
; %bb.1659:                             ;   in Loop: Header=BB6_1481 Depth=2
	v_cmp_ne_u32_e32 vcc, 0, v2
	v_mov_b32_e32 v26, 0
	s_and_saveexec_b64 s[64:65], vcc
	s_cbranch_execz .LBB6_1665
; %bb.1660:                             ;   in Loop: Header=BB6_1481 Depth=2
	v_bfe_u32 v2, v2, 23, 8
	v_sub_u32_e32 v8, 0x79, v2
	v_cmp_gt_u32_e32 vcc, s77, v2
	v_cndmask_b32_e32 v8, 0, v8, vcc
	v_cmp_eq_u32_e32 vcc, 0, v2
	v_add_u32_e32 v3, 0xffffff81, v2
	v_or_b32_e32 v10, 0x800000, v38
	v_mov_b32_e32 v2, 0xffffff82
	v_cndmask_b32_e32 v8, v8, v20, vcc
	v_cndmask_b32_e32 v11, v3, v2, vcc
	;; [unrolled: 1-line block ×3, first 2 shown]
	v_add_u32_e32 v2, 20, v8
	v_lshlrev_b64 v[2:3], v2, -1
	v_add_u32_e32 v10, 19, v8
	v_lshrrev_b64 v[28:29], v8, v[38:39]
	v_not_b32_e32 v3, v3
	v_not_b32_e32 v2, v2
	v_lshlrev_b64 v[24:25], v10, 1
	v_lshrrev_b32_e32 v10, 23, v28
	v_and_b32_e32 v3, 0, v3
	v_and_b32_e32 v2, v38, v2
	v_add3_u32 v11, v8, v11, v10
	v_bfe_u32 v8, v28, 20, 1
	v_add_u32_e32 v8, -1, v8
	v_cmp_eq_u64_e32 vcc, v[2:3], v[24:25]
	v_cndmask_b32_e32 v2, 0, v8, vcc
	v_add_u32_e32 v2, v2, v28
	v_and_b32_e32 v2, 0xfffff, v2
	v_add_co_u32_e32 v2, vcc, v2, v28
	v_add_u32_e32 v10, 6, v11
	v_addc_co_u32_e32 v3, vcc, 0, v29, vcc
	v_cmp_ne_u32_e32 vcc, 0, v10
                                        ; implicit-def: $vgpr8
	s_and_saveexec_b64 s[24:25], vcc
	s_xor_b64 s[24:25], exec, s[24:25]
; %bb.1661:                             ;   in Loop: Header=BB6_1481 Depth=2
	v_add_u32_e32 v8, 7, v11
	v_cmp_lt_u64_e32 vcc, s[48:49], v[2:3]
	v_cndmask_b32_e32 v8, v10, v8, vcc
	v_cndmask_b32_e64 v10, 0, 1, vcc
	v_lshrrev_b64 v[2:3], v10, v[2:3]
; %bb.1662:                             ;   in Loop: Header=BB6_1481 Depth=2
	s_andn2_saveexec_b64 s[24:25], s[24:25]
; %bb.1663:                             ;   in Loop: Header=BB6_1481 Depth=2
	v_bfe_u32 v8, v2, 23, 1
; %bb.1664:                             ;   in Loop: Header=BB6_1481 Depth=2
	s_or_b64 exec, exec, s[24:25]
	v_lshrrev_b64 v[2:3], 20, v[2:3]
	v_cmp_gt_i32_e32 vcc, 16, v8
	v_cndmask_b32_e32 v3, 0, v3, vcc
	v_cndmask_b32_e32 v2, 7, v2, vcc
	v_cmp_eq_u64_e64 s[24:25], 0, v[2:3]
	v_min_i32_e32 v3, 15, v8
	v_cmp_eq_u32_e32 vcc, 0, v8
	v_lshlrev_b32_e32 v3, 3, v3
	v_and_or_b32 v2, v2, 7, v3
	s_and_b64 s[24:25], vcc, s[24:25]
	v_cndmask_b32_e64 v2, v2, 0, s[24:25]
	v_or_b32_e32 v26, v2, v7
.LBB6_1665:                             ;   in Loop: Header=BB6_1481 Depth=2
	s_or_b64 exec, exec, s[64:65]
.LBB6_1666:                             ;   in Loop: Header=BB6_1481 Depth=2
	s_or_b64 exec, exec, s[62:63]
                                        ; implicit-def: $vgpr2
.LBB6_1667:                             ;   in Loop: Header=BB6_1481 Depth=2
	s_andn2_saveexec_b64 s[24:25], s[60:61]
; %bb.1668:                             ;   in Loop: Header=BB6_1481 Depth=2
	v_or_b32_sdwa v2, v2, s75 dst_sel:DWORD dst_unused:UNUSED_PAD src0_sel:BYTE_3 src1_sel:DWORD
	v_cmp_eq_u64_e32 vcc, 0, v[38:39]
	v_cndmask_b32_e32 v26, v2, v26, vcc
; %bb.1669:                             ;   in Loop: Header=BB6_1481 Depth=2
	s_or_b64 exec, exec, s[24:25]
	v_lshrrev_b32_e32 v2, 16, v12
	v_cmp_ne_u16_sdwa vcc, v2, v39 src0_sel:BYTE_0 src1_sel:DWORD
	v_mov_b32_e32 v3, 0
	s_and_saveexec_b64 s[24:25], vcc
	s_cbranch_execz .LBB6_1675
; %bb.1670:                             ;   in Loop: Header=BB6_1481 Depth=2
	v_cmp_ne_u16_sdwa vcc, v2, s76 src0_sel:BYTE_0 src1_sel:DWORD
	v_bfrev_b32_e32 v3, 1
	s_and_saveexec_b64 s[60:61], vcc
	s_cbranch_execz .LBB6_1674
; %bb.1671:                             ;   in Loop: Header=BB6_1481 Depth=2
	v_bfe_u32 v7, v12, 16, 7
	v_cmp_ne_u32_e32 vcc, s75, v7
	v_mov_b32_e32 v3, 0x7f800001
	s_and_saveexec_b64 s[62:63], vcc
	s_cbranch_execz .LBB6_1673
; %bb.1672:                             ;   in Loop: Header=BB6_1481 Depth=2
	v_and_b32_e32 v3, 7, v2
	v_ffbh_u32_e32 v10, v3
	v_min_u32_e32 v19, 32, v10
	v_subrev_u32_e32 v10, 28, v19
	v_lshlrev_b64 v[10:11], v10, v[2:3]
	v_lshrrev_b32_e32 v8, 3, v7
	v_sub_u32_e32 v11, 29, v19
	v_and_b32_e32 v10, 7, v10
	v_cmp_gt_u32_e32 vcc, 8, v7
	v_cndmask_b32_e32 v7, v8, v11, vcc
	v_cndmask_b32_e32 v3, v3, v10, vcc
	v_lshlrev_b32_e32 v2, 24, v2
	v_lshlrev_b32_e32 v3, 20, v3
	v_and_b32_e32 v2, 0x80000000, v2
	v_lshl_add_u32 v7, v7, 23, v31
	v_or3_b32 v3, v2, v7, v3
.LBB6_1673:                             ;   in Loop: Header=BB6_1481 Depth=2
	s_or_b64 exec, exec, s[62:63]
.LBB6_1674:                             ;   in Loop: Header=BB6_1481 Depth=2
	s_or_b64 exec, exec, s[60:61]
.LBB6_1675:                             ;   in Loop: Header=BB6_1481 Depth=2
	s_or_b64 exec, exec, s[24:25]
	v_mul_f32_e32 v3, v9, v3
	v_and_b32_sdwa v7, v3, s76 dst_sel:DWORD dst_unused:UNUSED_PAD src0_sel:BYTE_3 src1_sel:DWORD
	v_and_b32_e32 v10, 0x7f800000, v3
	v_mov_b32_e32 v11, v39
	v_and_b32_e32 v38, 0x7fffff, v3
	v_or_b32_e32 v2, 0x7e, v7
	v_cmp_ne_u64_e32 vcc, s[42:43], v[10:11]
	s_and_saveexec_b64 s[24:25], vcc
	s_xor_b64 s[60:61], exec, s[24:25]
	s_cbranch_execz .LBB6_1685
; %bb.1676:                             ;   in Loop: Header=BB6_1481 Depth=2
	v_and_b32_e32 v10, 0x7fffffff, v3
	v_mov_b32_e32 v11, v39
	v_cmp_gt_u64_e32 vcc, s[44:45], v[10:11]
	s_and_saveexec_b64 s[62:63], vcc
	s_cbranch_execz .LBB6_1684
; %bb.1677:                             ;   in Loop: Header=BB6_1481 Depth=2
	v_cmp_ne_u32_e32 vcc, 0, v3
	v_mov_b32_e32 v2, 0
	s_and_saveexec_b64 s[64:65], vcc
	s_cbranch_execz .LBB6_1683
; %bb.1678:                             ;   in Loop: Header=BB6_1481 Depth=2
	v_bfe_u32 v2, v3, 23, 8
	v_sub_u32_e32 v8, 0x79, v2
	v_cmp_gt_u32_e32 vcc, s77, v2
	v_cndmask_b32_e32 v8, 0, v8, vcc
	v_cmp_eq_u32_e32 vcc, 0, v2
	v_add_u32_e32 v3, 0xffffff81, v2
	v_or_b32_e32 v10, 0x800000, v38
	v_mov_b32_e32 v2, 0xffffff82
	v_cndmask_b32_e32 v8, v8, v20, vcc
	v_cndmask_b32_e32 v11, v3, v2, vcc
	;; [unrolled: 1-line block ×3, first 2 shown]
	v_add_u32_e32 v2, 20, v8
	v_lshlrev_b64 v[2:3], v2, -1
	v_add_u32_e32 v10, 19, v8
	v_lshrrev_b64 v[28:29], v8, v[38:39]
	v_not_b32_e32 v3, v3
	v_not_b32_e32 v2, v2
	v_lshlrev_b64 v[24:25], v10, 1
	v_lshrrev_b32_e32 v10, 23, v28
	v_and_b32_e32 v3, 0, v3
	v_and_b32_e32 v2, v38, v2
	v_add3_u32 v11, v8, v11, v10
	v_bfe_u32 v8, v28, 20, 1
	v_add_u32_e32 v8, -1, v8
	v_cmp_eq_u64_e32 vcc, v[2:3], v[24:25]
	v_cndmask_b32_e32 v2, 0, v8, vcc
	v_add_u32_e32 v2, v2, v28
	v_and_b32_e32 v2, 0xfffff, v2
	v_add_co_u32_e32 v2, vcc, v2, v28
	v_add_u32_e32 v10, 6, v11
	v_addc_co_u32_e32 v3, vcc, 0, v29, vcc
	v_cmp_ne_u32_e32 vcc, 0, v10
                                        ; implicit-def: $vgpr8
	s_and_saveexec_b64 s[24:25], vcc
	s_xor_b64 s[24:25], exec, s[24:25]
; %bb.1679:                             ;   in Loop: Header=BB6_1481 Depth=2
	v_add_u32_e32 v8, 7, v11
	v_cmp_lt_u64_e32 vcc, s[48:49], v[2:3]
	v_cndmask_b32_e32 v8, v10, v8, vcc
	v_cndmask_b32_e64 v10, 0, 1, vcc
	v_lshrrev_b64 v[2:3], v10, v[2:3]
; %bb.1680:                             ;   in Loop: Header=BB6_1481 Depth=2
	s_andn2_saveexec_b64 s[24:25], s[24:25]
; %bb.1681:                             ;   in Loop: Header=BB6_1481 Depth=2
	v_bfe_u32 v8, v2, 23, 1
; %bb.1682:                             ;   in Loop: Header=BB6_1481 Depth=2
	s_or_b64 exec, exec, s[24:25]
	v_lshrrev_b64 v[2:3], 20, v[2:3]
	v_cmp_gt_i32_e32 vcc, 16, v8
	v_cndmask_b32_e32 v3, 0, v3, vcc
	v_cndmask_b32_e32 v2, 7, v2, vcc
	v_cmp_eq_u64_e64 s[24:25], 0, v[2:3]
	v_min_i32_e32 v3, 15, v8
	v_cmp_eq_u32_e32 vcc, 0, v8
	v_lshlrev_b32_e32 v3, 3, v3
	v_and_or_b32 v2, v2, 7, v3
	s_and_b64 s[24:25], vcc, s[24:25]
	v_cndmask_b32_e64 v2, v2, 0, s[24:25]
	v_or_b32_e32 v2, v2, v7
.LBB6_1683:                             ;   in Loop: Header=BB6_1481 Depth=2
	s_or_b64 exec, exec, s[64:65]
.LBB6_1684:                             ;   in Loop: Header=BB6_1481 Depth=2
	s_or_b64 exec, exec, s[62:63]
                                        ; implicit-def: $vgpr3
.LBB6_1685:                             ;   in Loop: Header=BB6_1481 Depth=2
	s_andn2_saveexec_b64 s[24:25], s[60:61]
; %bb.1686:                             ;   in Loop: Header=BB6_1481 Depth=2
	v_or_b32_sdwa v3, v3, s75 dst_sel:DWORD dst_unused:UNUSED_PAD src0_sel:BYTE_3 src1_sel:DWORD
	v_cmp_eq_u64_e32 vcc, 0, v[38:39]
	v_cndmask_b32_e32 v2, v3, v2, vcc
; %bb.1687:                             ;   in Loop: Header=BB6_1481 Depth=2
	s_or_b64 exec, exec, s[24:25]
	v_cmp_lt_u32_e32 vcc, s47, v12
	v_mov_b32_e32 v3, 0
	s_and_saveexec_b64 s[24:25], vcc
	s_cbranch_execz .LBB6_1693
; %bb.1688:                             ;   in Loop: Header=BB6_1481 Depth=2
	v_lshrrev_b32_e32 v10, 24, v12
	v_cmp_ne_u32_e32 vcc, s76, v10
	v_bfrev_b32_e32 v3, 1
	s_and_saveexec_b64 s[60:61], vcc
	s_cbranch_execz .LBB6_1692
; %bb.1689:                             ;   in Loop: Header=BB6_1481 Depth=2
	v_bfe_u32 v7, v12, 24, 7
	v_cmp_ne_u32_e32 vcc, s75, v7
	v_mov_b32_e32 v3, 0x7f800001
	s_and_saveexec_b64 s[62:63], vcc
	s_cbranch_execz .LBB6_1691
; %bb.1690:                             ;   in Loop: Header=BB6_1481 Depth=2
	v_and_b32_e32 v3, 7, v10
	v_ffbh_u32_e32 v11, v3
	v_min_u32_e32 v11, 32, v11
	v_subrev_u32_e32 v19, 28, v11
	v_lshlrev_b64 v[24:25], v19, v[10:11]
	v_lshrrev_b32_e32 v8, 3, v7
	v_sub_u32_e32 v11, 29, v11
	v_and_b32_e32 v19, 7, v24
	v_cmp_gt_u32_e32 vcc, 8, v7
	v_cndmask_b32_e32 v7, v8, v11, vcc
	v_cndmask_b32_e32 v3, v3, v19, vcc
	v_lshlrev_b32_e32 v8, 24, v10
	v_lshlrev_b32_e32 v3, 20, v3
	v_and_b32_e32 v8, 0x80000000, v8
	v_lshl_add_u32 v7, v7, 23, v31
	v_or3_b32 v3, v8, v7, v3
.LBB6_1691:                             ;   in Loop: Header=BB6_1481 Depth=2
	s_or_b64 exec, exec, s[62:63]
.LBB6_1692:                             ;   in Loop: Header=BB6_1481 Depth=2
	s_or_b64 exec, exec, s[60:61]
.LBB6_1693:                             ;   in Loop: Header=BB6_1481 Depth=2
	s_or_b64 exec, exec, s[24:25]
	v_mul_f32_e32 v7, v9, v3
	v_and_b32_sdwa v3, v7, s76 dst_sel:DWORD dst_unused:UNUSED_PAD src0_sel:BYTE_3 src1_sel:DWORD
	v_and_b32_e32 v10, 0x7f800000, v7
	v_mov_b32_e32 v11, v39
	v_and_b32_e32 v38, 0x7fffff, v7
	v_or_b32_e32 v8, 0x7e, v3
	v_cmp_ne_u64_e32 vcc, s[42:43], v[10:11]
	s_and_saveexec_b64 s[24:25], vcc
	s_xor_b64 s[60:61], exec, s[24:25]
	s_cbranch_execz .LBB6_1703
; %bb.1694:                             ;   in Loop: Header=BB6_1481 Depth=2
	v_and_b32_e32 v10, 0x7fffffff, v7
	v_mov_b32_e32 v11, v39
	v_cmp_gt_u64_e32 vcc, s[44:45], v[10:11]
	s_and_saveexec_b64 s[62:63], vcc
	s_cbranch_execz .LBB6_1702
; %bb.1695:                             ;   in Loop: Header=BB6_1481 Depth=2
	v_cmp_ne_u32_e32 vcc, 0, v7
	v_mov_b32_e32 v8, 0
	s_and_saveexec_b64 s[64:65], vcc
	s_cbranch_execz .LBB6_1701
; %bb.1696:                             ;   in Loop: Header=BB6_1481 Depth=2
	v_bfe_u32 v7, v7, 23, 8
	v_sub_u32_e32 v10, 0x79, v7
	v_cmp_gt_u32_e32 vcc, s77, v7
	v_add_u32_e32 v8, 0xffffff81, v7
	v_cndmask_b32_e32 v10, 0, v10, vcc
	v_cmp_eq_u32_e32 vcc, 0, v7
	v_mov_b32_e32 v7, 0xffffff82
	v_or_b32_e32 v11, 0x800000, v38
	v_cndmask_b32_e32 v7, v8, v7, vcc
	v_cndmask_b32_e32 v8, v10, v20, vcc
	;; [unrolled: 1-line block ×3, first 2 shown]
	v_add_u32_e32 v10, 20, v8
	v_lshlrev_b64 v[10:11], v10, -1
	v_add_u32_e32 v19, 19, v8
	v_lshrrev_b64 v[28:29], v8, v[38:39]
	v_not_b32_e32 v11, v11
	v_not_b32_e32 v10, v10
	v_lshlrev_b64 v[24:25], v19, 1
	v_lshrrev_b32_e32 v19, 23, v28
	v_and_b32_e32 v11, 0, v11
	v_and_b32_e32 v10, v38, v10
	v_add3_u32 v19, v8, v7, v19
	v_bfe_u32 v7, v28, 20, 1
	v_add_u32_e32 v7, -1, v7
	v_cmp_eq_u64_e32 vcc, v[10:11], v[24:25]
	v_cndmask_b32_e32 v7, 0, v7, vcc
	v_add_u32_e32 v7, v7, v28
	v_and_b32_e32 v7, 0xfffff, v7
	v_add_co_u32_e32 v10, vcc, v7, v28
	v_add_u32_e32 v8, 6, v19
	v_addc_co_u32_e32 v11, vcc, 0, v29, vcc
	v_cmp_ne_u32_e32 vcc, 0, v8
                                        ; implicit-def: $vgpr7
	s_and_saveexec_b64 s[24:25], vcc
	s_xor_b64 s[24:25], exec, s[24:25]
; %bb.1697:                             ;   in Loop: Header=BB6_1481 Depth=2
	v_add_u32_e32 v7, 7, v19
	v_cmp_lt_u64_e32 vcc, s[48:49], v[10:11]
	v_cndmask_b32_e32 v7, v8, v7, vcc
	v_cndmask_b32_e64 v8, 0, 1, vcc
	v_lshrrev_b64 v[10:11], v8, v[10:11]
; %bb.1698:                             ;   in Loop: Header=BB6_1481 Depth=2
	s_andn2_saveexec_b64 s[24:25], s[24:25]
; %bb.1699:                             ;   in Loop: Header=BB6_1481 Depth=2
	v_bfe_u32 v7, v10, 23, 1
; %bb.1700:                             ;   in Loop: Header=BB6_1481 Depth=2
	s_or_b64 exec, exec, s[24:25]
	v_lshrrev_b64 v[10:11], 20, v[10:11]
	v_cmp_gt_i32_e32 vcc, 16, v7
	v_cndmask_b32_e32 v11, 0, v11, vcc
	v_cndmask_b32_e32 v10, 7, v10, vcc
	v_cmp_eq_u32_e32 vcc, 0, v7
	v_min_i32_e32 v7, 15, v7
	v_cmp_eq_u64_e64 s[24:25], 0, v[10:11]
	v_lshlrev_b32_e32 v7, 3, v7
	v_and_or_b32 v7, v10, 7, v7
	s_and_b64 s[24:25], vcc, s[24:25]
	v_cndmask_b32_e64 v7, v7, 0, s[24:25]
	v_or_b32_e32 v8, v7, v3
.LBB6_1701:                             ;   in Loop: Header=BB6_1481 Depth=2
	s_or_b64 exec, exec, s[64:65]
.LBB6_1702:                             ;   in Loop: Header=BB6_1481 Depth=2
	s_or_b64 exec, exec, s[62:63]
                                        ; implicit-def: $vgpr7
.LBB6_1703:                             ;   in Loop: Header=BB6_1481 Depth=2
	s_andn2_saveexec_b64 s[24:25], s[60:61]
; %bb.1704:                             ;   in Loop: Header=BB6_1481 Depth=2
	v_or_b32_sdwa v3, v7, s75 dst_sel:DWORD dst_unused:UNUSED_PAD src0_sel:BYTE_3 src1_sel:DWORD
	v_cmp_eq_u64_e32 vcc, 0, v[38:39]
	v_cndmask_b32_e32 v8, v3, v8, vcc
; %bb.1705:                             ;   in Loop: Header=BB6_1481 Depth=2
	s_or_b64 exec, exec, s[24:25]
	v_mov_b32_e32 v38, v13
	v_cmp_ne_u16_sdwa vcc, v13, v39 src0_sel:BYTE_0 src1_sel:DWORD
	v_mov_b32_e32 v3, 0
	s_and_saveexec_b64 s[24:25], vcc
	s_cbranch_execz .LBB6_1711
; %bb.1706:                             ;   in Loop: Header=BB6_1481 Depth=2
	v_cmp_ne_u16_sdwa vcc, v13, s76 src0_sel:BYTE_0 src1_sel:DWORD
	v_bfrev_b32_e32 v3, 1
	s_and_saveexec_b64 s[60:61], vcc
	s_cbranch_execz .LBB6_1710
; %bb.1707:                             ;   in Loop: Header=BB6_1481 Depth=2
	v_and_b32_e32 v7, 0x7f, v13
	v_cmp_ne_u32_e32 vcc, s75, v7
	v_mov_b32_e32 v3, 0x7f800001
	s_and_saveexec_b64 s[62:63], vcc
	s_cbranch_execz .LBB6_1709
; %bb.1708:                             ;   in Loop: Header=BB6_1481 Depth=2
	v_and_b32_e32 v3, 7, v13
	v_ffbh_u32_e32 v3, v3
	v_min_u32_e32 v3, 32, v3
	v_subrev_u32_e32 v11, 28, v3
	v_cmp_gt_u32_e32 vcc, 8, v7
	v_lshrrev_b32_e32 v10, 3, v7
	v_sub_u32_e32 v3, 29, v3
	v_cndmask_b32_e32 v7, 0, v11, vcc
	v_cndmask_b32_e32 v3, v10, v3, vcc
	v_lshlrev_b64 v[10:11], v7, v[38:39]
	v_lshlrev_b32_e32 v7, 20, v10
	v_lshlrev_b32_e32 v10, 24, v38
	v_and_b32_e32 v7, 0x700000, v7
	v_and_b32_e32 v10, 0x80000000, v10
	v_lshl_add_u32 v3, v3, 23, v31
	v_or3_b32 v3, v10, v3, v7
.LBB6_1709:                             ;   in Loop: Header=BB6_1481 Depth=2
	s_or_b64 exec, exec, s[62:63]
.LBB6_1710:                             ;   in Loop: Header=BB6_1481 Depth=2
	s_or_b64 exec, exec, s[60:61]
.LBB6_1711:                             ;   in Loop: Header=BB6_1481 Depth=2
	s_or_b64 exec, exec, s[24:25]
	v_mul_f32_e32 v19, v9, v3
	v_and_b32_sdwa v3, v19, s76 dst_sel:DWORD dst_unused:UNUSED_PAD src0_sel:BYTE_3 src1_sel:DWORD
	v_and_b32_e32 v24, 0x7f800000, v19
	v_mov_b32_e32 v25, v39
	v_and_b32_e32 v10, 0x7fffff, v19
	v_mov_b32_e32 v11, v39
	v_or_b32_e32 v7, 0x7e, v3
	v_cmp_ne_u64_e32 vcc, s[42:43], v[24:25]
	s_and_saveexec_b64 s[24:25], vcc
	s_xor_b64 s[60:61], exec, s[24:25]
	s_cbranch_execz .LBB6_1721
; %bb.1712:                             ;   in Loop: Header=BB6_1481 Depth=2
	v_and_b32_e32 v24, 0x7fffffff, v19
	v_mov_b32_e32 v25, v39
	v_cmp_gt_u64_e32 vcc, s[44:45], v[24:25]
	s_and_saveexec_b64 s[62:63], vcc
	s_cbranch_execz .LBB6_1720
; %bb.1713:                             ;   in Loop: Header=BB6_1481 Depth=2
	v_cmp_ne_u32_e32 vcc, 0, v19
	v_mov_b32_e32 v7, 0
	s_and_saveexec_b64 s[64:65], vcc
	s_cbranch_execz .LBB6_1719
; %bb.1714:                             ;   in Loop: Header=BB6_1481 Depth=2
	v_bfe_u32 v7, v19, 23, 8
	v_sub_u32_e32 v23, 0x79, v7
	v_cmp_gt_u32_e32 vcc, s77, v7
	v_add_u32_e32 v19, 0xffffff81, v7
	v_cndmask_b32_e32 v23, 0, v23, vcc
	v_cmp_eq_u32_e32 vcc, 0, v7
	v_mov_b32_e32 v7, 0xffffff82
	v_cndmask_b32_e32 v7, v19, v7, vcc
	v_cndmask_b32_e32 v19, v23, v20, vcc
	v_or_b32_e32 v24, 0x800000, v10
	v_add_u32_e32 v23, 20, v19
	v_cndmask_b32_e32 v10, v24, v10, vcc
	v_lshlrev_b64 v[24:25], v23, -1
	v_not_b32_e32 v23, v25
	v_not_b32_e32 v24, v24
	v_and_b32_e32 v25, 0, v23
	v_and_b32_e32 v24, v10, v24
	v_add_u32_e32 v23, 19, v19
	v_lshrrev_b64 v[10:11], v19, v[10:11]
	v_lshlrev_b64 v[28:29], v23, 1
	v_lshrrev_b32_e32 v23, 23, v10
	v_add3_u32 v23, v19, v7, v23
	v_bfe_u32 v7, v10, 20, 1
	v_add_u32_e32 v7, -1, v7
	v_cmp_eq_u64_e32 vcc, v[24:25], v[28:29]
	v_cndmask_b32_e32 v7, 0, v7, vcc
	v_add_u32_e32 v7, v7, v10
	v_and_b32_e32 v7, 0xfffff, v7
	v_add_co_u32_e32 v10, vcc, v7, v10
	v_add_u32_e32 v19, 6, v23
	v_addc_co_u32_e32 v11, vcc, 0, v11, vcc
	v_cmp_ne_u32_e32 vcc, 0, v19
                                        ; implicit-def: $vgpr7
	s_and_saveexec_b64 s[24:25], vcc
	s_xor_b64 s[24:25], exec, s[24:25]
; %bb.1715:                             ;   in Loop: Header=BB6_1481 Depth=2
	v_add_u32_e32 v7, 7, v23
	v_cmp_lt_u64_e32 vcc, s[48:49], v[10:11]
	v_cndmask_b32_e32 v7, v19, v7, vcc
	v_cndmask_b32_e64 v19, 0, 1, vcc
	v_lshrrev_b64 v[10:11], v19, v[10:11]
; %bb.1716:                             ;   in Loop: Header=BB6_1481 Depth=2
	s_andn2_saveexec_b64 s[24:25], s[24:25]
; %bb.1717:                             ;   in Loop: Header=BB6_1481 Depth=2
	v_bfe_u32 v7, v10, 23, 1
; %bb.1718:                             ;   in Loop: Header=BB6_1481 Depth=2
	s_or_b64 exec, exec, s[24:25]
	v_lshrrev_b64 v[10:11], 20, v[10:11]
	v_cmp_gt_i32_e32 vcc, 16, v7
	v_cndmask_b32_e32 v11, 0, v11, vcc
	v_cndmask_b32_e32 v10, 7, v10, vcc
	v_cmp_eq_u32_e32 vcc, 0, v7
	v_min_i32_e32 v7, 15, v7
	v_cmp_eq_u64_e64 s[24:25], 0, v[10:11]
	v_lshlrev_b32_e32 v7, 3, v7
	v_and_or_b32 v7, v10, 7, v7
	s_and_b64 s[24:25], vcc, s[24:25]
	v_cndmask_b32_e64 v7, v7, 0, s[24:25]
	v_or_b32_e32 v7, v7, v3
.LBB6_1719:                             ;   in Loop: Header=BB6_1481 Depth=2
	s_or_b64 exec, exec, s[64:65]
.LBB6_1720:                             ;   in Loop: Header=BB6_1481 Depth=2
	s_or_b64 exec, exec, s[62:63]
                                        ; implicit-def: $vgpr19
                                        ; implicit-def: $vgpr10_vgpr11
.LBB6_1721:                             ;   in Loop: Header=BB6_1481 Depth=2
	s_andn2_saveexec_b64 s[24:25], s[60:61]
; %bb.1722:                             ;   in Loop: Header=BB6_1481 Depth=2
	v_or_b32_sdwa v3, v19, s75 dst_sel:DWORD dst_unused:UNUSED_PAD src0_sel:BYTE_3 src1_sel:DWORD
	v_cmp_eq_u64_e32 vcc, 0, v[10:11]
	v_cndmask_b32_e32 v7, v3, v7, vcc
; %bb.1723:                             ;   in Loop: Header=BB6_1481 Depth=2
	s_or_b64 exec, exec, s[24:25]
	v_lshrrev_b16_e32 v10, 8, v38
	v_cmp_ne_u16_e32 vcc, 0, v10
	v_mov_b32_e32 v3, 0
	s_and_saveexec_b64 s[24:25], vcc
	s_cbranch_execz .LBB6_1729
; %bb.1724:                             ;   in Loop: Header=BB6_1481 Depth=2
	v_cmp_ne_u16_e32 vcc, s76, v10
	v_bfrev_b32_e32 v3, 1
	s_and_saveexec_b64 s[60:61], vcc
	s_cbranch_execz .LBB6_1728
; %bb.1725:                             ;   in Loop: Header=BB6_1481 Depth=2
	v_and_b32_e32 v11, 0x7f, v10
	v_cmp_ne_u32_e32 vcc, s75, v11
	v_mov_b32_e32 v3, 0x7f800001
	s_and_saveexec_b64 s[62:63], vcc
	s_cbranch_execz .LBB6_1727
; %bb.1726:                             ;   in Loop: Header=BB6_1481 Depth=2
	v_and_b32_e32 v3, 7, v10
	v_ffbh_u32_e32 v23, v3
	v_min_u32_e32 v23, 32, v23
	v_subrev_u32_e32 v24, 28, v23
	v_lshlrev_b64 v[24:25], v24, v[10:11]
	v_lshrrev_b32_e32 v19, 3, v11
	v_sub_u32_e32 v10, 29, v23
	v_and_b32_e32 v23, 7, v24
	v_cmp_gt_u32_e32 vcc, 8, v11
	v_cndmask_b32_e32 v10, v19, v10, vcc
	v_cndmask_b32_e32 v3, v3, v23, vcc
	v_lshlrev_b32_e32 v11, 16, v38
	v_lshlrev_b32_e32 v3, 20, v3
	v_and_b32_e32 v11, 0x80000000, v11
	v_lshl_add_u32 v10, v10, 23, v31
	v_or3_b32 v3, v11, v10, v3
.LBB6_1727:                             ;   in Loop: Header=BB6_1481 Depth=2
	s_or_b64 exec, exec, s[62:63]
.LBB6_1728:                             ;   in Loop: Header=BB6_1481 Depth=2
	s_or_b64 exec, exec, s[60:61]
.LBB6_1729:                             ;   in Loop: Header=BB6_1481 Depth=2
	s_or_b64 exec, exec, s[24:25]
	v_mul_f32_e32 v10, v9, v3
	v_and_b32_sdwa v3, v10, s76 dst_sel:DWORD dst_unused:UNUSED_PAD src0_sel:BYTE_3 src1_sel:DWORD
	v_and_b32_e32 v24, 0x7f800000, v10
	v_mov_b32_e32 v25, v39
	v_and_b32_e32 v38, 0x7fffff, v10
	v_or_b32_e32 v19, 0x7e, v3
	v_cmp_ne_u64_e32 vcc, s[42:43], v[24:25]
	s_and_saveexec_b64 s[24:25], vcc
	s_xor_b64 s[60:61], exec, s[24:25]
	s_cbranch_execz .LBB6_1739
; %bb.1730:                             ;   in Loop: Header=BB6_1481 Depth=2
	v_and_b32_e32 v24, 0x7fffffff, v10
	v_mov_b32_e32 v25, v39
	v_cmp_gt_u64_e32 vcc, s[44:45], v[24:25]
	s_and_saveexec_b64 s[62:63], vcc
	s_cbranch_execz .LBB6_1738
; %bb.1731:                             ;   in Loop: Header=BB6_1481 Depth=2
	v_cmp_ne_u32_e32 vcc, 0, v10
	v_mov_b32_e32 v19, 0
	s_and_saveexec_b64 s[64:65], vcc
	s_cbranch_execz .LBB6_1737
; %bb.1732:                             ;   in Loop: Header=BB6_1481 Depth=2
	v_bfe_u32 v10, v10, 23, 8
	v_sub_u32_e32 v19, 0x79, v10
	v_cmp_gt_u32_e32 vcc, s77, v10
	v_cndmask_b32_e32 v19, 0, v19, vcc
	v_cmp_eq_u32_e32 vcc, 0, v10
	v_add_u32_e32 v11, 0xffffff81, v10
	v_or_b32_e32 v23, 0x800000, v38
	v_mov_b32_e32 v10, 0xffffff82
	v_cndmask_b32_e32 v19, v19, v20, vcc
	v_cndmask_b32_e32 v24, v11, v10, vcc
	;; [unrolled: 1-line block ×3, first 2 shown]
	v_add_u32_e32 v10, 20, v19
	v_lshlrev_b64 v[10:11], v10, -1
	v_add_u32_e32 v23, 19, v19
	v_lshrrev_b64 v[36:37], v19, v[38:39]
	v_not_b32_e32 v11, v11
	v_not_b32_e32 v10, v10
	v_lshlrev_b64 v[28:29], v23, 1
	v_lshrrev_b32_e32 v23, 23, v36
	v_and_b32_e32 v11, 0, v11
	v_and_b32_e32 v10, v38, v10
	v_add3_u32 v24, v19, v24, v23
	v_bfe_u32 v19, v36, 20, 1
	v_add_u32_e32 v19, -1, v19
	v_cmp_eq_u64_e32 vcc, v[10:11], v[28:29]
	v_cndmask_b32_e32 v10, 0, v19, vcc
	v_add_u32_e32 v10, v10, v36
	v_and_b32_e32 v10, 0xfffff, v10
	v_add_co_u32_e32 v10, vcc, v10, v36
	v_add_u32_e32 v23, 6, v24
	v_addc_co_u32_e32 v11, vcc, 0, v37, vcc
	v_cmp_ne_u32_e32 vcc, 0, v23
                                        ; implicit-def: $vgpr19
	s_and_saveexec_b64 s[24:25], vcc
	s_xor_b64 s[24:25], exec, s[24:25]
; %bb.1733:                             ;   in Loop: Header=BB6_1481 Depth=2
	v_add_u32_e32 v19, 7, v24
	v_cmp_lt_u64_e32 vcc, s[48:49], v[10:11]
	v_cndmask_b32_e32 v19, v23, v19, vcc
	v_cndmask_b32_e64 v23, 0, 1, vcc
	v_lshrrev_b64 v[10:11], v23, v[10:11]
; %bb.1734:                             ;   in Loop: Header=BB6_1481 Depth=2
	s_andn2_saveexec_b64 s[24:25], s[24:25]
; %bb.1735:                             ;   in Loop: Header=BB6_1481 Depth=2
	v_bfe_u32 v19, v10, 23, 1
; %bb.1736:                             ;   in Loop: Header=BB6_1481 Depth=2
	s_or_b64 exec, exec, s[24:25]
	v_lshrrev_b64 v[10:11], 20, v[10:11]
	v_cmp_gt_i32_e32 vcc, 16, v19
	v_cndmask_b32_e32 v11, 0, v11, vcc
	v_cndmask_b32_e32 v10, 7, v10, vcc
	v_cmp_eq_u64_e64 s[24:25], 0, v[10:11]
	v_min_i32_e32 v11, 15, v19
	v_lshlrev_b32_e32 v11, 3, v11
	v_cmp_eq_u32_e32 vcc, 0, v19
	v_and_b32_e32 v11, 0xf8, v11
	v_and_or_b32 v10, v10, 7, v11
	s_and_b64 s[24:25], vcc, s[24:25]
	v_cndmask_b32_e64 v10, v10, 0, s[24:25]
	v_or_b32_e32 v19, v10, v3
.LBB6_1737:                             ;   in Loop: Header=BB6_1481 Depth=2
	s_or_b64 exec, exec, s[64:65]
.LBB6_1738:                             ;   in Loop: Header=BB6_1481 Depth=2
	s_or_b64 exec, exec, s[62:63]
                                        ; implicit-def: $vgpr10
.LBB6_1739:                             ;   in Loop: Header=BB6_1481 Depth=2
	s_andn2_saveexec_b64 s[24:25], s[60:61]
; %bb.1740:                             ;   in Loop: Header=BB6_1481 Depth=2
	v_or_b32_sdwa v3, v10, s75 dst_sel:DWORD dst_unused:UNUSED_PAD src0_sel:BYTE_3 src1_sel:DWORD
	v_cmp_eq_u64_e32 vcc, 0, v[38:39]
	v_cndmask_b32_e32 v19, v3, v19, vcc
; %bb.1741:                             ;   in Loop: Header=BB6_1481 Depth=2
	s_or_b64 exec, exec, s[24:25]
	v_lshrrev_b32_e32 v10, 16, v13
	v_cmp_ne_u16_sdwa vcc, v10, v39 src0_sel:BYTE_0 src1_sel:DWORD
	v_mov_b32_e32 v3, 0
	s_and_saveexec_b64 s[24:25], vcc
	s_cbranch_execz .LBB6_1747
; %bb.1742:                             ;   in Loop: Header=BB6_1481 Depth=2
	v_cmp_ne_u16_sdwa vcc, v10, s76 src0_sel:BYTE_0 src1_sel:DWORD
	v_bfrev_b32_e32 v3, 1
	s_and_saveexec_b64 s[60:61], vcc
	s_cbranch_execz .LBB6_1746
; %bb.1743:                             ;   in Loop: Header=BB6_1481 Depth=2
	v_bfe_u32 v11, v13, 16, 7
	v_cmp_ne_u32_e32 vcc, s75, v11
	v_mov_b32_e32 v3, 0x7f800001
	s_and_saveexec_b64 s[62:63], vcc
	s_cbranch_execz .LBB6_1745
; %bb.1744:                             ;   in Loop: Header=BB6_1481 Depth=2
	v_and_b32_e32 v3, 7, v10
	v_ffbh_u32_e32 v24, v3
	v_min_u32_e32 v28, 32, v24
	v_subrev_u32_e32 v24, 28, v28
	v_lshlrev_b64 v[24:25], v24, v[10:11]
	v_lshrrev_b32_e32 v23, 3, v11
	v_sub_u32_e32 v25, 29, v28
	v_and_b32_e32 v24, 7, v24
	v_cmp_gt_u32_e32 vcc, 8, v11
	v_cndmask_b32_e32 v11, v23, v25, vcc
	v_cndmask_b32_e32 v3, v3, v24, vcc
	v_lshlrev_b32_e32 v10, 24, v10
	v_lshlrev_b32_e32 v3, 20, v3
	v_and_b32_e32 v10, 0x80000000, v10
	v_lshl_add_u32 v11, v11, 23, v31
	v_or3_b32 v3, v10, v11, v3
.LBB6_1745:                             ;   in Loop: Header=BB6_1481 Depth=2
	s_or_b64 exec, exec, s[62:63]
.LBB6_1746:                             ;   in Loop: Header=BB6_1481 Depth=2
	s_or_b64 exec, exec, s[60:61]
.LBB6_1747:                             ;   in Loop: Header=BB6_1481 Depth=2
	s_or_b64 exec, exec, s[24:25]
	v_mul_f32_e32 v10, v9, v3
	v_and_b32_sdwa v3, v10, s76 dst_sel:DWORD dst_unused:UNUSED_PAD src0_sel:BYTE_3 src1_sel:DWORD
	v_and_b32_e32 v24, 0x7f800000, v10
	v_mov_b32_e32 v25, v39
	v_and_b32_e32 v38, 0x7fffff, v10
	v_or_b32_e32 v23, 0x7e, v3
	v_cmp_ne_u64_e32 vcc, s[42:43], v[24:25]
	s_and_saveexec_b64 s[24:25], vcc
	s_xor_b64 s[60:61], exec, s[24:25]
	s_cbranch_execz .LBB6_1757
; %bb.1748:                             ;   in Loop: Header=BB6_1481 Depth=2
	v_and_b32_e32 v24, 0x7fffffff, v10
	v_mov_b32_e32 v25, v39
	v_cmp_gt_u64_e32 vcc, s[44:45], v[24:25]
	s_and_saveexec_b64 s[62:63], vcc
	s_cbranch_execz .LBB6_1756
; %bb.1749:                             ;   in Loop: Header=BB6_1481 Depth=2
	v_cmp_ne_u32_e32 vcc, 0, v10
	v_mov_b32_e32 v23, 0
	s_and_saveexec_b64 s[64:65], vcc
	s_cbranch_execz .LBB6_1755
; %bb.1750:                             ;   in Loop: Header=BB6_1481 Depth=2
	v_bfe_u32 v10, v10, 23, 8
	v_sub_u32_e32 v23, 0x79, v10
	v_cmp_gt_u32_e32 vcc, s77, v10
	v_cndmask_b32_e32 v23, 0, v23, vcc
	v_cmp_eq_u32_e32 vcc, 0, v10
	v_add_u32_e32 v11, 0xffffff81, v10
	v_or_b32_e32 v24, 0x800000, v38
	v_mov_b32_e32 v10, 0xffffff82
	v_cndmask_b32_e32 v23, v23, v20, vcc
	v_cndmask_b32_e32 v25, v11, v10, vcc
	;; [unrolled: 1-line block ×3, first 2 shown]
	v_add_u32_e32 v10, 20, v23
	v_lshlrev_b64 v[10:11], v10, -1
	v_add_u32_e32 v24, 19, v23
	v_lshrrev_b64 v[36:37], v23, v[38:39]
	v_not_b32_e32 v11, v11
	v_not_b32_e32 v10, v10
	v_lshlrev_b64 v[28:29], v24, 1
	v_lshrrev_b32_e32 v24, 23, v36
	v_and_b32_e32 v11, 0, v11
	v_and_b32_e32 v10, v38, v10
	v_add3_u32 v25, v23, v25, v24
	v_bfe_u32 v23, v36, 20, 1
	v_add_u32_e32 v23, -1, v23
	v_cmp_eq_u64_e32 vcc, v[10:11], v[28:29]
	v_cndmask_b32_e32 v10, 0, v23, vcc
	v_add_u32_e32 v10, v10, v36
	v_and_b32_e32 v10, 0xfffff, v10
	v_add_co_u32_e32 v10, vcc, v10, v36
	v_add_u32_e32 v24, 6, v25
	v_addc_co_u32_e32 v11, vcc, 0, v37, vcc
	v_cmp_ne_u32_e32 vcc, 0, v24
                                        ; implicit-def: $vgpr23
	s_and_saveexec_b64 s[24:25], vcc
	s_xor_b64 s[24:25], exec, s[24:25]
; %bb.1751:                             ;   in Loop: Header=BB6_1481 Depth=2
	v_add_u32_e32 v23, 7, v25
	v_cmp_lt_u64_e32 vcc, s[48:49], v[10:11]
	v_cndmask_b32_e32 v23, v24, v23, vcc
	v_cndmask_b32_e64 v24, 0, 1, vcc
	v_lshrrev_b64 v[10:11], v24, v[10:11]
; %bb.1752:                             ;   in Loop: Header=BB6_1481 Depth=2
	s_andn2_saveexec_b64 s[24:25], s[24:25]
; %bb.1753:                             ;   in Loop: Header=BB6_1481 Depth=2
	v_bfe_u32 v23, v10, 23, 1
; %bb.1754:                             ;   in Loop: Header=BB6_1481 Depth=2
	s_or_b64 exec, exec, s[24:25]
	v_lshrrev_b64 v[10:11], 20, v[10:11]
	v_cmp_gt_i32_e32 vcc, 16, v23
	v_cndmask_b32_e32 v11, 0, v11, vcc
	v_cndmask_b32_e32 v10, 7, v10, vcc
	v_cmp_eq_u64_e64 s[24:25], 0, v[10:11]
	v_min_i32_e32 v11, 15, v23
	v_lshlrev_b32_e32 v11, 3, v11
	v_cmp_eq_u32_e32 vcc, 0, v23
	v_and_b32_e32 v11, 0xf8, v11
	v_and_or_b32 v10, v10, 7, v11
	s_and_b64 s[24:25], vcc, s[24:25]
	v_cndmask_b32_e64 v10, v10, 0, s[24:25]
	v_or_b32_e32 v23, v10, v3
.LBB6_1755:                             ;   in Loop: Header=BB6_1481 Depth=2
	s_or_b64 exec, exec, s[64:65]
.LBB6_1756:                             ;   in Loop: Header=BB6_1481 Depth=2
	s_or_b64 exec, exec, s[62:63]
                                        ; implicit-def: $vgpr10
.LBB6_1757:                             ;   in Loop: Header=BB6_1481 Depth=2
	s_andn2_saveexec_b64 s[24:25], s[60:61]
; %bb.1758:                             ;   in Loop: Header=BB6_1481 Depth=2
	v_or_b32_sdwa v3, v10, s75 dst_sel:DWORD dst_unused:UNUSED_PAD src0_sel:BYTE_3 src1_sel:DWORD
	v_cmp_eq_u64_e32 vcc, 0, v[38:39]
	v_cndmask_b32_e32 v23, v3, v23, vcc
; %bb.1759:                             ;   in Loop: Header=BB6_1481 Depth=2
	s_or_b64 exec, exec, s[24:25]
	v_cmp_lt_u64_e32 vcc, s[46:47], v[12:13]
	v_mov_b32_e32 v3, 0
	s_and_saveexec_b64 s[24:25], vcc
	s_cbranch_execz .LBB6_1765
; %bb.1760:                             ;   in Loop: Header=BB6_1481 Depth=2
	v_lshrrev_b32_e32 v10, 24, v13
	v_cmp_ne_u32_e32 vcc, s76, v10
	v_bfrev_b32_e32 v3, 1
	s_and_saveexec_b64 s[60:61], vcc
	s_cbranch_execz .LBB6_1764
; %bb.1761:                             ;   in Loop: Header=BB6_1481 Depth=2
	v_bfe_u32 v11, v13, 24, 7
	v_cmp_ne_u32_e32 vcc, s75, v11
	v_mov_b32_e32 v3, 0x7f800001
	s_and_saveexec_b64 s[62:63], vcc
	s_cbranch_execz .LBB6_1763
; %bb.1762:                             ;   in Loop: Header=BB6_1481 Depth=2
	v_and_b32_e32 v3, 7, v10
	v_ffbh_u32_e32 v12, v3
	v_min_u32_e32 v25, 32, v12
	v_subrev_u32_e32 v12, 28, v25
	v_lshlrev_b64 v[12:13], v12, v[10:11]
	v_lshrrev_b32_e32 v24, 3, v11
	v_sub_u32_e32 v13, 29, v25
	v_and_b32_e32 v12, 7, v12
	v_cmp_gt_u32_e32 vcc, 8, v11
	v_cndmask_b32_e32 v11, v24, v13, vcc
	v_cndmask_b32_e32 v3, v3, v12, vcc
	v_lshlrev_b32_e32 v10, 24, v10
	v_lshlrev_b32_e32 v3, 20, v3
	v_and_b32_e32 v10, 0x80000000, v10
	v_lshl_add_u32 v11, v11, 23, v31
	v_or3_b32 v3, v10, v11, v3
.LBB6_1763:                             ;   in Loop: Header=BB6_1481 Depth=2
	s_or_b64 exec, exec, s[62:63]
.LBB6_1764:                             ;   in Loop: Header=BB6_1481 Depth=2
	s_or_b64 exec, exec, s[60:61]
.LBB6_1765:                             ;   in Loop: Header=BB6_1481 Depth=2
	s_or_b64 exec, exec, s[24:25]
	v_mul_f32_e32 v9, v9, v3
	v_and_b32_sdwa v3, v9, s76 dst_sel:DWORD dst_unused:UNUSED_PAD src0_sel:BYTE_3 src1_sel:DWORD
	v_and_b32_e32 v10, 0x7f800000, v9
	v_mov_b32_e32 v11, v39
	v_and_b32_e32 v38, 0x7fffff, v9
	v_or_b32_e32 v30, 0x7e, v3
	v_cmp_ne_u64_e32 vcc, s[42:43], v[10:11]
	s_and_saveexec_b64 s[24:25], vcc
	s_xor_b64 s[60:61], exec, s[24:25]
	s_cbranch_execz .LBB6_1775
; %bb.1766:                             ;   in Loop: Header=BB6_1481 Depth=2
	v_and_b32_e32 v10, 0x7fffffff, v9
	v_mov_b32_e32 v11, v39
	v_cmp_gt_u64_e32 vcc, s[44:45], v[10:11]
	s_and_saveexec_b64 s[62:63], vcc
	s_cbranch_execz .LBB6_1774
; %bb.1767:                             ;   in Loop: Header=BB6_1481 Depth=2
	v_cmp_ne_u32_e32 vcc, 0, v9
	v_mov_b32_e32 v30, 0
	s_and_saveexec_b64 s[64:65], vcc
	s_cbranch_execz .LBB6_1773
; %bb.1768:                             ;   in Loop: Header=BB6_1481 Depth=2
	v_bfe_u32 v9, v9, 23, 8
	v_sub_u32_e32 v11, 0x79, v9
	v_cmp_gt_u32_e32 vcc, s77, v9
	v_cndmask_b32_e32 v11, 0, v11, vcc
	v_cmp_eq_u32_e32 vcc, 0, v9
	v_add_u32_e32 v10, 0xffffff81, v9
	v_or_b32_e32 v12, 0x800000, v38
	v_mov_b32_e32 v9, 0xffffff82
	v_cndmask_b32_e32 v13, v11, v20, vcc
	v_cndmask_b32_e32 v9, v10, v9, vcc
	;; [unrolled: 1-line block ×3, first 2 shown]
	v_add_u32_e32 v10, 20, v13
	v_lshlrev_b64 v[10:11], v10, -1
	v_add_u32_e32 v12, 19, v13
	v_lshrrev_b64 v[28:29], v13, v[38:39]
	v_not_b32_e32 v11, v11
	v_not_b32_e32 v10, v10
	v_lshlrev_b64 v[24:25], v12, 1
	v_lshrrev_b32_e32 v12, 23, v28
	v_and_b32_e32 v11, 0, v11
	v_and_b32_e32 v10, v38, v10
	v_add3_u32 v13, v13, v9, v12
	v_bfe_u32 v9, v28, 20, 1
	v_add_u32_e32 v9, -1, v9
	v_cmp_eq_u64_e32 vcc, v[10:11], v[24:25]
	v_cndmask_b32_e32 v9, 0, v9, vcc
	v_add_u32_e32 v9, v9, v28
	v_and_b32_e32 v9, 0xfffff, v9
	v_add_co_u32_e32 v10, vcc, v9, v28
	v_add_u32_e32 v12, 6, v13
	v_addc_co_u32_e32 v11, vcc, 0, v29, vcc
	v_cmp_ne_u32_e32 vcc, 0, v12
                                        ; implicit-def: $vgpr9
	s_and_saveexec_b64 s[24:25], vcc
	s_xor_b64 s[24:25], exec, s[24:25]
; %bb.1769:                             ;   in Loop: Header=BB6_1481 Depth=2
	v_add_u32_e32 v9, 7, v13
	v_cmp_lt_u64_e32 vcc, s[48:49], v[10:11]
	v_cndmask_b32_e32 v9, v12, v9, vcc
	v_cndmask_b32_e64 v12, 0, 1, vcc
	v_lshrrev_b64 v[10:11], v12, v[10:11]
; %bb.1770:                             ;   in Loop: Header=BB6_1481 Depth=2
	s_andn2_saveexec_b64 s[24:25], s[24:25]
; %bb.1771:                             ;   in Loop: Header=BB6_1481 Depth=2
	v_bfe_u32 v9, v10, 23, 1
; %bb.1772:                             ;   in Loop: Header=BB6_1481 Depth=2
	s_or_b64 exec, exec, s[24:25]
	v_lshrrev_b64 v[10:11], 20, v[10:11]
	v_cmp_gt_i32_e32 vcc, 16, v9
	v_cndmask_b32_e32 v11, 0, v11, vcc
	v_cndmask_b32_e32 v10, 7, v10, vcc
	v_cmp_eq_u32_e32 vcc, 0, v9
	v_min_i32_e32 v9, 15, v9
	v_lshlrev_b32_e32 v9, 3, v9
	v_cmp_eq_u64_e64 s[24:25], 0, v[10:11]
	v_and_b32_e32 v9, 0xf8, v9
	v_and_or_b32 v9, v10, 7, v9
	s_and_b64 s[24:25], vcc, s[24:25]
	v_cndmask_b32_e64 v9, v9, 0, s[24:25]
	v_or_b32_e32 v30, v9, v3
.LBB6_1773:                             ;   in Loop: Header=BB6_1481 Depth=2
	s_or_b64 exec, exec, s[64:65]
.LBB6_1774:                             ;   in Loop: Header=BB6_1481 Depth=2
	s_or_b64 exec, exec, s[62:63]
                                        ; implicit-def: $vgpr9
.LBB6_1775:                             ;   in Loop: Header=BB6_1481 Depth=2
	s_andn2_saveexec_b64 s[24:25], s[60:61]
; %bb.1776:                             ;   in Loop: Header=BB6_1481 Depth=2
	v_or_b32_sdwa v3, v9, s75 dst_sel:DWORD dst_unused:UNUSED_PAD src0_sel:BYTE_3 src1_sel:DWORD
	v_cmp_eq_u64_e32 vcc, 0, v[38:39]
	v_cndmask_b32_e32 v30, v3, v30, vcc
; %bb.1777:                             ;   in Loop: Header=BB6_1481 Depth=2
	s_or_b64 exec, exec, s[24:25]
	global_load_dwordx4 v[10:13], v[42:43], off glc slc
	v_lshlrev_b32_e32 v3, 8, v21
	v_cmp_ne_u16_sdwa vcc, v6, v39 src0_sel:BYTE_0 src1_sel:DWORD
	v_mov_b32_e32 v9, 0
	v_mov_b32_e32 v21, 0
	s_and_saveexec_b64 s[24:25], vcc
	s_cbranch_execz .LBB6_1783
; %bb.1778:                             ;   in Loop: Header=BB6_1481 Depth=2
	v_cmp_ne_u16_sdwa vcc, v6, s76 src0_sel:BYTE_0 src1_sel:DWORD
	v_bfrev_b32_e32 v21, 1
	s_and_saveexec_b64 s[60:61], vcc
	s_cbranch_execz .LBB6_1782
; %bb.1779:                             ;   in Loop: Header=BB6_1481 Depth=2
	v_and_b32_e32 v24, 0x7f, v6
	v_cmp_ne_u32_e32 vcc, s75, v24
	v_mov_b32_e32 v21, 0x7f800001
	s_and_saveexec_b64 s[62:63], vcc
	s_cbranch_execz .LBB6_1781
; %bb.1780:                             ;   in Loop: Header=BB6_1481 Depth=2
	v_and_b32_e32 v21, 7, v6
	v_ffbh_u32_e32 v21, v21
	v_min_u32_e32 v21, 32, v21
	v_subrev_u32_e32 v29, 28, v21
	v_cmp_gt_u32_e32 vcc, 8, v24
	v_lshrrev_b32_e32 v25, 3, v24
	v_perm_b32 v28, v3, v6, s78
	v_sub_u32_e32 v21, 29, v21
	v_cndmask_b32_e32 v24, 0, v29, vcc
	v_cndmask_b32_e32 v21, v25, v21, vcc
	v_lshlrev_b64 v[24:25], v24, v[28:29]
	v_lshlrev_b32_e32 v24, 20, v24
	v_lshlrev_b32_e32 v6, 24, v6
	v_and_b32_e32 v24, 0x700000, v24
	v_and_b32_e32 v6, 0x80000000, v6
	v_lshl_add_u32 v21, v21, 23, v31
	v_or3_b32 v21, v6, v21, v24
.LBB6_1781:                             ;   in Loop: Header=BB6_1481 Depth=2
	s_or_b64 exec, exec, s[62:63]
.LBB6_1782:                             ;   in Loop: Header=BB6_1481 Depth=2
	s_or_b64 exec, exec, s[60:61]
.LBB6_1783:                             ;   in Loop: Header=BB6_1481 Depth=2
	s_or_b64 exec, exec, s[24:25]
	s_waitcnt vmcnt(0)
	v_cmp_ne_u16_sdwa vcc, v10, v39 src0_sel:BYTE_0 src1_sel:DWORD
	s_and_saveexec_b64 s[24:25], vcc
	s_cbranch_execz .LBB6_1789
; %bb.1784:                             ;   in Loop: Header=BB6_1481 Depth=2
	v_cmp_ne_u16_sdwa vcc, v10, s76 src0_sel:BYTE_0 src1_sel:DWORD
	v_bfrev_b32_e32 v9, 1
	s_and_saveexec_b64 s[60:61], vcc
	s_cbranch_execz .LBB6_1788
; %bb.1785:                             ;   in Loop: Header=BB6_1481 Depth=2
	v_and_b32_e32 v6, 0x7f, v10
	v_cmp_ne_u32_e32 vcc, s75, v6
	v_mov_b32_e32 v9, 0x7f800001
	s_and_saveexec_b64 s[62:63], vcc
	s_cbranch_execz .LBB6_1787
; %bb.1786:                             ;   in Loop: Header=BB6_1481 Depth=2
	v_and_b32_e32 v9, 7, v10
	v_ffbh_u32_e32 v9, v9
	v_min_u32_e32 v9, 32, v9
	v_lshrrev_b32_e32 v24, 3, v6
	v_subrev_u32_e32 v25, 28, v9
	v_sub_u32_e32 v9, 29, v9
	v_cmp_gt_u32_e32 vcc, 8, v6
	v_cndmask_b32_e32 v6, v24, v9, vcc
	v_cndmask_b32_e32 v9, 0, v25, vcc
	v_lshlrev_b64 v[24:25], v9, v[10:11]
	v_lshlrev_b32_e32 v9, 20, v24
	v_lshlrev_b32_e32 v24, 24, v10
	v_and_b32_e32 v9, 0x700000, v9
	v_and_b32_e32 v24, 0x80000000, v24
	v_lshl_add_u32 v6, v6, 23, v31
	v_or3_b32 v9, v24, v6, v9
.LBB6_1787:                             ;   in Loop: Header=BB6_1481 Depth=2
	s_or_b64 exec, exec, s[62:63]
.LBB6_1788:                             ;   in Loop: Header=BB6_1481 Depth=2
	s_or_b64 exec, exec, s[60:61]
.LBB6_1789:                             ;   in Loop: Header=BB6_1481 Depth=2
	s_or_b64 exec, exec, s[24:25]
	v_add_f32_e32 v21, v21, v9
	v_and_b32_sdwa v9, v21, s76 dst_sel:DWORD dst_unused:UNUSED_PAD src0_sel:BYTE_3 src1_sel:DWORD
	v_and_b32_e32 v24, 0x7f800000, v21
	v_mov_b32_e32 v25, v39
	v_and_b32_e32 v38, 0x7fffff, v21
	v_or_b32_e32 v6, 0x7e, v9
	v_cmp_ne_u64_e32 vcc, s[42:43], v[24:25]
	s_and_saveexec_b64 s[24:25], vcc
	s_xor_b64 s[60:61], exec, s[24:25]
	s_cbranch_execz .LBB6_1799
; %bb.1790:                             ;   in Loop: Header=BB6_1481 Depth=2
	v_and_b32_e32 v24, 0x7fffffff, v21
	v_mov_b32_e32 v25, v39
	v_cmp_gt_u64_e32 vcc, s[44:45], v[24:25]
	s_and_saveexec_b64 s[62:63], vcc
	s_cbranch_execz .LBB6_1798
; %bb.1791:                             ;   in Loop: Header=BB6_1481 Depth=2
	v_cmp_ne_u32_e32 vcc, 0, v21
	v_mov_b32_e32 v6, 0
	s_and_saveexec_b64 s[64:65], vcc
	s_cbranch_execz .LBB6_1797
; %bb.1792:                             ;   in Loop: Header=BB6_1481 Depth=2
	v_bfe_u32 v6, v21, 23, 8
	v_sub_u32_e32 v24, 0x79, v6
	v_cmp_gt_u32_e32 vcc, s77, v6
	v_add_u32_e32 v21, 0xffffff81, v6
	v_cndmask_b32_e32 v24, 0, v24, vcc
	v_cmp_eq_u32_e32 vcc, 0, v6
	v_mov_b32_e32 v6, 0xffffff82
	v_or_b32_e32 v25, 0x800000, v38
	v_cndmask_b32_e32 v6, v21, v6, vcc
	v_cndmask_b32_e32 v21, v24, v20, vcc
	;; [unrolled: 1-line block ×3, first 2 shown]
	v_add_u32_e32 v24, 20, v21
	v_lshlrev_b64 v[24:25], v24, -1
	v_add_u32_e32 v28, 19, v21
	v_lshrrev_b64 v[50:51], v21, v[38:39]
	v_not_b32_e32 v25, v25
	v_not_b32_e32 v24, v24
	v_lshlrev_b64 v[36:37], v28, 1
	v_lshrrev_b32_e32 v28, 23, v50
	v_and_b32_e32 v25, 0, v25
	v_and_b32_e32 v24, v38, v24
	v_add3_u32 v28, v21, v6, v28
	v_bfe_u32 v6, v50, 20, 1
	v_add_u32_e32 v6, -1, v6
	v_cmp_eq_u64_e32 vcc, v[24:25], v[36:37]
	v_cndmask_b32_e32 v6, 0, v6, vcc
	v_add_u32_e32 v6, v6, v50
	v_and_b32_e32 v6, 0xfffff, v6
	v_add_co_u32_e32 v24, vcc, v6, v50
	v_add_u32_e32 v21, 6, v28
	v_addc_co_u32_e32 v25, vcc, 0, v51, vcc
	v_cmp_ne_u32_e32 vcc, 0, v21
                                        ; implicit-def: $vgpr6
	s_and_saveexec_b64 s[24:25], vcc
	s_xor_b64 s[24:25], exec, s[24:25]
; %bb.1793:                             ;   in Loop: Header=BB6_1481 Depth=2
	v_add_u32_e32 v6, 7, v28
	v_cmp_lt_u64_e32 vcc, s[48:49], v[24:25]
	v_cndmask_b32_e32 v6, v21, v6, vcc
	v_cndmask_b32_e64 v21, 0, 1, vcc
	v_lshrrev_b64 v[24:25], v21, v[24:25]
; %bb.1794:                             ;   in Loop: Header=BB6_1481 Depth=2
	s_andn2_saveexec_b64 s[24:25], s[24:25]
; %bb.1795:                             ;   in Loop: Header=BB6_1481 Depth=2
	v_bfe_u32 v6, v24, 23, 1
; %bb.1796:                             ;   in Loop: Header=BB6_1481 Depth=2
	s_or_b64 exec, exec, s[24:25]
	v_lshrrev_b64 v[24:25], 20, v[24:25]
	v_cmp_gt_i32_e32 vcc, 16, v6
	v_cndmask_b32_e32 v25, 0, v25, vcc
	v_cndmask_b32_e32 v24, 7, v24, vcc
	v_cmp_eq_u32_e32 vcc, 0, v6
	v_min_i32_e32 v6, 15, v6
	v_cmp_eq_u64_e64 s[24:25], 0, v[24:25]
	v_lshlrev_b32_e32 v6, 3, v6
	v_and_or_b32 v6, v24, 7, v6
	s_and_b64 s[24:25], vcc, s[24:25]
	v_cndmask_b32_e64 v6, v6, 0, s[24:25]
	v_or_b32_e32 v6, v6, v9
.LBB6_1797:                             ;   in Loop: Header=BB6_1481 Depth=2
	s_or_b64 exec, exec, s[64:65]
.LBB6_1798:                             ;   in Loop: Header=BB6_1481 Depth=2
	s_or_b64 exec, exec, s[62:63]
                                        ; implicit-def: $vgpr21
.LBB6_1799:                             ;   in Loop: Header=BB6_1481 Depth=2
	s_andn2_saveexec_b64 s[24:25], s[60:61]
; %bb.1800:                             ;   in Loop: Header=BB6_1481 Depth=2
	v_or_b32_sdwa v9, v21, s75 dst_sel:DWORD dst_unused:UNUSED_PAD src0_sel:BYTE_3 src1_sel:DWORD
	v_cmp_eq_u64_e32 vcc, 0, v[38:39]
	v_cndmask_b32_e32 v6, v9, v6, vcc
; %bb.1801:                             ;   in Loop: Header=BB6_1481 Depth=2
	s_or_b64 exec, exec, s[24:25]
	v_lshrrev_b16_e32 v24, 8, v3
	v_cmp_ne_u16_e32 vcc, 0, v24
	v_mov_b32_e32 v9, 0
	v_mov_b32_e32 v21, 0
	s_and_saveexec_b64 s[24:25], vcc
	s_cbranch_execz .LBB6_1807
; %bb.1802:                             ;   in Loop: Header=BB6_1481 Depth=2
	v_cmp_ne_u16_e32 vcc, s76, v24
	v_bfrev_b32_e32 v21, 1
	s_and_saveexec_b64 s[60:61], vcc
	s_cbranch_execz .LBB6_1806
; %bb.1803:                             ;   in Loop: Header=BB6_1481 Depth=2
	v_and_b32_e32 v25, 0x7f, v24
	v_cmp_ne_u32_e32 vcc, s75, v25
	v_mov_b32_e32 v21, 0x7f800001
	s_and_saveexec_b64 s[62:63], vcc
	s_cbranch_execz .LBB6_1805
; %bb.1804:                             ;   in Loop: Header=BB6_1481 Depth=2
	v_and_b32_e32 v21, 7, v24
	v_ffbh_u32_e32 v28, v21
	v_min_u32_e32 v36, 32, v28
	v_subrev_u32_e32 v28, 28, v36
	v_lshlrev_b64 v[28:29], v28, v[24:25]
	v_lshrrev_b32_e32 v35, 3, v25
	v_sub_u32_e32 v24, 29, v36
	v_and_b32_e32 v28, 7, v28
	v_cmp_gt_u32_e32 vcc, 8, v25
	v_cndmask_b32_e32 v24, v35, v24, vcc
	v_cndmask_b32_e32 v21, v21, v28, vcc
	v_lshlrev_b32_e32 v3, 16, v3
	v_lshlrev_b32_e32 v21, 20, v21
	v_and_b32_e32 v3, 0x80000000, v3
	v_lshl_add_u32 v24, v24, 23, v31
	v_or3_b32 v21, v3, v24, v21
.LBB6_1805:                             ;   in Loop: Header=BB6_1481 Depth=2
	s_or_b64 exec, exec, s[62:63]
.LBB6_1806:                             ;   in Loop: Header=BB6_1481 Depth=2
	s_or_b64 exec, exec, s[60:61]
.LBB6_1807:                             ;   in Loop: Header=BB6_1481 Depth=2
	s_or_b64 exec, exec, s[24:25]
	v_lshrrev_b16_e32 v24, 8, v10
	v_cmp_ne_u16_e32 vcc, 0, v24
	s_and_saveexec_b64 s[24:25], vcc
	s_cbranch_execz .LBB6_1813
; %bb.1808:                             ;   in Loop: Header=BB6_1481 Depth=2
	v_cmp_ne_u16_e32 vcc, s76, v24
	v_bfrev_b32_e32 v9, 1
	s_and_saveexec_b64 s[60:61], vcc
	s_cbranch_execz .LBB6_1812
; %bb.1809:                             ;   in Loop: Header=BB6_1481 Depth=2
	v_and_b32_e32 v3, 0x7f, v24
	v_cmp_ne_u32_e32 vcc, s75, v3
	v_mov_b32_e32 v9, 0x7f800001
	s_and_saveexec_b64 s[62:63], vcc
	s_cbranch_execz .LBB6_1811
; %bb.1810:                             ;   in Loop: Header=BB6_1481 Depth=2
	v_and_b32_e32 v9, 7, v24
	v_ffbh_u32_e32 v25, v9
	v_min_u32_e32 v29, 32, v25
	v_subrev_u32_e32 v25, 28, v29
	v_lshlrev_b64 v[24:25], v25, v[24:25]
	v_lshrrev_b32_e32 v28, 3, v3
	v_sub_u32_e32 v25, 29, v29
	v_and_b32_e32 v24, 7, v24
	v_cmp_gt_u32_e32 vcc, 8, v3
	v_cndmask_b32_e32 v3, v28, v25, vcc
	v_cndmask_b32_e32 v9, v9, v24, vcc
	v_lshlrev_b32_e32 v24, 16, v10
	v_lshlrev_b32_e32 v9, 20, v9
	v_and_b32_e32 v24, 0x80000000, v24
	v_lshl_add_u32 v3, v3, 23, v31
	v_or3_b32 v9, v24, v3, v9
.LBB6_1811:                             ;   in Loop: Header=BB6_1481 Depth=2
	s_or_b64 exec, exec, s[62:63]
.LBB6_1812:                             ;   in Loop: Header=BB6_1481 Depth=2
	s_or_b64 exec, exec, s[60:61]
.LBB6_1813:                             ;   in Loop: Header=BB6_1481 Depth=2
	s_or_b64 exec, exec, s[24:25]
	v_add_f32_e32 v21, v21, v9
	v_and_b32_sdwa v3, v21, s76 dst_sel:DWORD dst_unused:UNUSED_PAD src0_sel:BYTE_3 src1_sel:DWORD
	v_and_b32_e32 v24, 0x7f800000, v21
	v_mov_b32_e32 v25, v39
	v_and_b32_e32 v38, 0x7fffff, v21
	v_or_b32_e32 v9, 0x7e, v3
	v_cmp_ne_u64_e32 vcc, s[42:43], v[24:25]
	s_and_saveexec_b64 s[24:25], vcc
	s_xor_b64 s[60:61], exec, s[24:25]
	s_cbranch_execz .LBB6_1823
; %bb.1814:                             ;   in Loop: Header=BB6_1481 Depth=2
	v_and_b32_e32 v24, 0x7fffffff, v21
	v_mov_b32_e32 v25, v39
	v_cmp_gt_u64_e32 vcc, s[44:45], v[24:25]
	s_and_saveexec_b64 s[62:63], vcc
	s_cbranch_execz .LBB6_1822
; %bb.1815:                             ;   in Loop: Header=BB6_1481 Depth=2
	v_cmp_ne_u32_e32 vcc, 0, v21
	v_mov_b32_e32 v9, 0
	s_and_saveexec_b64 s[64:65], vcc
	s_cbranch_execz .LBB6_1821
; %bb.1816:                             ;   in Loop: Header=BB6_1481 Depth=2
	v_bfe_u32 v9, v21, 23, 8
	v_sub_u32_e32 v24, 0x79, v9
	v_cmp_gt_u32_e32 vcc, s77, v9
	v_add_u32_e32 v21, 0xffffff81, v9
	v_cndmask_b32_e32 v24, 0, v24, vcc
	v_cmp_eq_u32_e32 vcc, 0, v9
	v_mov_b32_e32 v9, 0xffffff82
	v_or_b32_e32 v25, 0x800000, v38
	v_cndmask_b32_e32 v9, v21, v9, vcc
	v_cndmask_b32_e32 v21, v24, v20, vcc
	;; [unrolled: 1-line block ×3, first 2 shown]
	v_add_u32_e32 v24, 20, v21
	v_lshlrev_b64 v[24:25], v24, -1
	v_add_u32_e32 v28, 19, v21
	v_lshrrev_b64 v[50:51], v21, v[38:39]
	v_not_b32_e32 v25, v25
	v_not_b32_e32 v24, v24
	v_lshlrev_b64 v[36:37], v28, 1
	v_lshrrev_b32_e32 v28, 23, v50
	v_and_b32_e32 v25, 0, v25
	v_and_b32_e32 v24, v38, v24
	v_add3_u32 v28, v21, v9, v28
	v_bfe_u32 v9, v50, 20, 1
	v_add_u32_e32 v9, -1, v9
	v_cmp_eq_u64_e32 vcc, v[24:25], v[36:37]
	v_cndmask_b32_e32 v9, 0, v9, vcc
	v_add_u32_e32 v9, v9, v50
	v_and_b32_e32 v9, 0xfffff, v9
	v_add_co_u32_e32 v24, vcc, v9, v50
	v_add_u32_e32 v21, 6, v28
	v_addc_co_u32_e32 v25, vcc, 0, v51, vcc
	v_cmp_ne_u32_e32 vcc, 0, v21
                                        ; implicit-def: $vgpr9
	s_and_saveexec_b64 s[24:25], vcc
	s_xor_b64 s[24:25], exec, s[24:25]
; %bb.1817:                             ;   in Loop: Header=BB6_1481 Depth=2
	v_add_u32_e32 v9, 7, v28
	v_cmp_lt_u64_e32 vcc, s[48:49], v[24:25]
	v_cndmask_b32_e32 v9, v21, v9, vcc
	v_cndmask_b32_e64 v21, 0, 1, vcc
	v_lshrrev_b64 v[24:25], v21, v[24:25]
; %bb.1818:                             ;   in Loop: Header=BB6_1481 Depth=2
	s_andn2_saveexec_b64 s[24:25], s[24:25]
; %bb.1819:                             ;   in Loop: Header=BB6_1481 Depth=2
	v_bfe_u32 v9, v24, 23, 1
; %bb.1820:                             ;   in Loop: Header=BB6_1481 Depth=2
	s_or_b64 exec, exec, s[24:25]
	v_lshrrev_b64 v[24:25], 20, v[24:25]
	v_cmp_gt_i32_e32 vcc, 16, v9
	v_cndmask_b32_e32 v25, 0, v25, vcc
	v_cndmask_b32_e32 v24, 7, v24, vcc
	v_cmp_eq_u32_e32 vcc, 0, v9
	v_min_i32_e32 v9, 15, v9
	v_cmp_eq_u64_e64 s[24:25], 0, v[24:25]
	v_lshlrev_b32_e32 v9, 3, v9
	v_and_or_b32 v9, v24, 7, v9
	s_and_b64 s[24:25], vcc, s[24:25]
	v_cndmask_b32_e64 v9, v9, 0, s[24:25]
	v_or_b32_e32 v9, v9, v3
.LBB6_1821:                             ;   in Loop: Header=BB6_1481 Depth=2
	s_or_b64 exec, exec, s[64:65]
.LBB6_1822:                             ;   in Loop: Header=BB6_1481 Depth=2
	s_or_b64 exec, exec, s[62:63]
                                        ; implicit-def: $vgpr21
.LBB6_1823:                             ;   in Loop: Header=BB6_1481 Depth=2
	s_andn2_saveexec_b64 s[24:25], s[60:61]
; %bb.1824:                             ;   in Loop: Header=BB6_1481 Depth=2
	v_or_b32_sdwa v3, v21, s75 dst_sel:DWORD dst_unused:UNUSED_PAD src0_sel:BYTE_3 src1_sel:DWORD
	v_cmp_eq_u64_e32 vcc, 0, v[38:39]
	v_cndmask_b32_e32 v9, v3, v9, vcc
; %bb.1825:                             ;   in Loop: Header=BB6_1481 Depth=2
	s_or_b64 exec, exec, s[24:25]
	v_cmp_ne_u16_sdwa vcc, v48, v39 src0_sel:BYTE_0 src1_sel:DWORD
	v_mov_b32_e32 v3, 0
	v_mov_b32_e32 v21, 0
	s_and_saveexec_b64 s[24:25], vcc
	s_cbranch_execz .LBB6_1831
; %bb.1826:                             ;   in Loop: Header=BB6_1481 Depth=2
	v_cmp_ne_u16_sdwa vcc, v48, s76 src0_sel:BYTE_0 src1_sel:DWORD
	v_bfrev_b32_e32 v21, 1
	s_and_saveexec_b64 s[60:61], vcc
	s_cbranch_execz .LBB6_1830
; %bb.1827:                             ;   in Loop: Header=BB6_1481 Depth=2
	v_and_b32_e32 v24, 0x7f, v48
	v_cmp_ne_u32_e32 vcc, s75, v24
	v_mov_b32_e32 v21, 0x7f800001
	s_and_saveexec_b64 s[62:63], vcc
	s_cbranch_execz .LBB6_1829
; %bb.1828:                             ;   in Loop: Header=BB6_1481 Depth=2
	v_and_b32_e32 v21, 7, v48
	v_ffbh_u32_e32 v28, v21
	v_min_u32_e32 v35, 32, v28
	v_subrev_u32_e32 v28, 28, v35
	v_lshlrev_b64 v[28:29], v28, v[48:49]
	v_lshrrev_b32_e32 v25, 3, v24
	v_sub_u32_e32 v29, 29, v35
	v_and_b32_e32 v28, 7, v28
	v_cmp_gt_u32_e32 vcc, 8, v24
	v_cndmask_b32_e32 v24, v25, v29, vcc
	v_cndmask_b32_e32 v21, v21, v28, vcc
	v_lshlrev_b32_e32 v25, 24, v48
	v_lshlrev_b32_e32 v21, 20, v21
	v_and_b32_e32 v25, 0x80000000, v25
	v_lshl_add_u32 v24, v24, 23, v31
	v_or3_b32 v21, v25, v24, v21
.LBB6_1829:                             ;   in Loop: Header=BB6_1481 Depth=2
	s_or_b64 exec, exec, s[62:63]
.LBB6_1830:                             ;   in Loop: Header=BB6_1481 Depth=2
	s_or_b64 exec, exec, s[60:61]
.LBB6_1831:                             ;   in Loop: Header=BB6_1481 Depth=2
	s_or_b64 exec, exec, s[24:25]
	v_lshrrev_b32_e32 v24, 16, v10
	v_cmp_ne_u16_sdwa vcc, v24, v39 src0_sel:BYTE_0 src1_sel:DWORD
	s_and_saveexec_b64 s[24:25], vcc
	s_cbranch_execz .LBB6_1837
; %bb.1832:                             ;   in Loop: Header=BB6_1481 Depth=2
	v_cmp_ne_u16_sdwa vcc, v24, s76 src0_sel:BYTE_0 src1_sel:DWORD
	v_bfrev_b32_e32 v3, 1
	s_and_saveexec_b64 s[60:61], vcc
	s_cbranch_execz .LBB6_1836
; %bb.1833:                             ;   in Loop: Header=BB6_1481 Depth=2
	v_bfe_u32 v25, v10, 16, 7
	v_cmp_ne_u32_e32 vcc, s75, v25
	v_mov_b32_e32 v3, 0x7f800001
	s_and_saveexec_b64 s[62:63], vcc
	s_cbranch_execz .LBB6_1835
; %bb.1834:                             ;   in Loop: Header=BB6_1481 Depth=2
	v_and_b32_e32 v3, 7, v24
	v_ffbh_u32_e32 v28, v3
	v_min_u32_e32 v36, 32, v28
	v_subrev_u32_e32 v28, 28, v36
	v_lshlrev_b64 v[28:29], v28, v[24:25]
	v_lshrrev_b32_e32 v35, 3, v25
	v_sub_u32_e32 v24, 29, v36
	v_and_b32_e32 v28, 7, v28
	v_cmp_gt_u32_e32 vcc, 8, v25
	v_cndmask_b32_e32 v24, v35, v24, vcc
	v_cndmask_b32_e32 v3, v3, v28, vcc
	v_lshlrev_b32_e32 v25, 8, v10
	v_lshlrev_b32_e32 v3, 20, v3
	v_and_b32_e32 v25, 0x80000000, v25
	v_lshl_add_u32 v24, v24, 23, v31
	v_or3_b32 v3, v25, v24, v3
.LBB6_1835:                             ;   in Loop: Header=BB6_1481 Depth=2
	s_or_b64 exec, exec, s[62:63]
.LBB6_1836:                             ;   in Loop: Header=BB6_1481 Depth=2
	s_or_b64 exec, exec, s[60:61]
.LBB6_1837:                             ;   in Loop: Header=BB6_1481 Depth=2
	s_or_b64 exec, exec, s[24:25]
	v_add_f32_e32 v24, v21, v3
	v_and_b32_sdwa v3, v24, s76 dst_sel:DWORD dst_unused:UNUSED_PAD src0_sel:BYTE_3 src1_sel:DWORD
	v_and_b32_e32 v28, 0x7f800000, v24
	v_mov_b32_e32 v29, v39
	v_and_b32_e32 v38, 0x7fffff, v24
	v_or_b32_e32 v21, 0x7e, v3
	v_cmp_ne_u64_e32 vcc, s[42:43], v[28:29]
	s_and_saveexec_b64 s[24:25], vcc
	s_xor_b64 s[60:61], exec, s[24:25]
	s_cbranch_execz .LBB6_1847
; %bb.1838:                             ;   in Loop: Header=BB6_1481 Depth=2
	v_and_b32_e32 v28, 0x7fffffff, v24
	v_mov_b32_e32 v29, v39
	v_cmp_gt_u64_e32 vcc, s[44:45], v[28:29]
	s_and_saveexec_b64 s[62:63], vcc
	s_cbranch_execz .LBB6_1846
; %bb.1839:                             ;   in Loop: Header=BB6_1481 Depth=2
	v_cmp_ne_u32_e32 vcc, 0, v24
	v_mov_b32_e32 v21, 0
	s_and_saveexec_b64 s[64:65], vcc
	s_cbranch_execz .LBB6_1845
; %bb.1840:                             ;   in Loop: Header=BB6_1481 Depth=2
	v_bfe_u32 v21, v24, 23, 8
	v_sub_u32_e32 v25, 0x79, v21
	v_cmp_gt_u32_e32 vcc, s77, v21
	v_cndmask_b32_e32 v25, 0, v25, vcc
	v_cmp_eq_u32_e32 vcc, 0, v21
	v_add_u32_e32 v24, 0xffffff81, v21
	v_or_b32_e32 v28, 0x800000, v38
	v_mov_b32_e32 v21, 0xffffff82
	v_cndmask_b32_e32 v29, v25, v20, vcc
	v_cndmask_b32_e32 v21, v24, v21, vcc
	;; [unrolled: 1-line block ×3, first 2 shown]
	v_add_u32_e32 v24, 20, v29
	v_lshlrev_b64 v[24:25], v24, -1
	v_add_u32_e32 v28, 19, v29
	v_lshrrev_b64 v[48:49], v29, v[38:39]
	v_not_b32_e32 v25, v25
	v_not_b32_e32 v24, v24
	v_lshlrev_b64 v[36:37], v28, 1
	v_lshrrev_b32_e32 v28, 23, v48
	v_and_b32_e32 v25, 0, v25
	v_and_b32_e32 v24, v38, v24
	v_add3_u32 v29, v29, v21, v28
	v_bfe_u32 v21, v48, 20, 1
	v_add_u32_e32 v21, -1, v21
	v_cmp_eq_u64_e32 vcc, v[24:25], v[36:37]
	v_cndmask_b32_e32 v21, 0, v21, vcc
	v_add_u32_e32 v21, v21, v48
	v_and_b32_e32 v21, 0xfffff, v21
	v_add_co_u32_e32 v24, vcc, v21, v48
	v_add_u32_e32 v28, 6, v29
	v_addc_co_u32_e32 v25, vcc, 0, v49, vcc
	v_cmp_ne_u32_e32 vcc, 0, v28
                                        ; implicit-def: $vgpr21
	s_and_saveexec_b64 s[24:25], vcc
	s_xor_b64 s[24:25], exec, s[24:25]
; %bb.1841:                             ;   in Loop: Header=BB6_1481 Depth=2
	v_add_u32_e32 v21, 7, v29
	v_cmp_lt_u64_e32 vcc, s[48:49], v[24:25]
	v_cndmask_b32_e32 v21, v28, v21, vcc
	v_cndmask_b32_e64 v28, 0, 1, vcc
	v_lshrrev_b64 v[24:25], v28, v[24:25]
; %bb.1842:                             ;   in Loop: Header=BB6_1481 Depth=2
	s_andn2_saveexec_b64 s[24:25], s[24:25]
; %bb.1843:                             ;   in Loop: Header=BB6_1481 Depth=2
	v_bfe_u32 v21, v24, 23, 1
; %bb.1844:                             ;   in Loop: Header=BB6_1481 Depth=2
	s_or_b64 exec, exec, s[24:25]
	v_lshrrev_b64 v[24:25], 20, v[24:25]
	v_cmp_gt_i32_e32 vcc, 16, v21
	v_cndmask_b32_e32 v25, 0, v25, vcc
	v_cndmask_b32_e32 v24, 7, v24, vcc
	v_cmp_eq_u32_e32 vcc, 0, v21
	v_min_i32_e32 v21, 15, v21
	v_cmp_eq_u64_e64 s[24:25], 0, v[24:25]
	v_lshlrev_b32_e32 v21, 3, v21
	v_and_or_b32 v21, v24, 7, v21
	s_and_b64 s[24:25], vcc, s[24:25]
	v_cndmask_b32_e64 v21, v21, 0, s[24:25]
	v_or_b32_e32 v21, v21, v3
.LBB6_1845:                             ;   in Loop: Header=BB6_1481 Depth=2
	s_or_b64 exec, exec, s[64:65]
.LBB6_1846:                             ;   in Loop: Header=BB6_1481 Depth=2
	s_or_b64 exec, exec, s[62:63]
                                        ; implicit-def: $vgpr24
.LBB6_1847:                             ;   in Loop: Header=BB6_1481 Depth=2
	s_andn2_saveexec_b64 s[24:25], s[60:61]
; %bb.1848:                             ;   in Loop: Header=BB6_1481 Depth=2
	v_or_b32_sdwa v3, v24, s75 dst_sel:DWORD dst_unused:UNUSED_PAD src0_sel:BYTE_3 src1_sel:DWORD
	v_cmp_eq_u64_e32 vcc, 0, v[38:39]
	v_cndmask_b32_e32 v21, v3, v21, vcc
; %bb.1849:                             ;   in Loop: Header=BB6_1481 Depth=2
	s_or_b64 exec, exec, s[24:25]
	v_lshlrev_b32_e32 v3, 8, v27
	v_and_b32_e32 v24, 0xff00, v3
	v_cmp_ne_u32_e32 vcc, 0, v24
	v_mov_b32_e32 v3, 0
	v_mov_b32_e32 v25, 0
	s_and_saveexec_b64 s[24:25], vcc
	s_cbranch_execz .LBB6_1855
; %bb.1850:                             ;   in Loop: Header=BB6_1481 Depth=2
	v_cmp_ne_u32_e32 vcc, s79, v24
	v_bfrev_b32_e32 v25, 1
	s_and_saveexec_b64 s[60:61], vcc
	s_cbranch_execz .LBB6_1854
; %bb.1851:                             ;   in Loop: Header=BB6_1481 Depth=2
	v_bfe_u32 v27, v24, 8, 7
	v_cmp_ne_u32_e32 vcc, s75, v27
	v_mov_b32_e32 v25, 0x7f800001
	s_and_saveexec_b64 s[62:63], vcc
	s_cbranch_execz .LBB6_1853
; %bb.1852:                             ;   in Loop: Header=BB6_1481 Depth=2
	v_lshrrev_b32_e32 v28, 8, v24
	v_and_b32_e32 v25, 7, v28
	v_ffbh_u32_e32 v29, v25
	v_min_u32_e32 v36, 32, v29
	v_subrev_u32_e32 v29, 28, v36
	v_lshlrev_b64 v[28:29], v29, v[28:29]
	v_lshrrev_b32_e32 v35, 3, v27
	v_sub_u32_e32 v29, 29, v36
	v_and_b32_e32 v28, 7, v28
	v_cmp_gt_u32_e32 vcc, 8, v27
	v_cndmask_b32_e32 v27, v35, v29, vcc
	v_cndmask_b32_e32 v25, v25, v28, vcc
	v_lshlrev_b32_e32 v24, 16, v24
	v_lshlrev_b32_e32 v25, 20, v25
	v_and_b32_e32 v24, 0x80000000, v24
	v_lshl_add_u32 v27, v27, 23, v31
	v_or3_b32 v25, v24, v27, v25
.LBB6_1853:                             ;   in Loop: Header=BB6_1481 Depth=2
	s_or_b64 exec, exec, s[62:63]
.LBB6_1854:                             ;   in Loop: Header=BB6_1481 Depth=2
	s_or_b64 exec, exec, s[60:61]
.LBB6_1855:                             ;   in Loop: Header=BB6_1481 Depth=2
	s_or_b64 exec, exec, s[24:25]
	v_cmp_lt_u32_e32 vcc, s47, v10
	s_and_saveexec_b64 s[24:25], vcc
	s_cbranch_execz .LBB6_1861
; %bb.1856:                             ;   in Loop: Header=BB6_1481 Depth=2
	v_lshrrev_b32_e32 v24, 24, v10
	v_cmp_ne_u32_e32 vcc, s76, v24
	v_bfrev_b32_e32 v3, 1
	s_and_saveexec_b64 s[60:61], vcc
	s_cbranch_execz .LBB6_1860
; %bb.1857:                             ;   in Loop: Header=BB6_1481 Depth=2
	v_bfe_u32 v27, v10, 24, 7
	v_cmp_ne_u32_e32 vcc, s75, v27
	v_mov_b32_e32 v3, 0x7f800001
	s_and_saveexec_b64 s[62:63], vcc
	s_cbranch_execz .LBB6_1859
; %bb.1858:                             ;   in Loop: Header=BB6_1481 Depth=2
	v_and_b32_e32 v3, 7, v24
	v_ffbh_u32_e32 v28, v3
	v_min_u32_e32 v36, 32, v28
	v_subrev_u32_e32 v28, 28, v36
	v_lshlrev_b64 v[28:29], v28, v[24:25]
	v_lshrrev_b32_e32 v35, 3, v27
	v_sub_u32_e32 v29, 29, v36
	v_and_b32_e32 v28, 7, v28
	v_cmp_gt_u32_e32 vcc, 8, v27
	v_cndmask_b32_e32 v27, v35, v29, vcc
	v_cndmask_b32_e32 v3, v3, v28, vcc
	v_lshlrev_b32_e32 v24, 24, v24
	v_lshlrev_b32_e32 v3, 20, v3
	v_and_b32_e32 v24, 0x80000000, v24
	v_lshl_add_u32 v27, v27, 23, v31
	v_or3_b32 v3, v24, v27, v3
.LBB6_1859:                             ;   in Loop: Header=BB6_1481 Depth=2
	s_or_b64 exec, exec, s[62:63]
.LBB6_1860:                             ;   in Loop: Header=BB6_1481 Depth=2
	s_or_b64 exec, exec, s[60:61]
.LBB6_1861:                             ;   in Loop: Header=BB6_1481 Depth=2
	s_or_b64 exec, exec, s[24:25]
	v_add_f32_e32 v24, v25, v3
	v_and_b32_sdwa v3, v24, s76 dst_sel:DWORD dst_unused:UNUSED_PAD src0_sel:BYTE_3 src1_sel:DWORD
	v_and_b32_e32 v28, 0x7f800000, v24
	v_mov_b32_e32 v29, v39
	v_and_b32_e32 v38, 0x7fffff, v24
	v_or_b32_e32 v27, 0x7e, v3
	v_cmp_ne_u64_e32 vcc, s[42:43], v[28:29]
	s_and_saveexec_b64 s[24:25], vcc
	s_xor_b64 s[60:61], exec, s[24:25]
	s_cbranch_execz .LBB6_1871
; %bb.1862:                             ;   in Loop: Header=BB6_1481 Depth=2
	v_and_b32_e32 v28, 0x7fffffff, v24
	v_mov_b32_e32 v29, v39
	v_cmp_gt_u64_e32 vcc, s[44:45], v[28:29]
	s_and_saveexec_b64 s[62:63], vcc
	s_cbranch_execz .LBB6_1870
; %bb.1863:                             ;   in Loop: Header=BB6_1481 Depth=2
	v_cmp_ne_u32_e32 vcc, 0, v24
	v_mov_b32_e32 v27, 0
	s_and_saveexec_b64 s[64:65], vcc
	s_cbranch_execz .LBB6_1869
; %bb.1864:                             ;   in Loop: Header=BB6_1481 Depth=2
	v_bfe_u32 v24, v24, 23, 8
	v_sub_u32_e32 v27, 0x79, v24
	v_cmp_gt_u32_e32 vcc, s77, v24
	v_cndmask_b32_e32 v27, 0, v27, vcc
	v_cmp_eq_u32_e32 vcc, 0, v24
	v_add_u32_e32 v25, 0xffffff81, v24
	v_or_b32_e32 v28, 0x800000, v38
	v_mov_b32_e32 v24, 0xffffff82
	v_cndmask_b32_e32 v27, v27, v20, vcc
	v_cndmask_b32_e32 v29, v25, v24, vcc
	;; [unrolled: 1-line block ×3, first 2 shown]
	v_add_u32_e32 v24, 20, v27
	v_lshlrev_b64 v[24:25], v24, -1
	v_add_u32_e32 v28, 19, v27
	v_lshrrev_b64 v[48:49], v27, v[38:39]
	v_not_b32_e32 v25, v25
	v_not_b32_e32 v24, v24
	v_lshlrev_b64 v[36:37], v28, 1
	v_lshrrev_b32_e32 v28, 23, v48
	v_and_b32_e32 v25, 0, v25
	v_and_b32_e32 v24, v38, v24
	v_add3_u32 v29, v27, v29, v28
	v_bfe_u32 v27, v48, 20, 1
	v_add_u32_e32 v27, -1, v27
	v_cmp_eq_u64_e32 vcc, v[24:25], v[36:37]
	v_cndmask_b32_e32 v24, 0, v27, vcc
	v_add_u32_e32 v24, v24, v48
	v_and_b32_e32 v24, 0xfffff, v24
	v_add_co_u32_e32 v24, vcc, v24, v48
	v_add_u32_e32 v28, 6, v29
	v_addc_co_u32_e32 v25, vcc, 0, v49, vcc
	v_cmp_ne_u32_e32 vcc, 0, v28
                                        ; implicit-def: $vgpr27
	s_and_saveexec_b64 s[24:25], vcc
	s_xor_b64 s[24:25], exec, s[24:25]
; %bb.1865:                             ;   in Loop: Header=BB6_1481 Depth=2
	v_add_u32_e32 v27, 7, v29
	v_cmp_lt_u64_e32 vcc, s[48:49], v[24:25]
	v_cndmask_b32_e32 v27, v28, v27, vcc
	v_cndmask_b32_e64 v28, 0, 1, vcc
	v_lshrrev_b64 v[24:25], v28, v[24:25]
; %bb.1866:                             ;   in Loop: Header=BB6_1481 Depth=2
	s_andn2_saveexec_b64 s[24:25], s[24:25]
; %bb.1867:                             ;   in Loop: Header=BB6_1481 Depth=2
	v_bfe_u32 v27, v24, 23, 1
; %bb.1868:                             ;   in Loop: Header=BB6_1481 Depth=2
	s_or_b64 exec, exec, s[24:25]
	v_lshrrev_b64 v[24:25], 20, v[24:25]
	v_cmp_gt_i32_e32 vcc, 16, v27
	v_cndmask_b32_e32 v25, 0, v25, vcc
	v_cndmask_b32_e32 v24, 7, v24, vcc
	v_cmp_eq_u64_e64 s[24:25], 0, v[24:25]
	v_min_i32_e32 v25, 15, v27
	v_cmp_eq_u32_e32 vcc, 0, v27
	v_lshlrev_b32_e32 v25, 3, v25
	v_and_or_b32 v24, v24, 7, v25
	s_and_b64 s[24:25], vcc, s[24:25]
	v_cndmask_b32_e64 v24, v24, 0, s[24:25]
	v_or_b32_e32 v27, v24, v3
.LBB6_1869:                             ;   in Loop: Header=BB6_1481 Depth=2
	s_or_b64 exec, exec, s[64:65]
.LBB6_1870:                             ;   in Loop: Header=BB6_1481 Depth=2
	s_or_b64 exec, exec, s[62:63]
                                        ; implicit-def: $vgpr24
.LBB6_1871:                             ;   in Loop: Header=BB6_1481 Depth=2
	s_andn2_saveexec_b64 s[24:25], s[60:61]
; %bb.1872:                             ;   in Loop: Header=BB6_1481 Depth=2
	v_or_b32_sdwa v3, v24, s75 dst_sel:DWORD dst_unused:UNUSED_PAD src0_sel:BYTE_3 src1_sel:DWORD
	v_cmp_eq_u64_e32 vcc, 0, v[38:39]
	v_cndmask_b32_e32 v27, v3, v27, vcc
; %bb.1873:                             ;   in Loop: Header=BB6_1481 Depth=2
	s_or_b64 exec, exec, s[24:25]
	v_lshlrev_b32_e32 v3, 8, v32
	v_lshlrev_b32_e32 v24, 24, v34
	v_perm_b32 v25, v33, v22, s80
	v_or3_b32 v38, v25, v24, v3
	v_cmp_ne_u16_sdwa vcc, v22, v39 src0_sel:BYTE_0 src1_sel:DWORD
	v_mov_b32_e32 v25, 0
	v_mov_b32_e32 v24, 0
	s_and_saveexec_b64 s[24:25], vcc
	s_cbranch_execz .LBB6_1879
; %bb.1874:                             ;   in Loop: Header=BB6_1481 Depth=2
	v_cmp_ne_u16_sdwa vcc, v22, s76 src0_sel:BYTE_0 src1_sel:DWORD
	v_bfrev_b32_e32 v24, 1
	s_and_saveexec_b64 s[60:61], vcc
	s_cbranch_execz .LBB6_1878
; %bb.1875:                             ;   in Loop: Header=BB6_1481 Depth=2
	v_and_b32_e32 v28, 0x7f, v22
	v_cmp_ne_u32_e32 vcc, s75, v28
	v_mov_b32_e32 v24, 0x7f800001
	s_and_saveexec_b64 s[62:63], vcc
	s_cbranch_execz .LBB6_1877
; %bb.1876:                             ;   in Loop: Header=BB6_1481 Depth=2
	v_and_b32_e32 v22, 7, v22
	v_ffbh_u32_e32 v22, v22
	v_min_u32_e32 v22, 32, v22
	v_lshrrev_b32_e32 v24, 3, v28
	v_subrev_u32_e32 v29, 28, v22
	v_sub_u32_e32 v22, 29, v22
	v_cmp_gt_u32_e32 vcc, 8, v28
	v_cndmask_b32_e32 v22, v24, v22, vcc
	v_cndmask_b32_e32 v24, 0, v29, vcc
	v_lshlrev_b64 v[28:29], v24, v[38:39]
	v_lshlrev_b32_e32 v24, 20, v28
	v_lshlrev_b32_e32 v28, 24, v38
	v_and_b32_e32 v24, 0x700000, v24
	v_and_b32_e32 v28, 0x80000000, v28
	v_lshl_add_u32 v22, v22, 23, v31
	v_or3_b32 v24, v28, v22, v24
.LBB6_1877:                             ;   in Loop: Header=BB6_1481 Depth=2
	s_or_b64 exec, exec, s[62:63]
.LBB6_1878:                             ;   in Loop: Header=BB6_1481 Depth=2
	s_or_b64 exec, exec, s[60:61]
.LBB6_1879:                             ;   in Loop: Header=BB6_1481 Depth=2
	s_or_b64 exec, exec, s[24:25]
	v_cmp_ne_u16_sdwa vcc, v11, v39 src0_sel:BYTE_0 src1_sel:DWORD
	s_and_saveexec_b64 s[24:25], vcc
	s_cbranch_execz .LBB6_1885
; %bb.1880:                             ;   in Loop: Header=BB6_1481 Depth=2
	v_cmp_ne_u16_sdwa vcc, v11, s76 src0_sel:BYTE_0 src1_sel:DWORD
	v_bfrev_b32_e32 v25, 1
	s_and_saveexec_b64 s[60:61], vcc
	s_cbranch_execz .LBB6_1884
; %bb.1881:                             ;   in Loop: Header=BB6_1481 Depth=2
	v_and_b32_e32 v22, 0x7f, v11
	v_cmp_ne_u32_e32 vcc, s75, v22
	v_mov_b32_e32 v25, 0x7f800001
	s_and_saveexec_b64 s[62:63], vcc
	s_cbranch_execz .LBB6_1883
; %bb.1882:                             ;   in Loop: Header=BB6_1481 Depth=2
	v_and_b32_e32 v25, 7, v11
	v_ffbh_u32_e32 v25, v25
	v_min_u32_e32 v25, 32, v25
	v_lshrrev_b32_e32 v32, 3, v22
	v_subrev_u32_e32 v33, 28, v25
	v_sub_u32_e32 v25, 29, v25
	v_cmp_gt_u32_e32 vcc, 8, v22
	v_mov_b32_e32 v28, v11
	v_mov_b32_e32 v29, v39
	v_cndmask_b32_e32 v22, v32, v25, vcc
	v_cndmask_b32_e32 v25, 0, v33, vcc
	v_lshlrev_b64 v[32:33], v25, v[28:29]
	v_lshlrev_b32_e32 v25, 20, v32
	v_lshlrev_b32_e32 v28, 24, v28
	v_and_b32_e32 v25, 0x700000, v25
	v_and_b32_e32 v28, 0x80000000, v28
	v_lshl_add_u32 v22, v22, 23, v31
	v_or3_b32 v25, v28, v22, v25
.LBB6_1883:                             ;   in Loop: Header=BB6_1481 Depth=2
	s_or_b64 exec, exec, s[62:63]
.LBB6_1884:                             ;   in Loop: Header=BB6_1481 Depth=2
	s_or_b64 exec, exec, s[60:61]
.LBB6_1885:                             ;   in Loop: Header=BB6_1481 Depth=2
	s_or_b64 exec, exec, s[24:25]
	v_add_f32_e32 v24, v24, v25
	v_and_b32_sdwa v28, v24, s76 dst_sel:DWORD dst_unused:UNUSED_PAD src0_sel:BYTE_3 src1_sel:DWORD
	v_and_b32_e32 v32, 0x7f800000, v24
	v_mov_b32_e32 v33, v39
	v_and_b32_e32 v46, 0x7fffff, v24
	v_mov_b32_e32 v47, v39
	v_or_b32_e32 v22, 0x7e, v28
	v_cmp_ne_u64_e32 vcc, s[42:43], v[32:33]
	s_and_saveexec_b64 s[24:25], vcc
	s_xor_b64 s[60:61], exec, s[24:25]
	s_cbranch_execz .LBB6_1895
; %bb.1886:                             ;   in Loop: Header=BB6_1481 Depth=2
	v_and_b32_e32 v32, 0x7fffffff, v24
	v_mov_b32_e32 v33, v39
	v_cmp_gt_u64_e32 vcc, s[44:45], v[32:33]
	s_and_saveexec_b64 s[62:63], vcc
	s_cbranch_execz .LBB6_1894
; %bb.1887:                             ;   in Loop: Header=BB6_1481 Depth=2
	v_cmp_ne_u32_e32 vcc, 0, v24
	v_mov_b32_e32 v22, 0
	s_and_saveexec_b64 s[64:65], vcc
	s_cbranch_execz .LBB6_1893
; %bb.1888:                             ;   in Loop: Header=BB6_1481 Depth=2
	v_bfe_u32 v22, v24, 23, 8
	v_sub_u32_e32 v25, 0x79, v22
	v_cmp_gt_u32_e32 vcc, s77, v22
	v_cndmask_b32_e32 v25, 0, v25, vcc
	v_cmp_eq_u32_e32 vcc, 0, v22
	v_add_u32_e32 v24, 0xffffff81, v22
	v_or_b32_e32 v29, 0x800000, v46
	v_mov_b32_e32 v22, 0xffffff82
	v_cndmask_b32_e32 v32, v25, v20, vcc
	v_cndmask_b32_e32 v22, v24, v22, vcc
	;; [unrolled: 1-line block ×3, first 2 shown]
	v_add_u32_e32 v24, 20, v32
	v_lshlrev_b64 v[24:25], v24, -1
	v_add_u32_e32 v29, 19, v32
	v_lshrrev_b64 v[36:37], v32, v[46:47]
	v_not_b32_e32 v25, v25
	v_not_b32_e32 v24, v24
	v_lshlrev_b64 v[34:35], v29, 1
	v_lshrrev_b32_e32 v29, 23, v36
	v_and_b32_e32 v25, 0, v25
	v_and_b32_e32 v24, v46, v24
	v_add3_u32 v32, v32, v22, v29
	v_bfe_u32 v22, v36, 20, 1
	v_add_u32_e32 v22, -1, v22
	v_cmp_eq_u64_e32 vcc, v[24:25], v[34:35]
	v_cndmask_b32_e32 v22, 0, v22, vcc
	v_add_u32_e32 v22, v22, v36
	v_and_b32_e32 v22, 0xfffff, v22
	v_add_co_u32_e32 v24, vcc, v22, v36
	v_add_u32_e32 v29, 6, v32
	v_addc_co_u32_e32 v25, vcc, 0, v37, vcc
	v_cmp_ne_u32_e32 vcc, 0, v29
                                        ; implicit-def: $vgpr22
	s_and_saveexec_b64 s[24:25], vcc
	s_xor_b64 s[24:25], exec, s[24:25]
; %bb.1889:                             ;   in Loop: Header=BB6_1481 Depth=2
	v_add_u32_e32 v22, 7, v32
	v_cmp_lt_u64_e32 vcc, s[48:49], v[24:25]
	v_cndmask_b32_e32 v22, v29, v22, vcc
	v_cndmask_b32_e64 v29, 0, 1, vcc
	v_lshrrev_b64 v[24:25], v29, v[24:25]
; %bb.1890:                             ;   in Loop: Header=BB6_1481 Depth=2
	s_andn2_saveexec_b64 s[24:25], s[24:25]
; %bb.1891:                             ;   in Loop: Header=BB6_1481 Depth=2
	v_bfe_u32 v22, v24, 23, 1
; %bb.1892:                             ;   in Loop: Header=BB6_1481 Depth=2
	s_or_b64 exec, exec, s[24:25]
	v_lshrrev_b64 v[24:25], 20, v[24:25]
	v_cmp_gt_i32_e32 vcc, 16, v22
	v_cndmask_b32_e32 v25, 0, v25, vcc
	v_cndmask_b32_e32 v24, 7, v24, vcc
	v_cmp_eq_u32_e32 vcc, 0, v22
	v_min_i32_e32 v22, 15, v22
	v_cmp_eq_u64_e64 s[24:25], 0, v[24:25]
	v_lshlrev_b32_e32 v22, 3, v22
	v_and_or_b32 v22, v24, 7, v22
	s_and_b64 s[24:25], vcc, s[24:25]
	v_cndmask_b32_e64 v22, v22, 0, s[24:25]
	v_or_b32_e32 v22, v22, v28
.LBB6_1893:                             ;   in Loop: Header=BB6_1481 Depth=2
	s_or_b64 exec, exec, s[64:65]
.LBB6_1894:                             ;   in Loop: Header=BB6_1481 Depth=2
	s_or_b64 exec, exec, s[62:63]
                                        ; implicit-def: $vgpr24
                                        ; implicit-def: $vgpr46_vgpr47
.LBB6_1895:                             ;   in Loop: Header=BB6_1481 Depth=2
	s_andn2_saveexec_b64 s[24:25], s[60:61]
; %bb.1896:                             ;   in Loop: Header=BB6_1481 Depth=2
	v_or_b32_sdwa v24, v24, s75 dst_sel:DWORD dst_unused:UNUSED_PAD src0_sel:BYTE_3 src1_sel:DWORD
	v_cmp_eq_u64_e32 vcc, 0, v[46:47]
	v_cndmask_b32_e32 v22, v24, v22, vcc
; %bb.1897:                             ;   in Loop: Header=BB6_1481 Depth=2
	s_or_b64 exec, exec, s[24:25]
	v_lshrrev_b16_e32 v24, 8, v3
	v_cmp_ne_u16_e32 vcc, 0, v24
	v_mov_b32_e32 v25, 0
	v_mov_b32_e32 v28, 0
	s_and_saveexec_b64 s[24:25], vcc
	s_cbranch_execz .LBB6_1903
; %bb.1898:                             ;   in Loop: Header=BB6_1481 Depth=2
	v_cmp_ne_u16_e32 vcc, s76, v24
	v_bfrev_b32_e32 v28, 1
	s_and_saveexec_b64 s[60:61], vcc
	s_cbranch_execz .LBB6_1902
; %bb.1899:                             ;   in Loop: Header=BB6_1481 Depth=2
	v_and_b32_e32 v29, 0x7f, v24
	v_cmp_ne_u32_e32 vcc, s75, v29
	v_mov_b32_e32 v28, 0x7f800001
	s_and_saveexec_b64 s[62:63], vcc
	s_cbranch_execz .LBB6_1901
; %bb.1900:                             ;   in Loop: Header=BB6_1481 Depth=2
	v_and_b32_e32 v28, 7, v24
	v_ffbh_u32_e32 v32, v28
	v_min_u32_e32 v35, 32, v32
	v_subrev_u32_e32 v32, 28, v35
	v_lshlrev_b64 v[32:33], v32, v[24:25]
	v_lshrrev_b32_e32 v34, 3, v29
	v_sub_u32_e32 v24, 29, v35
	v_and_b32_e32 v32, 7, v32
	v_cmp_gt_u32_e32 vcc, 8, v29
	v_cndmask_b32_e32 v24, v34, v24, vcc
	v_cndmask_b32_e32 v28, v28, v32, vcc
	v_lshlrev_b32_e32 v3, 16, v3
	v_lshlrev_b32_e32 v28, 20, v28
	v_and_b32_e32 v3, 0x80000000, v3
	v_lshl_add_u32 v24, v24, 23, v31
	v_or3_b32 v28, v3, v24, v28
.LBB6_1901:                             ;   in Loop: Header=BB6_1481 Depth=2
	s_or_b64 exec, exec, s[62:63]
.LBB6_1902:                             ;   in Loop: Header=BB6_1481 Depth=2
	s_or_b64 exec, exec, s[60:61]
.LBB6_1903:                             ;   in Loop: Header=BB6_1481 Depth=2
	s_or_b64 exec, exec, s[24:25]
	v_mov_b32_e32 v24, v11
	v_lshrrev_b16_e32 v48, 8, v24
	v_cmp_ne_u16_e32 vcc, 0, v48
	s_and_saveexec_b64 s[24:25], vcc
	s_cbranch_execz .LBB6_1909
; %bb.1904:                             ;   in Loop: Header=BB6_1481 Depth=2
	v_cmp_ne_u16_e32 vcc, s76, v48
	v_bfrev_b32_e32 v25, 1
	s_and_saveexec_b64 s[60:61], vcc
	s_cbranch_execz .LBB6_1908
; %bb.1905:                             ;   in Loop: Header=BB6_1481 Depth=2
	v_and_b32_e32 v3, 0x7f, v48
	v_cmp_ne_u32_e32 vcc, s75, v3
	v_mov_b32_e32 v25, 0x7f800001
	s_and_saveexec_b64 s[62:63], vcc
	s_cbranch_execz .LBB6_1907
; %bb.1906:                             ;   in Loop: Header=BB6_1481 Depth=2
	v_and_b32_e32 v25, 7, v48
	v_ffbh_u32_e32 v32, v25
	v_min_u32_e32 v34, 32, v32
	v_subrev_u32_e32 v32, 28, v34
	v_lshlrev_b64 v[32:33], v32, v[48:49]
	v_lshrrev_b32_e32 v29, 3, v3
	v_sub_u32_e32 v33, 29, v34
	v_and_b32_e32 v32, 7, v32
	v_cmp_gt_u32_e32 vcc, 8, v3
	v_cndmask_b32_e32 v3, v29, v33, vcc
	v_cndmask_b32_e32 v25, v25, v32, vcc
	v_lshlrev_b32_e32 v24, 16, v24
	v_lshlrev_b32_e32 v25, 20, v25
	v_and_b32_e32 v24, 0x80000000, v24
	v_lshl_add_u32 v3, v3, 23, v31
	v_or3_b32 v25, v24, v3, v25
.LBB6_1907:                             ;   in Loop: Header=BB6_1481 Depth=2
	s_or_b64 exec, exec, s[62:63]
.LBB6_1908:                             ;   in Loop: Header=BB6_1481 Depth=2
	s_or_b64 exec, exec, s[60:61]
.LBB6_1909:                             ;   in Loop: Header=BB6_1481 Depth=2
	s_or_b64 exec, exec, s[24:25]
	v_add_f32_e32 v24, v28, v25
	v_and_b32_sdwa v3, v24, s76 dst_sel:DWORD dst_unused:UNUSED_PAD src0_sel:BYTE_3 src1_sel:DWORD
	v_and_b32_e32 v28, 0x7f800000, v24
	v_mov_b32_e32 v29, v39
	v_and_b32_e32 v46, 0x7fffff, v24
	v_mov_b32_e32 v47, v39
	v_or_b32_e32 v32, 0x7e, v3
	v_cmp_ne_u64_e32 vcc, s[42:43], v[28:29]
	s_and_saveexec_b64 s[24:25], vcc
	s_xor_b64 s[60:61], exec, s[24:25]
	s_cbranch_execz .LBB6_1919
; %bb.1910:                             ;   in Loop: Header=BB6_1481 Depth=2
	v_and_b32_e32 v28, 0x7fffffff, v24
	v_mov_b32_e32 v29, v39
	v_cmp_gt_u64_e32 vcc, s[44:45], v[28:29]
	s_and_saveexec_b64 s[62:63], vcc
	s_cbranch_execz .LBB6_1918
; %bb.1911:                             ;   in Loop: Header=BB6_1481 Depth=2
	v_cmp_ne_u32_e32 vcc, 0, v24
	v_mov_b32_e32 v32, 0
	s_and_saveexec_b64 s[64:65], vcc
	s_cbranch_execz .LBB6_1917
; %bb.1912:                             ;   in Loop: Header=BB6_1481 Depth=2
	v_bfe_u32 v24, v24, 23, 8
	v_sub_u32_e32 v28, 0x79, v24
	v_cmp_gt_u32_e32 vcc, s77, v24
	v_cndmask_b32_e32 v28, 0, v28, vcc
	v_cmp_eq_u32_e32 vcc, 0, v24
	v_add_u32_e32 v25, 0xffffff81, v24
	v_or_b32_e32 v29, 0x800000, v46
	v_mov_b32_e32 v24, 0xffffff82
	v_cndmask_b32_e32 v28, v28, v20, vcc
	v_cndmask_b32_e32 v32, v25, v24, vcc
	;; [unrolled: 1-line block ×3, first 2 shown]
	v_add_u32_e32 v24, 20, v28
	v_lshlrev_b64 v[24:25], v24, -1
	v_add_u32_e32 v29, 19, v28
	v_lshrrev_b64 v[36:37], v28, v[46:47]
	v_not_b32_e32 v25, v25
	v_not_b32_e32 v24, v24
	v_lshlrev_b64 v[34:35], v29, 1
	v_lshrrev_b32_e32 v29, 23, v36
	v_and_b32_e32 v25, 0, v25
	v_and_b32_e32 v24, v46, v24
	v_add3_u32 v32, v28, v32, v29
	v_bfe_u32 v28, v36, 20, 1
	v_add_u32_e32 v28, -1, v28
	v_cmp_eq_u64_e32 vcc, v[24:25], v[34:35]
	v_cndmask_b32_e32 v24, 0, v28, vcc
	v_add_u32_e32 v24, v24, v36
	v_and_b32_e32 v24, 0xfffff, v24
	v_add_co_u32_e32 v24, vcc, v24, v36
	v_add_u32_e32 v29, 6, v32
	v_addc_co_u32_e32 v25, vcc, 0, v37, vcc
	v_cmp_ne_u32_e32 vcc, 0, v29
                                        ; implicit-def: $vgpr28
	s_and_saveexec_b64 s[24:25], vcc
	s_xor_b64 s[24:25], exec, s[24:25]
; %bb.1913:                             ;   in Loop: Header=BB6_1481 Depth=2
	v_add_u32_e32 v28, 7, v32
	v_cmp_lt_u64_e32 vcc, s[48:49], v[24:25]
	v_cndmask_b32_e32 v28, v29, v28, vcc
	v_cndmask_b32_e64 v29, 0, 1, vcc
	v_lshrrev_b64 v[24:25], v29, v[24:25]
; %bb.1914:                             ;   in Loop: Header=BB6_1481 Depth=2
	s_andn2_saveexec_b64 s[24:25], s[24:25]
; %bb.1915:                             ;   in Loop: Header=BB6_1481 Depth=2
	v_bfe_u32 v28, v24, 23, 1
; %bb.1916:                             ;   in Loop: Header=BB6_1481 Depth=2
	s_or_b64 exec, exec, s[24:25]
	v_lshrrev_b64 v[24:25], 20, v[24:25]
	v_cmp_gt_i32_e32 vcc, 16, v28
	v_cndmask_b32_e32 v25, 0, v25, vcc
	v_cndmask_b32_e32 v24, 7, v24, vcc
	v_cmp_eq_u64_e64 s[24:25], 0, v[24:25]
	v_min_i32_e32 v25, 15, v28
	v_cmp_eq_u32_e32 vcc, 0, v28
	v_lshlrev_b32_e32 v25, 3, v25
	v_and_or_b32 v24, v24, 7, v25
	s_and_b64 s[24:25], vcc, s[24:25]
	v_cndmask_b32_e64 v24, v24, 0, s[24:25]
	v_or_b32_e32 v32, v24, v3
.LBB6_1917:                             ;   in Loop: Header=BB6_1481 Depth=2
	s_or_b64 exec, exec, s[64:65]
.LBB6_1918:                             ;   in Loop: Header=BB6_1481 Depth=2
	s_or_b64 exec, exec, s[62:63]
                                        ; implicit-def: $vgpr24
                                        ; implicit-def: $vgpr46_vgpr47
.LBB6_1919:                             ;   in Loop: Header=BB6_1481 Depth=2
	s_andn2_saveexec_b64 s[24:25], s[60:61]
; %bb.1920:                             ;   in Loop: Header=BB6_1481 Depth=2
	v_or_b32_sdwa v3, v24, s75 dst_sel:DWORD dst_unused:UNUSED_PAD src0_sel:BYTE_3 src1_sel:DWORD
	v_cmp_eq_u64_e32 vcc, 0, v[46:47]
	v_cndmask_b32_e32 v32, v3, v32, vcc
; %bb.1921:                             ;   in Loop: Header=BB6_1481 Depth=2
	s_or_b64 exec, exec, s[24:25]
	v_lshrrev_b32_e32 v24, 16, v38
	v_cmp_ne_u16_sdwa vcc, v24, v39 src0_sel:BYTE_0 src1_sel:DWORD
	v_mov_b32_e32 v3, 0
	v_mov_b32_e32 v25, 0
	s_and_saveexec_b64 s[24:25], vcc
	s_cbranch_execz .LBB6_1927
; %bb.1922:                             ;   in Loop: Header=BB6_1481 Depth=2
	v_cmp_ne_u16_sdwa vcc, v24, s76 src0_sel:BYTE_0 src1_sel:DWORD
	v_bfrev_b32_e32 v25, 1
	s_and_saveexec_b64 s[60:61], vcc
	s_cbranch_execz .LBB6_1926
; %bb.1923:                             ;   in Loop: Header=BB6_1481 Depth=2
	v_bfe_u32 v28, v38, 16, 7
	v_cmp_ne_u32_e32 vcc, s75, v28
	v_mov_b32_e32 v25, 0x7f800001
	s_and_saveexec_b64 s[62:63], vcc
	s_cbranch_execz .LBB6_1925
; %bb.1924:                             ;   in Loop: Header=BB6_1481 Depth=2
	v_and_b32_e32 v25, 7, v24
	v_ffbh_u32_e32 v33, v25
	v_min_u32_e32 v33, 32, v33
	v_subrev_u32_e32 v34, 28, v33
	v_lshlrev_b64 v[34:35], v34, v[24:25]
	v_lshrrev_b32_e32 v29, 3, v28
	v_sub_u32_e32 v33, 29, v33
	v_and_b32_e32 v34, 7, v34
	v_cmp_gt_u32_e32 vcc, 8, v28
	v_cndmask_b32_e32 v28, v29, v33, vcc
	v_cndmask_b32_e32 v25, v25, v34, vcc
	v_lshlrev_b32_e32 v24, 24, v24
	v_lshlrev_b32_e32 v25, 20, v25
	v_and_b32_e32 v24, 0x80000000, v24
	v_lshl_add_u32 v28, v28, 23, v31
	v_or3_b32 v25, v24, v28, v25
.LBB6_1925:                             ;   in Loop: Header=BB6_1481 Depth=2
	s_or_b64 exec, exec, s[62:63]
.LBB6_1926:                             ;   in Loop: Header=BB6_1481 Depth=2
	s_or_b64 exec, exec, s[60:61]
.LBB6_1927:                             ;   in Loop: Header=BB6_1481 Depth=2
	s_or_b64 exec, exec, s[24:25]
	v_lshrrev_b32_e32 v24, 16, v11
	v_cmp_ne_u16_sdwa vcc, v24, v39 src0_sel:BYTE_0 src1_sel:DWORD
	s_and_saveexec_b64 s[24:25], vcc
	s_cbranch_execz .LBB6_1933
; %bb.1928:                             ;   in Loop: Header=BB6_1481 Depth=2
	v_cmp_ne_u16_sdwa vcc, v24, s76 src0_sel:BYTE_0 src1_sel:DWORD
	v_bfrev_b32_e32 v3, 1
	s_and_saveexec_b64 s[60:61], vcc
	s_cbranch_execz .LBB6_1932
; %bb.1929:                             ;   in Loop: Header=BB6_1481 Depth=2
	v_bfe_u32 v28, v11, 16, 7
	v_cmp_ne_u32_e32 vcc, s75, v28
	v_mov_b32_e32 v3, 0x7f800001
	s_and_saveexec_b64 s[62:63], vcc
	s_cbranch_execz .LBB6_1931
; %bb.1930:                             ;   in Loop: Header=BB6_1481 Depth=2
	v_and_b32_e32 v3, 7, v24
	v_ffbh_u32_e32 v33, v3
	v_min_u32_e32 v33, 32, v33
	v_subrev_u32_e32 v34, 28, v33
	v_lshlrev_b64 v[34:35], v34, v[24:25]
	v_lshrrev_b32_e32 v29, 3, v28
	v_sub_u32_e32 v24, 29, v33
	v_and_b32_e32 v33, 7, v34
	v_cmp_gt_u32_e32 vcc, 8, v28
	v_cndmask_b32_e32 v24, v29, v24, vcc
	v_cndmask_b32_e32 v3, v3, v33, vcc
	v_lshlrev_b32_e32 v28, 8, v11
	v_lshlrev_b32_e32 v3, 20, v3
	v_and_b32_e32 v28, 0x80000000, v28
	v_lshl_add_u32 v24, v24, 23, v31
	v_or3_b32 v3, v28, v24, v3
.LBB6_1931:                             ;   in Loop: Header=BB6_1481 Depth=2
	s_or_b64 exec, exec, s[62:63]
.LBB6_1932:                             ;   in Loop: Header=BB6_1481 Depth=2
	s_or_b64 exec, exec, s[60:61]
.LBB6_1933:                             ;   in Loop: Header=BB6_1481 Depth=2
	s_or_b64 exec, exec, s[24:25]
	v_add_f32_e32 v24, v25, v3
	v_and_b32_sdwa v3, v24, s76 dst_sel:DWORD dst_unused:UNUSED_PAD src0_sel:BYTE_3 src1_sel:DWORD
	v_and_b32_e32 v28, 0x7f800000, v24
	v_mov_b32_e32 v29, v39
	v_and_b32_e32 v46, 0x7fffff, v24
	v_mov_b32_e32 v47, v39
	v_or_b32_e32 v25, 0x7e, v3
	v_cmp_ne_u64_e32 vcc, s[42:43], v[28:29]
	s_and_saveexec_b64 s[24:25], vcc
	s_xor_b64 s[60:61], exec, s[24:25]
	s_cbranch_execz .LBB6_1943
; %bb.1934:                             ;   in Loop: Header=BB6_1481 Depth=2
	v_and_b32_e32 v28, 0x7fffffff, v24
	v_mov_b32_e32 v29, v39
	v_cmp_gt_u64_e32 vcc, s[44:45], v[28:29]
	s_and_saveexec_b64 s[62:63], vcc
	s_cbranch_execz .LBB6_1942
; %bb.1935:                             ;   in Loop: Header=BB6_1481 Depth=2
	v_cmp_ne_u32_e32 vcc, 0, v24
	v_mov_b32_e32 v25, 0
	s_and_saveexec_b64 s[64:65], vcc
	s_cbranch_execz .LBB6_1941
; %bb.1936:                             ;   in Loop: Header=BB6_1481 Depth=2
	v_bfe_u32 v24, v24, 23, 8
	v_sub_u32_e32 v28, 0x79, v24
	v_cmp_gt_u32_e32 vcc, s77, v24
	v_cndmask_b32_e32 v28, 0, v28, vcc
	v_cmp_eq_u32_e32 vcc, 0, v24
	v_add_u32_e32 v25, 0xffffff81, v24
	v_or_b32_e32 v29, 0x800000, v46
	v_mov_b32_e32 v24, 0xffffff82
	v_cndmask_b32_e32 v28, v28, v20, vcc
	v_cndmask_b32_e32 v33, v25, v24, vcc
	;; [unrolled: 1-line block ×3, first 2 shown]
	v_add_u32_e32 v24, 20, v28
	v_lshlrev_b64 v[24:25], v24, -1
	v_add_u32_e32 v29, 19, v28
	v_lshrrev_b64 v[36:37], v28, v[46:47]
	v_not_b32_e32 v25, v25
	v_not_b32_e32 v24, v24
	v_lshlrev_b64 v[34:35], v29, 1
	v_lshrrev_b32_e32 v29, 23, v36
	v_and_b32_e32 v25, 0, v25
	v_and_b32_e32 v24, v46, v24
	v_add3_u32 v33, v28, v33, v29
	v_bfe_u32 v28, v36, 20, 1
	v_add_u32_e32 v28, -1, v28
	v_cmp_eq_u64_e32 vcc, v[24:25], v[34:35]
	v_cndmask_b32_e32 v24, 0, v28, vcc
	v_add_u32_e32 v24, v24, v36
	v_and_b32_e32 v24, 0xfffff, v24
	v_add_co_u32_e32 v24, vcc, v24, v36
	v_add_u32_e32 v29, 6, v33
	v_addc_co_u32_e32 v25, vcc, 0, v37, vcc
	v_cmp_ne_u32_e32 vcc, 0, v29
                                        ; implicit-def: $vgpr28
	s_and_saveexec_b64 s[24:25], vcc
	s_xor_b64 s[24:25], exec, s[24:25]
; %bb.1937:                             ;   in Loop: Header=BB6_1481 Depth=2
	v_add_u32_e32 v28, 7, v33
	v_cmp_lt_u64_e32 vcc, s[48:49], v[24:25]
	v_cndmask_b32_e32 v28, v29, v28, vcc
	v_cndmask_b32_e64 v29, 0, 1, vcc
	v_lshrrev_b64 v[24:25], v29, v[24:25]
; %bb.1938:                             ;   in Loop: Header=BB6_1481 Depth=2
	s_andn2_saveexec_b64 s[24:25], s[24:25]
; %bb.1939:                             ;   in Loop: Header=BB6_1481 Depth=2
	v_bfe_u32 v28, v24, 23, 1
; %bb.1940:                             ;   in Loop: Header=BB6_1481 Depth=2
	s_or_b64 exec, exec, s[24:25]
	v_lshrrev_b64 v[24:25], 20, v[24:25]
	v_cmp_gt_i32_e32 vcc, 16, v28
	v_cndmask_b32_e32 v25, 0, v25, vcc
	v_cndmask_b32_e32 v24, 7, v24, vcc
	v_cmp_eq_u64_e64 s[24:25], 0, v[24:25]
	v_min_i32_e32 v25, 15, v28
	v_lshlrev_b32_e32 v25, 3, v25
	v_cmp_eq_u32_e32 vcc, 0, v28
	v_and_b32_e32 v25, 0xf8, v25
	v_and_or_b32 v24, v24, 7, v25
	s_and_b64 s[24:25], vcc, s[24:25]
	v_cndmask_b32_e64 v24, v24, 0, s[24:25]
	v_or_b32_e32 v25, v24, v3
.LBB6_1941:                             ;   in Loop: Header=BB6_1481 Depth=2
	s_or_b64 exec, exec, s[64:65]
.LBB6_1942:                             ;   in Loop: Header=BB6_1481 Depth=2
	s_or_b64 exec, exec, s[62:63]
                                        ; implicit-def: $vgpr24
                                        ; implicit-def: $vgpr46_vgpr47
.LBB6_1943:                             ;   in Loop: Header=BB6_1481 Depth=2
	s_andn2_saveexec_b64 s[24:25], s[60:61]
; %bb.1944:                             ;   in Loop: Header=BB6_1481 Depth=2
	v_or_b32_sdwa v3, v24, s75 dst_sel:DWORD dst_unused:UNUSED_PAD src0_sel:BYTE_3 src1_sel:DWORD
	v_cmp_eq_u64_e32 vcc, 0, v[46:47]
	v_cndmask_b32_e32 v25, v3, v25, vcc
; %bb.1945:                             ;   in Loop: Header=BB6_1481 Depth=2
	s_or_b64 exec, exec, s[24:25]
	v_cmp_lt_u32_e32 vcc, s47, v38
	v_mov_b32_e32 v3, 0
	v_mov_b32_e32 v28, 0
	s_and_saveexec_b64 s[24:25], vcc
	s_cbranch_execz .LBB6_1951
; %bb.1946:                             ;   in Loop: Header=BB6_1481 Depth=2
	v_lshrrev_b32_e32 v24, 24, v38
	v_cmp_ne_u32_sdwa vcc, v38, s76 src0_sel:BYTE_3 src1_sel:DWORD
	v_bfrev_b32_e32 v28, 1
	s_and_saveexec_b64 s[60:61], vcc
	s_cbranch_execz .LBB6_1950
; %bb.1947:                             ;   in Loop: Header=BB6_1481 Depth=2
	v_bfe_u32 v29, v38, 24, 7
	v_cmp_ne_u32_e32 vcc, s75, v29
	v_mov_b32_e32 v28, 0x7f800001
	s_and_saveexec_b64 s[62:63], vcc
	s_cbranch_execz .LBB6_1949
; %bb.1948:                             ;   in Loop: Header=BB6_1481 Depth=2
	v_and_b32_e32 v28, 7, v24
	v_ffbh_u32_e32 v34, v28
	v_min_u32_e32 v36, 32, v34
	v_subrev_u32_e32 v34, 28, v36
	v_lshlrev_b64 v[34:35], v34, v[24:25]
	v_lshrrev_b32_e32 v33, 3, v29
	v_sub_u32_e32 v24, 29, v36
	v_and_b32_e32 v34, 7, v34
	v_cmp_gt_u32_e32 vcc, 8, v29
	v_mov_b32_e32 v29, 24
	v_cndmask_b32_e32 v24, v33, v24, vcc
	v_cndmask_b32_e32 v28, v28, v34, vcc
	v_lshlrev_b32_sdwa v29, v29, v38 dst_sel:DWORD dst_unused:UNUSED_PAD src0_sel:DWORD src1_sel:BYTE_3
	v_lshlrev_b32_e32 v28, 20, v28
	v_and_b32_e32 v29, 0x80000000, v29
	v_lshl_add_u32 v24, v24, 23, v31
	v_or3_b32 v28, v29, v24, v28
.LBB6_1949:                             ;   in Loop: Header=BB6_1481 Depth=2
	s_or_b64 exec, exec, s[62:63]
.LBB6_1950:                             ;   in Loop: Header=BB6_1481 Depth=2
	s_or_b64 exec, exec, s[60:61]
.LBB6_1951:                             ;   in Loop: Header=BB6_1481 Depth=2
	s_or_b64 exec, exec, s[24:25]
	v_cmp_lt_u64_e32 vcc, s[46:47], v[10:11]
	s_and_saveexec_b64 s[24:25], vcc
	s_cbranch_execz .LBB6_1957
; %bb.1952:                             ;   in Loop: Header=BB6_1481 Depth=2
	v_lshrrev_b32_e32 v10, 24, v11
	v_cmp_ne_u32_e32 vcc, s76, v10
	v_bfrev_b32_e32 v3, 1
	s_and_saveexec_b64 s[60:61], vcc
	s_cbranch_execz .LBB6_1956
; %bb.1953:                             ;   in Loop: Header=BB6_1481 Depth=2
	v_bfe_u32 v11, v11, 24, 7
	v_cmp_ne_u32_e32 vcc, s75, v11
	v_mov_b32_e32 v3, 0x7f800001
	s_and_saveexec_b64 s[62:63], vcc
	s_cbranch_execz .LBB6_1955
; %bb.1954:                             ;   in Loop: Header=BB6_1481 Depth=2
	v_and_b32_e32 v3, 7, v10
	v_ffbh_u32_e32 v29, v3
	v_min_u32_e32 v29, 32, v29
	v_subrev_u32_e32 v33, 28, v29
	v_lshlrev_b64 v[34:35], v33, v[10:11]
	v_lshrrev_b32_e32 v24, 3, v11
	v_sub_u32_e32 v29, 29, v29
	v_and_b32_e32 v33, 7, v34
	v_cmp_gt_u32_e32 vcc, 8, v11
	v_cndmask_b32_e32 v11, v24, v29, vcc
	v_cndmask_b32_e32 v3, v3, v33, vcc
	v_lshlrev_b32_e32 v10, 24, v10
	v_lshlrev_b32_e32 v3, 20, v3
	v_and_b32_e32 v10, 0x80000000, v10
	v_lshl_add_u32 v11, v11, 23, v31
	v_or3_b32 v3, v10, v11, v3
.LBB6_1955:                             ;   in Loop: Header=BB6_1481 Depth=2
	s_or_b64 exec, exec, s[62:63]
.LBB6_1956:                             ;   in Loop: Header=BB6_1481 Depth=2
	s_or_b64 exec, exec, s[60:61]
.LBB6_1957:                             ;   in Loop: Header=BB6_1481 Depth=2
	s_or_b64 exec, exec, s[24:25]
	v_add_f32_e32 v10, v28, v3
	v_and_b32_sdwa v3, v10, s76 dst_sel:DWORD dst_unused:UNUSED_PAD src0_sel:BYTE_3 src1_sel:DWORD
	v_and_b32_e32 v28, 0x7f800000, v10
	v_mov_b32_e32 v29, v39
	v_and_b32_e32 v38, 0x7fffff, v10
	v_or_b32_e32 v24, 0x7e, v3
	v_cmp_ne_u64_e32 vcc, s[42:43], v[28:29]
	s_and_saveexec_b64 s[24:25], vcc
	s_xor_b64 s[60:61], exec, s[24:25]
	s_cbranch_execz .LBB6_1967
; %bb.1958:                             ;   in Loop: Header=BB6_1481 Depth=2
	v_and_b32_e32 v28, 0x7fffffff, v10
	v_mov_b32_e32 v29, v39
	v_cmp_gt_u64_e32 vcc, s[44:45], v[28:29]
	s_and_saveexec_b64 s[62:63], vcc
	s_cbranch_execz .LBB6_1966
; %bb.1959:                             ;   in Loop: Header=BB6_1481 Depth=2
	v_cmp_ne_u32_e32 vcc, 0, v10
	v_mov_b32_e32 v24, 0
	s_and_saveexec_b64 s[64:65], vcc
	s_cbranch_execz .LBB6_1965
; %bb.1960:                             ;   in Loop: Header=BB6_1481 Depth=2
	v_bfe_u32 v10, v10, 23, 8
	v_sub_u32_e32 v24, 0x79, v10
	v_cmp_gt_u32_e32 vcc, s77, v10
	v_cndmask_b32_e32 v24, 0, v24, vcc
	v_cmp_eq_u32_e32 vcc, 0, v10
	v_add_u32_e32 v11, 0xffffff81, v10
	v_or_b32_e32 v28, 0x800000, v38
	v_mov_b32_e32 v10, 0xffffff82
	v_cndmask_b32_e32 v24, v24, v20, vcc
	v_cndmask_b32_e32 v29, v11, v10, vcc
	;; [unrolled: 1-line block ×3, first 2 shown]
	v_add_u32_e32 v10, 20, v24
	v_lshlrev_b64 v[10:11], v10, -1
	v_add_u32_e32 v28, 19, v24
	v_lshrrev_b64 v[36:37], v24, v[38:39]
	v_not_b32_e32 v11, v11
	v_not_b32_e32 v10, v10
	v_lshlrev_b64 v[34:35], v28, 1
	v_lshrrev_b32_e32 v28, 23, v36
	v_and_b32_e32 v11, 0, v11
	v_and_b32_e32 v10, v38, v10
	v_add3_u32 v29, v24, v29, v28
	v_bfe_u32 v24, v36, 20, 1
	v_add_u32_e32 v24, -1, v24
	v_cmp_eq_u64_e32 vcc, v[10:11], v[34:35]
	v_cndmask_b32_e32 v10, 0, v24, vcc
	v_add_u32_e32 v10, v10, v36
	v_and_b32_e32 v10, 0xfffff, v10
	v_add_co_u32_e32 v10, vcc, v10, v36
	v_add_u32_e32 v28, 6, v29
	v_addc_co_u32_e32 v11, vcc, 0, v37, vcc
	v_cmp_ne_u32_e32 vcc, 0, v28
                                        ; implicit-def: $vgpr24
	s_and_saveexec_b64 s[24:25], vcc
	s_xor_b64 s[24:25], exec, s[24:25]
; %bb.1961:                             ;   in Loop: Header=BB6_1481 Depth=2
	v_add_u32_e32 v24, 7, v29
	v_cmp_lt_u64_e32 vcc, s[48:49], v[10:11]
	v_cndmask_b32_e32 v24, v28, v24, vcc
	v_cndmask_b32_e64 v28, 0, 1, vcc
	v_lshrrev_b64 v[10:11], v28, v[10:11]
; %bb.1962:                             ;   in Loop: Header=BB6_1481 Depth=2
	s_andn2_saveexec_b64 s[24:25], s[24:25]
; %bb.1963:                             ;   in Loop: Header=BB6_1481 Depth=2
	v_bfe_u32 v24, v10, 23, 1
; %bb.1964:                             ;   in Loop: Header=BB6_1481 Depth=2
	s_or_b64 exec, exec, s[24:25]
	v_lshrrev_b64 v[10:11], 20, v[10:11]
	v_cmp_gt_i32_e32 vcc, 16, v24
	v_cndmask_b32_e32 v11, 0, v11, vcc
	v_cndmask_b32_e32 v10, 7, v10, vcc
	v_cmp_eq_u64_e64 s[24:25], 0, v[10:11]
	v_min_i32_e32 v11, 15, v24
	v_lshlrev_b32_e32 v11, 3, v11
	v_cmp_eq_u32_e32 vcc, 0, v24
	v_and_b32_e32 v11, 0xf8, v11
	v_and_or_b32 v10, v10, 7, v11
	s_and_b64 s[24:25], vcc, s[24:25]
	v_cndmask_b32_e64 v10, v10, 0, s[24:25]
	v_or_b32_e32 v24, v10, v3
.LBB6_1965:                             ;   in Loop: Header=BB6_1481 Depth=2
	s_or_b64 exec, exec, s[64:65]
.LBB6_1966:                             ;   in Loop: Header=BB6_1481 Depth=2
	s_or_b64 exec, exec, s[62:63]
                                        ; implicit-def: $vgpr10
.LBB6_1967:                             ;   in Loop: Header=BB6_1481 Depth=2
	s_andn2_saveexec_b64 s[24:25], s[60:61]
; %bb.1968:                             ;   in Loop: Header=BB6_1481 Depth=2
	v_or_b32_sdwa v3, v10, s75 dst_sel:DWORD dst_unused:UNUSED_PAD src0_sel:BYTE_3 src1_sel:DWORD
	v_cmp_eq_u64_e32 vcc, 0, v[38:39]
	v_cndmask_b32_e32 v24, v3, v24, vcc
; %bb.1969:                             ;   in Loop: Header=BB6_1481 Depth=2
	s_or_b64 exec, exec, s[24:25]
	v_lshlrev_b32_e32 v3, 8, v26
	v_cmp_ne_u16_sdwa vcc, v15, v39 src0_sel:BYTE_0 src1_sel:DWORD
	v_mov_b32_e32 v10, 0
	v_mov_b32_e32 v11, 0
	s_and_saveexec_b64 s[24:25], vcc
	s_cbranch_execz .LBB6_1975
; %bb.1970:                             ;   in Loop: Header=BB6_1481 Depth=2
	v_cmp_ne_u16_sdwa vcc, v15, s76 src0_sel:BYTE_0 src1_sel:DWORD
	v_bfrev_b32_e32 v11, 1
	s_and_saveexec_b64 s[60:61], vcc
	s_cbranch_execz .LBB6_1974
; %bb.1971:                             ;   in Loop: Header=BB6_1481 Depth=2
	v_and_b32_e32 v26, 0x7f, v15
	v_cmp_ne_u32_e32 vcc, s75, v26
	v_mov_b32_e32 v11, 0x7f800001
	s_and_saveexec_b64 s[62:63], vcc
	s_cbranch_execz .LBB6_1973
; %bb.1972:                             ;   in Loop: Header=BB6_1481 Depth=2
	v_and_b32_e32 v11, 7, v15
	v_ffbh_u32_e32 v11, v11
	v_min_u32_e32 v11, 32, v11
	v_subrev_u32_e32 v33, 28, v11
	v_cmp_gt_u32_e32 vcc, 8, v26
	v_lshrrev_b32_e32 v29, 3, v26
	v_perm_b32 v28, v3, v15, s78
	v_sub_u32_e32 v11, 29, v11
	v_cndmask_b32_e32 v26, 0, v33, vcc
	v_cndmask_b32_e32 v11, v29, v11, vcc
	v_lshlrev_b64 v[28:29], v26, v[28:29]
	v_lshlrev_b32_e32 v26, 20, v28
	v_lshlrev_b32_e32 v15, 24, v15
	v_and_b32_e32 v26, 0x700000, v26
	v_and_b32_e32 v15, 0x80000000, v15
	v_lshl_add_u32 v11, v11, 23, v31
	v_or3_b32 v11, v15, v11, v26
.LBB6_1973:                             ;   in Loop: Header=BB6_1481 Depth=2
	s_or_b64 exec, exec, s[62:63]
.LBB6_1974:                             ;   in Loop: Header=BB6_1481 Depth=2
	s_or_b64 exec, exec, s[60:61]
.LBB6_1975:                             ;   in Loop: Header=BB6_1481 Depth=2
	s_or_b64 exec, exec, s[24:25]
	v_cmp_ne_u16_sdwa vcc, v12, v39 src0_sel:BYTE_0 src1_sel:DWORD
	s_and_saveexec_b64 s[24:25], vcc
	s_cbranch_execz .LBB6_1981
; %bb.1976:                             ;   in Loop: Header=BB6_1481 Depth=2
	v_cmp_ne_u16_sdwa vcc, v12, s76 src0_sel:BYTE_0 src1_sel:DWORD
	v_bfrev_b32_e32 v10, 1
	s_and_saveexec_b64 s[60:61], vcc
	s_cbranch_execz .LBB6_1980
; %bb.1977:                             ;   in Loop: Header=BB6_1481 Depth=2
	v_and_b32_e32 v15, 0x7f, v12
	v_cmp_ne_u32_e32 vcc, s75, v15
	v_mov_b32_e32 v10, 0x7f800001
	s_and_saveexec_b64 s[62:63], vcc
	s_cbranch_execz .LBB6_1979
; %bb.1978:                             ;   in Loop: Header=BB6_1481 Depth=2
	v_and_b32_e32 v10, 7, v12
	v_ffbh_u32_e32 v10, v10
	v_min_u32_e32 v10, 32, v10
	v_subrev_u32_e32 v28, 28, v10
	v_cmp_gt_u32_e32 vcc, 8, v15
	v_lshrrev_b32_e32 v26, 3, v15
	v_cndmask_b32_e32 v15, 0, v28, vcc
	v_sub_u32_e32 v10, 29, v10
	v_lshlrev_b64 v[28:29], v15, v[12:13]
	v_cndmask_b32_e32 v10, v26, v10, vcc
	v_lshlrev_b32_e32 v15, 20, v28
	v_lshlrev_b32_e32 v26, 24, v12
	v_and_b32_e32 v15, 0x700000, v15
	v_and_b32_e32 v26, 0x80000000, v26
	v_lshl_add_u32 v10, v10, 23, v31
	v_or3_b32 v10, v26, v10, v15
.LBB6_1979:                             ;   in Loop: Header=BB6_1481 Depth=2
	s_or_b64 exec, exec, s[62:63]
.LBB6_1980:                             ;   in Loop: Header=BB6_1481 Depth=2
	s_or_b64 exec, exec, s[60:61]
.LBB6_1981:                             ;   in Loop: Header=BB6_1481 Depth=2
	s_or_b64 exec, exec, s[24:25]
	v_add_f32_e32 v10, v11, v10
	v_and_b32_sdwa v26, v10, s76 dst_sel:DWORD dst_unused:UNUSED_PAD src0_sel:BYTE_3 src1_sel:DWORD
	v_and_b32_e32 v28, 0x7f800000, v10
	v_mov_b32_e32 v29, v39
	v_and_b32_e32 v38, 0x7fffff, v10
	v_or_b32_e32 v15, 0x7e, v26
	v_cmp_ne_u64_e32 vcc, s[42:43], v[28:29]
	s_and_saveexec_b64 s[24:25], vcc
	s_xor_b64 s[60:61], exec, s[24:25]
	s_cbranch_execz .LBB6_1991
; %bb.1982:                             ;   in Loop: Header=BB6_1481 Depth=2
	v_and_b32_e32 v28, 0x7fffffff, v10
	v_mov_b32_e32 v29, v39
	v_cmp_gt_u64_e32 vcc, s[44:45], v[28:29]
	s_and_saveexec_b64 s[62:63], vcc
	s_cbranch_execz .LBB6_1990
; %bb.1983:                             ;   in Loop: Header=BB6_1481 Depth=2
	v_cmp_ne_u32_e32 vcc, 0, v10
	v_mov_b32_e32 v15, 0
	s_and_saveexec_b64 s[64:65], vcc
	s_cbranch_execz .LBB6_1989
; %bb.1984:                             ;   in Loop: Header=BB6_1481 Depth=2
	v_bfe_u32 v10, v10, 23, 8
	v_sub_u32_e32 v15, 0x79, v10
	v_cmp_gt_u32_e32 vcc, s77, v10
	v_cndmask_b32_e32 v15, 0, v15, vcc
	v_cmp_eq_u32_e32 vcc, 0, v10
	v_add_u32_e32 v11, 0xffffff81, v10
	v_or_b32_e32 v28, 0x800000, v38
	v_mov_b32_e32 v10, 0xffffff82
	v_cndmask_b32_e32 v15, v15, v20, vcc
	v_cndmask_b32_e32 v29, v11, v10, vcc
	;; [unrolled: 1-line block ×3, first 2 shown]
	v_add_u32_e32 v10, 20, v15
	v_lshlrev_b64 v[10:11], v10, -1
	v_add_u32_e32 v28, 19, v15
	v_lshrrev_b64 v[36:37], v15, v[38:39]
	v_not_b32_e32 v11, v11
	v_not_b32_e32 v10, v10
	v_lshlrev_b64 v[34:35], v28, 1
	v_lshrrev_b32_e32 v28, 23, v36
	v_and_b32_e32 v11, 0, v11
	v_and_b32_e32 v10, v38, v10
	v_add3_u32 v29, v15, v29, v28
	v_bfe_u32 v15, v36, 20, 1
	v_add_u32_e32 v15, -1, v15
	v_cmp_eq_u64_e32 vcc, v[10:11], v[34:35]
	v_cndmask_b32_e32 v10, 0, v15, vcc
	v_add_u32_e32 v10, v10, v36
	v_and_b32_e32 v10, 0xfffff, v10
	v_add_co_u32_e32 v10, vcc, v10, v36
	v_add_u32_e32 v28, 6, v29
	v_addc_co_u32_e32 v11, vcc, 0, v37, vcc
	v_cmp_ne_u32_e32 vcc, 0, v28
                                        ; implicit-def: $vgpr15
	s_and_saveexec_b64 s[24:25], vcc
	s_xor_b64 s[24:25], exec, s[24:25]
; %bb.1985:                             ;   in Loop: Header=BB6_1481 Depth=2
	v_add_u32_e32 v15, 7, v29
	v_cmp_lt_u64_e32 vcc, s[48:49], v[10:11]
	v_cndmask_b32_e32 v15, v28, v15, vcc
	v_cndmask_b32_e64 v28, 0, 1, vcc
	v_lshrrev_b64 v[10:11], v28, v[10:11]
; %bb.1986:                             ;   in Loop: Header=BB6_1481 Depth=2
	s_andn2_saveexec_b64 s[24:25], s[24:25]
; %bb.1987:                             ;   in Loop: Header=BB6_1481 Depth=2
	v_bfe_u32 v15, v10, 23, 1
; %bb.1988:                             ;   in Loop: Header=BB6_1481 Depth=2
	s_or_b64 exec, exec, s[24:25]
	v_lshrrev_b64 v[10:11], 20, v[10:11]
	v_cmp_gt_i32_e32 vcc, 16, v15
	v_cndmask_b32_e32 v11, 0, v11, vcc
	v_cndmask_b32_e32 v10, 7, v10, vcc
	v_cmp_eq_u64_e64 s[24:25], 0, v[10:11]
	v_min_i32_e32 v11, 15, v15
	v_cmp_eq_u32_e32 vcc, 0, v15
	v_lshlrev_b32_e32 v11, 3, v11
	v_and_or_b32 v10, v10, 7, v11
	s_and_b64 s[24:25], vcc, s[24:25]
	v_cndmask_b32_e64 v10, v10, 0, s[24:25]
	v_or_b32_e32 v15, v10, v26
.LBB6_1989:                             ;   in Loop: Header=BB6_1481 Depth=2
	s_or_b64 exec, exec, s[64:65]
.LBB6_1990:                             ;   in Loop: Header=BB6_1481 Depth=2
	s_or_b64 exec, exec, s[62:63]
                                        ; implicit-def: $vgpr10
.LBB6_1991:                             ;   in Loop: Header=BB6_1481 Depth=2
	s_andn2_saveexec_b64 s[24:25], s[60:61]
; %bb.1992:                             ;   in Loop: Header=BB6_1481 Depth=2
	v_or_b32_sdwa v10, v10, s75 dst_sel:DWORD dst_unused:UNUSED_PAD src0_sel:BYTE_3 src1_sel:DWORD
	v_cmp_eq_u64_e32 vcc, 0, v[38:39]
	v_cndmask_b32_e32 v15, v10, v15, vcc
; %bb.1993:                             ;   in Loop: Header=BB6_1481 Depth=2
	s_or_b64 exec, exec, s[24:25]
	v_lshrrev_b16_e32 v10, 8, v3
	v_cmp_ne_u16_e32 vcc, 0, v10
	v_mov_b32_e32 v11, 0
	v_mov_b32_e32 v26, 0
	s_and_saveexec_b64 s[24:25], vcc
	s_cbranch_execz .LBB6_1999
; %bb.1994:                             ;   in Loop: Header=BB6_1481 Depth=2
	v_cmp_ne_u16_e32 vcc, s76, v10
	v_bfrev_b32_e32 v26, 1
	s_and_saveexec_b64 s[60:61], vcc
	s_cbranch_execz .LBB6_1998
; %bb.1995:                             ;   in Loop: Header=BB6_1481 Depth=2
	v_and_b32_e32 v28, 0x7f, v10
	v_cmp_ne_u32_e32 vcc, s75, v28
	v_mov_b32_e32 v26, 0x7f800001
	s_and_saveexec_b64 s[62:63], vcc
	s_cbranch_execz .LBB6_1997
; %bb.1996:                             ;   in Loop: Header=BB6_1481 Depth=2
	v_and_b32_e32 v26, 7, v10
	v_ffbh_u32_e32 v33, v26
	v_min_u32_e32 v33, 32, v33
	v_subrev_u32_e32 v34, 28, v33
	v_lshlrev_b64 v[34:35], v34, v[10:11]
	v_lshrrev_b32_e32 v29, 3, v28
	v_sub_u32_e32 v10, 29, v33
	v_and_b32_e32 v33, 7, v34
	v_cmp_gt_u32_e32 vcc, 8, v28
	v_cndmask_b32_e32 v10, v29, v10, vcc
	v_cndmask_b32_e32 v26, v26, v33, vcc
	v_lshlrev_b32_e32 v3, 16, v3
	v_lshlrev_b32_e32 v26, 20, v26
	v_and_b32_e32 v3, 0x80000000, v3
	v_lshl_add_u32 v10, v10, 23, v31
	v_or3_b32 v26, v3, v10, v26
.LBB6_1997:                             ;   in Loop: Header=BB6_1481 Depth=2
	s_or_b64 exec, exec, s[62:63]
.LBB6_1998:                             ;   in Loop: Header=BB6_1481 Depth=2
	s_or_b64 exec, exec, s[60:61]
.LBB6_1999:                             ;   in Loop: Header=BB6_1481 Depth=2
	s_or_b64 exec, exec, s[24:25]
	v_lshrrev_b16_e32 v10, 8, v12
	v_cmp_ne_u16_e32 vcc, 0, v10
	s_and_saveexec_b64 s[24:25], vcc
	s_cbranch_execz .LBB6_2005
; %bb.2000:                             ;   in Loop: Header=BB6_1481 Depth=2
	v_cmp_ne_u16_e32 vcc, s76, v10
	v_bfrev_b32_e32 v11, 1
	s_and_saveexec_b64 s[60:61], vcc
	s_cbranch_execz .LBB6_2004
; %bb.2001:                             ;   in Loop: Header=BB6_1481 Depth=2
	v_and_b32_e32 v3, 0x7f, v10
	v_cmp_ne_u32_e32 vcc, s75, v3
	v_mov_b32_e32 v11, 0x7f800001
	s_and_saveexec_b64 s[62:63], vcc
	s_cbranch_execz .LBB6_2003
; %bb.2002:                             ;   in Loop: Header=BB6_1481 Depth=2
	v_and_b32_e32 v28, 7, v10
	v_ffbh_u32_e32 v11, v28
	v_min_u32_e32 v33, 32, v11
	v_subrev_u32_e32 v11, 28, v33
	v_lshlrev_b64 v[10:11], v11, v[10:11]
	v_lshrrev_b32_e32 v29, 3, v3
	v_sub_u32_e32 v11, 29, v33
	v_and_b32_e32 v10, 7, v10
	v_cmp_gt_u32_e32 vcc, 8, v3
	v_cndmask_b32_e32 v3, v29, v11, vcc
	v_cndmask_b32_e32 v10, v28, v10, vcc
	v_lshlrev_b32_e32 v11, 16, v12
	v_lshlrev_b32_e32 v10, 20, v10
	v_and_b32_e32 v11, 0x80000000, v11
	v_lshl_add_u32 v3, v3, 23, v31
	v_or3_b32 v11, v11, v3, v10
.LBB6_2003:                             ;   in Loop: Header=BB6_1481 Depth=2
	s_or_b64 exec, exec, s[62:63]
.LBB6_2004:                             ;   in Loop: Header=BB6_1481 Depth=2
	s_or_b64 exec, exec, s[60:61]
.LBB6_2005:                             ;   in Loop: Header=BB6_1481 Depth=2
	s_or_b64 exec, exec, s[24:25]
	v_add_f32_e32 v10, v26, v11
	v_and_b32_sdwa v3, v10, s76 dst_sel:DWORD dst_unused:UNUSED_PAD src0_sel:BYTE_3 src1_sel:DWORD
	v_and_b32_e32 v28, 0x7f800000, v10
	v_mov_b32_e32 v29, v39
	v_and_b32_e32 v38, 0x7fffff, v10
	v_or_b32_e32 v11, 0x7e, v3
	v_cmp_ne_u64_e32 vcc, s[42:43], v[28:29]
	s_and_saveexec_b64 s[24:25], vcc
	s_xor_b64 s[60:61], exec, s[24:25]
	s_cbranch_execz .LBB6_2015
; %bb.2006:                             ;   in Loop: Header=BB6_1481 Depth=2
	v_and_b32_e32 v28, 0x7fffffff, v10
	v_mov_b32_e32 v29, v39
	v_cmp_gt_u64_e32 vcc, s[44:45], v[28:29]
	s_and_saveexec_b64 s[62:63], vcc
	s_cbranch_execz .LBB6_2014
; %bb.2007:                             ;   in Loop: Header=BB6_1481 Depth=2
	v_cmp_ne_u32_e32 vcc, 0, v10
	v_mov_b32_e32 v11, 0
	s_and_saveexec_b64 s[64:65], vcc
	s_cbranch_execz .LBB6_2013
; %bb.2008:                             ;   in Loop: Header=BB6_1481 Depth=2
	v_bfe_u32 v10, v10, 23, 8
	v_sub_u32_e32 v26, 0x79, v10
	v_cmp_gt_u32_e32 vcc, s77, v10
	v_cndmask_b32_e32 v26, 0, v26, vcc
	v_cmp_eq_u32_e32 vcc, 0, v10
	v_add_u32_e32 v11, 0xffffff81, v10
	v_or_b32_e32 v28, 0x800000, v38
	v_mov_b32_e32 v10, 0xffffff82
	v_cndmask_b32_e32 v26, v26, v20, vcc
	v_cndmask_b32_e32 v29, v11, v10, vcc
	;; [unrolled: 1-line block ×3, first 2 shown]
	v_add_u32_e32 v10, 20, v26
	v_lshlrev_b64 v[10:11], v10, -1
	v_add_u32_e32 v28, 19, v26
	v_lshrrev_b64 v[36:37], v26, v[38:39]
	v_not_b32_e32 v11, v11
	v_not_b32_e32 v10, v10
	v_lshlrev_b64 v[34:35], v28, 1
	v_lshrrev_b32_e32 v28, 23, v36
	v_and_b32_e32 v11, 0, v11
	v_and_b32_e32 v10, v38, v10
	v_add3_u32 v29, v26, v29, v28
	v_bfe_u32 v26, v36, 20, 1
	v_add_u32_e32 v26, -1, v26
	v_cmp_eq_u64_e32 vcc, v[10:11], v[34:35]
	v_cndmask_b32_e32 v10, 0, v26, vcc
	v_add_u32_e32 v10, v10, v36
	v_and_b32_e32 v10, 0xfffff, v10
	v_add_co_u32_e32 v10, vcc, v10, v36
	v_add_u32_e32 v28, 6, v29
	v_addc_co_u32_e32 v11, vcc, 0, v37, vcc
	v_cmp_ne_u32_e32 vcc, 0, v28
                                        ; implicit-def: $vgpr26
	s_and_saveexec_b64 s[24:25], vcc
	s_xor_b64 s[24:25], exec, s[24:25]
; %bb.2009:                             ;   in Loop: Header=BB6_1481 Depth=2
	v_add_u32_e32 v26, 7, v29
	v_cmp_lt_u64_e32 vcc, s[48:49], v[10:11]
	v_cndmask_b32_e32 v26, v28, v26, vcc
	v_cndmask_b32_e64 v28, 0, 1, vcc
	v_lshrrev_b64 v[10:11], v28, v[10:11]
; %bb.2010:                             ;   in Loop: Header=BB6_1481 Depth=2
	s_andn2_saveexec_b64 s[24:25], s[24:25]
; %bb.2011:                             ;   in Loop: Header=BB6_1481 Depth=2
	v_bfe_u32 v26, v10, 23, 1
; %bb.2012:                             ;   in Loop: Header=BB6_1481 Depth=2
	s_or_b64 exec, exec, s[24:25]
	v_lshrrev_b64 v[10:11], 20, v[10:11]
	v_cmp_gt_i32_e32 vcc, 16, v26
	v_cndmask_b32_e32 v11, 0, v11, vcc
	v_cndmask_b32_e32 v10, 7, v10, vcc
	v_cmp_eq_u64_e64 s[24:25], 0, v[10:11]
	v_min_i32_e32 v11, 15, v26
	v_cmp_eq_u32_e32 vcc, 0, v26
	v_lshlrev_b32_e32 v11, 3, v11
	v_and_or_b32 v10, v10, 7, v11
	s_and_b64 s[24:25], vcc, s[24:25]
	v_cndmask_b32_e64 v10, v10, 0, s[24:25]
	v_or_b32_e32 v11, v10, v3
.LBB6_2013:                             ;   in Loop: Header=BB6_1481 Depth=2
	s_or_b64 exec, exec, s[64:65]
.LBB6_2014:                             ;   in Loop: Header=BB6_1481 Depth=2
	s_or_b64 exec, exec, s[62:63]
                                        ; implicit-def: $vgpr10
.LBB6_2015:                             ;   in Loop: Header=BB6_1481 Depth=2
	s_andn2_saveexec_b64 s[24:25], s[60:61]
; %bb.2016:                             ;   in Loop: Header=BB6_1481 Depth=2
	v_or_b32_sdwa v3, v10, s75 dst_sel:DWORD dst_unused:UNUSED_PAD src0_sel:BYTE_3 src1_sel:DWORD
	v_cmp_eq_u64_e32 vcc, 0, v[38:39]
	v_cndmask_b32_e32 v11, v3, v11, vcc
; %bb.2017:                             ;   in Loop: Header=BB6_1481 Depth=2
	s_or_b64 exec, exec, s[24:25]
	v_cmp_ne_u16_sdwa vcc, v2, v39 src0_sel:BYTE_0 src1_sel:DWORD
	v_mov_b32_e32 v3, 0
	v_mov_b32_e32 v10, 0
	s_and_saveexec_b64 s[24:25], vcc
	s_cbranch_execz .LBB6_2023
; %bb.2018:                             ;   in Loop: Header=BB6_1481 Depth=2
	v_cmp_ne_u16_sdwa vcc, v2, s76 src0_sel:BYTE_0 src1_sel:DWORD
	v_bfrev_b32_e32 v10, 1
	s_and_saveexec_b64 s[60:61], vcc
	s_cbranch_execz .LBB6_2022
; %bb.2019:                             ;   in Loop: Header=BB6_1481 Depth=2
	v_and_b32_e32 v26, 0x7f, v2
	v_cmp_ne_u32_e32 vcc, s75, v26
	v_mov_b32_e32 v10, 0x7f800001
	s_and_saveexec_b64 s[62:63], vcc
	s_cbranch_execz .LBB6_2021
; %bb.2020:                             ;   in Loop: Header=BB6_1481 Depth=2
	v_and_b32_e32 v10, 7, v2
	v_ffbh_u32_e32 v28, v10
	v_min_u32_e32 v34, 32, v28
	v_subrev_u32_e32 v28, 28, v34
	v_lshlrev_b64 v[28:29], v28, v[2:3]
	v_lshrrev_b32_e32 v33, 3, v26
	v_sub_u32_e32 v29, 29, v34
	v_and_b32_e32 v28, 7, v28
	v_cmp_gt_u32_e32 vcc, 8, v26
	v_cndmask_b32_e32 v26, v33, v29, vcc
	v_cndmask_b32_e32 v10, v10, v28, vcc
	v_lshlrev_b32_e32 v2, 24, v2
	v_lshlrev_b32_e32 v10, 20, v10
	v_and_b32_e32 v2, 0x80000000, v2
	v_lshl_add_u32 v26, v26, 23, v31
	v_or3_b32 v10, v2, v26, v10
.LBB6_2021:                             ;   in Loop: Header=BB6_1481 Depth=2
	s_or_b64 exec, exec, s[62:63]
.LBB6_2022:                             ;   in Loop: Header=BB6_1481 Depth=2
	s_or_b64 exec, exec, s[60:61]
.LBB6_2023:                             ;   in Loop: Header=BB6_1481 Depth=2
	s_or_b64 exec, exec, s[24:25]
	v_lshrrev_b32_e32 v2, 16, v12
	v_cmp_ne_u16_sdwa vcc, v2, v39 src0_sel:BYTE_0 src1_sel:DWORD
	s_and_saveexec_b64 s[24:25], vcc
	s_cbranch_execz .LBB6_2029
; %bb.2024:                             ;   in Loop: Header=BB6_1481 Depth=2
	v_cmp_ne_u16_sdwa vcc, v2, s76 src0_sel:BYTE_0 src1_sel:DWORD
	v_bfrev_b32_e32 v3, 1
	s_and_saveexec_b64 s[60:61], vcc
	s_cbranch_execz .LBB6_2028
; %bb.2025:                             ;   in Loop: Header=BB6_1481 Depth=2
	v_bfe_u32 v26, v12, 16, 7
	v_cmp_ne_u32_e32 vcc, s75, v26
	v_mov_b32_e32 v3, 0x7f800001
	s_and_saveexec_b64 s[62:63], vcc
	s_cbranch_execz .LBB6_2027
; %bb.2026:                             ;   in Loop: Header=BB6_1481 Depth=2
	v_and_b32_e32 v28, 7, v2
	v_ffbh_u32_e32 v3, v28
	v_min_u32_e32 v33, 32, v3
	v_subrev_u32_e32 v3, 28, v33
	v_lshlrev_b64 v[2:3], v3, v[2:3]
	v_lshrrev_b32_e32 v29, 3, v26
	v_sub_u32_e32 v3, 29, v33
	v_and_b32_e32 v2, 7, v2
	v_cmp_gt_u32_e32 vcc, 8, v26
	v_cndmask_b32_e32 v3, v29, v3, vcc
	v_cndmask_b32_e32 v2, v28, v2, vcc
	v_lshlrev_b32_e32 v26, 8, v12
	v_lshlrev_b32_e32 v2, 20, v2
	v_and_b32_e32 v26, 0x80000000, v26
	v_lshl_add_u32 v3, v3, 23, v31
	v_or3_b32 v3, v26, v3, v2
.LBB6_2027:                             ;   in Loop: Header=BB6_1481 Depth=2
	s_or_b64 exec, exec, s[62:63]
.LBB6_2028:                             ;   in Loop: Header=BB6_1481 Depth=2
	s_or_b64 exec, exec, s[60:61]
.LBB6_2029:                             ;   in Loop: Header=BB6_1481 Depth=2
	s_or_b64 exec, exec, s[24:25]
	v_add_f32_e32 v2, v10, v3
	v_and_b32_sdwa v10, v2, s76 dst_sel:DWORD dst_unused:UNUSED_PAD src0_sel:BYTE_3 src1_sel:DWORD
	v_and_b32_e32 v28, 0x7f800000, v2
	v_mov_b32_e32 v29, v39
	v_and_b32_e32 v38, 0x7fffff, v2
	v_or_b32_e32 v26, 0x7e, v10
	v_cmp_ne_u64_e32 vcc, s[42:43], v[28:29]
	s_and_saveexec_b64 s[24:25], vcc
	s_xor_b64 s[60:61], exec, s[24:25]
	s_cbranch_execz .LBB6_2039
; %bb.2030:                             ;   in Loop: Header=BB6_1481 Depth=2
	v_and_b32_e32 v28, 0x7fffffff, v2
	v_mov_b32_e32 v29, v39
	v_cmp_gt_u64_e32 vcc, s[44:45], v[28:29]
	s_and_saveexec_b64 s[62:63], vcc
	s_cbranch_execz .LBB6_2038
; %bb.2031:                             ;   in Loop: Header=BB6_1481 Depth=2
	v_cmp_ne_u32_e32 vcc, 0, v2
	v_mov_b32_e32 v26, 0
	s_and_saveexec_b64 s[64:65], vcc
	s_cbranch_execz .LBB6_2037
; %bb.2032:                             ;   in Loop: Header=BB6_1481 Depth=2
	v_bfe_u32 v2, v2, 23, 8
	v_sub_u32_e32 v26, 0x79, v2
	v_cmp_gt_u32_e32 vcc, s77, v2
	v_cndmask_b32_e32 v26, 0, v26, vcc
	v_cmp_eq_u32_e32 vcc, 0, v2
	v_add_u32_e32 v3, 0xffffff81, v2
	v_or_b32_e32 v28, 0x800000, v38
	v_mov_b32_e32 v2, 0xffffff82
	v_cndmask_b32_e32 v26, v26, v20, vcc
	v_cndmask_b32_e32 v29, v3, v2, vcc
	v_cndmask_b32_e32 v38, v28, v38, vcc
	v_add_u32_e32 v2, 20, v26
	v_lshlrev_b64 v[2:3], v2, -1
	v_add_u32_e32 v28, 19, v26
	v_lshrrev_b64 v[36:37], v26, v[38:39]
	v_not_b32_e32 v3, v3
	v_not_b32_e32 v2, v2
	v_lshlrev_b64 v[34:35], v28, 1
	v_lshrrev_b32_e32 v28, 23, v36
	v_and_b32_e32 v3, 0, v3
	v_and_b32_e32 v2, v38, v2
	v_add3_u32 v29, v26, v29, v28
	v_bfe_u32 v26, v36, 20, 1
	v_add_u32_e32 v26, -1, v26
	v_cmp_eq_u64_e32 vcc, v[2:3], v[34:35]
	v_cndmask_b32_e32 v2, 0, v26, vcc
	v_add_u32_e32 v2, v2, v36
	v_and_b32_e32 v2, 0xfffff, v2
	v_add_co_u32_e32 v2, vcc, v2, v36
	v_add_u32_e32 v28, 6, v29
	v_addc_co_u32_e32 v3, vcc, 0, v37, vcc
	v_cmp_ne_u32_e32 vcc, 0, v28
                                        ; implicit-def: $vgpr26
	s_and_saveexec_b64 s[24:25], vcc
	s_xor_b64 s[24:25], exec, s[24:25]
; %bb.2033:                             ;   in Loop: Header=BB6_1481 Depth=2
	v_add_u32_e32 v26, 7, v29
	v_cmp_lt_u64_e32 vcc, s[48:49], v[2:3]
	v_cndmask_b32_e32 v26, v28, v26, vcc
	v_cndmask_b32_e64 v28, 0, 1, vcc
	v_lshrrev_b64 v[2:3], v28, v[2:3]
; %bb.2034:                             ;   in Loop: Header=BB6_1481 Depth=2
	s_andn2_saveexec_b64 s[24:25], s[24:25]
; %bb.2035:                             ;   in Loop: Header=BB6_1481 Depth=2
	v_bfe_u32 v26, v2, 23, 1
; %bb.2036:                             ;   in Loop: Header=BB6_1481 Depth=2
	s_or_b64 exec, exec, s[24:25]
	v_lshrrev_b64 v[2:3], 20, v[2:3]
	v_cmp_gt_i32_e32 vcc, 16, v26
	v_cndmask_b32_e32 v3, 0, v3, vcc
	v_cndmask_b32_e32 v2, 7, v2, vcc
	v_cmp_eq_u64_e64 s[24:25], 0, v[2:3]
	v_min_i32_e32 v3, 15, v26
	v_cmp_eq_u32_e32 vcc, 0, v26
	v_lshlrev_b32_e32 v3, 3, v3
	v_and_or_b32 v2, v2, 7, v3
	s_and_b64 s[24:25], vcc, s[24:25]
	v_cndmask_b32_e64 v2, v2, 0, s[24:25]
	v_or_b32_e32 v26, v2, v10
.LBB6_2037:                             ;   in Loop: Header=BB6_1481 Depth=2
	s_or_b64 exec, exec, s[64:65]
.LBB6_2038:                             ;   in Loop: Header=BB6_1481 Depth=2
	s_or_b64 exec, exec, s[62:63]
                                        ; implicit-def: $vgpr2
.LBB6_2039:                             ;   in Loop: Header=BB6_1481 Depth=2
	s_andn2_saveexec_b64 s[24:25], s[60:61]
; %bb.2040:                             ;   in Loop: Header=BB6_1481 Depth=2
	v_or_b32_sdwa v2, v2, s75 dst_sel:DWORD dst_unused:UNUSED_PAD src0_sel:BYTE_3 src1_sel:DWORD
	v_cmp_eq_u64_e32 vcc, 0, v[38:39]
	v_cndmask_b32_e32 v26, v2, v26, vcc
; %bb.2041:                             ;   in Loop: Header=BB6_1481 Depth=2
	s_or_b64 exec, exec, s[24:25]
	v_lshlrev_b32_e32 v2, 8, v8
	v_and_b32_e32 v2, 0xff00, v2
	v_cmp_ne_u32_e32 vcc, 0, v2
	v_mov_b32_e32 v3, 0
	v_mov_b32_e32 v8, 0
	s_and_saveexec_b64 s[24:25], vcc
	s_cbranch_execz .LBB6_2047
; %bb.2042:                             ;   in Loop: Header=BB6_1481 Depth=2
	v_cmp_ne_u32_e32 vcc, s79, v2
	v_bfrev_b32_e32 v8, 1
	s_and_saveexec_b64 s[60:61], vcc
	s_cbranch_execz .LBB6_2046
; %bb.2043:                             ;   in Loop: Header=BB6_1481 Depth=2
	v_bfe_u32 v10, v2, 8, 7
	v_cmp_ne_u32_e32 vcc, s75, v10
	v_mov_b32_e32 v8, 0x7f800001
	s_and_saveexec_b64 s[62:63], vcc
	s_cbranch_execz .LBB6_2045
; %bb.2044:                             ;   in Loop: Header=BB6_1481 Depth=2
	v_lshrrev_b32_e32 v8, 8, v2
	v_and_b32_e32 v33, 7, v8
	v_ffbh_u32_e32 v28, v33
	v_min_u32_e32 v35, 32, v28
	v_subrev_u32_e32 v28, 28, v35
	v_lshlrev_b64 v[28:29], v28, v[8:9]
	v_lshrrev_b32_e32 v34, 3, v10
	v_sub_u32_e32 v8, 29, v35
	v_and_b32_e32 v28, 7, v28
	v_cmp_gt_u32_e32 vcc, 8, v10
	v_cndmask_b32_e32 v8, v34, v8, vcc
	v_cndmask_b32_e32 v10, v33, v28, vcc
	v_lshlrev_b32_e32 v2, 16, v2
	v_lshlrev_b32_e32 v10, 20, v10
	v_and_b32_e32 v2, 0x80000000, v2
	v_lshl_add_u32 v8, v8, 23, v31
	v_or3_b32 v8, v2, v8, v10
.LBB6_2045:                             ;   in Loop: Header=BB6_1481 Depth=2
	s_or_b64 exec, exec, s[62:63]
.LBB6_2046:                             ;   in Loop: Header=BB6_1481 Depth=2
	s_or_b64 exec, exec, s[60:61]
.LBB6_2047:                             ;   in Loop: Header=BB6_1481 Depth=2
	s_or_b64 exec, exec, s[24:25]
	v_cmp_lt_u32_e32 vcc, s47, v12
	s_and_saveexec_b64 s[24:25], vcc
	s_cbranch_execz .LBB6_2053
; %bb.2048:                             ;   in Loop: Header=BB6_1481 Depth=2
	v_lshrrev_b32_e32 v2, 24, v12
	v_cmp_ne_u32_e32 vcc, s76, v2
	v_bfrev_b32_e32 v3, 1
	s_and_saveexec_b64 s[60:61], vcc
	s_cbranch_execz .LBB6_2052
; %bb.2049:                             ;   in Loop: Header=BB6_1481 Depth=2
	v_bfe_u32 v10, v12, 24, 7
	v_cmp_ne_u32_e32 vcc, s75, v10
	v_mov_b32_e32 v3, 0x7f800001
	s_and_saveexec_b64 s[62:63], vcc
	s_cbranch_execz .LBB6_2051
; %bb.2050:                             ;   in Loop: Header=BB6_1481 Depth=2
	v_and_b32_e32 v3, 7, v2
	v_ffbh_u32_e32 v28, v3
	v_min_u32_e32 v34, 32, v28
	v_subrev_u32_e32 v28, 28, v34
	v_lshlrev_b64 v[28:29], v28, v[2:3]
	v_lshrrev_b32_e32 v33, 3, v10
	v_sub_u32_e32 v29, 29, v34
	v_and_b32_e32 v28, 7, v28
	v_cmp_gt_u32_e32 vcc, 8, v10
	v_cndmask_b32_e32 v10, v33, v29, vcc
	v_cndmask_b32_e32 v3, v3, v28, vcc
	v_lshlrev_b32_e32 v2, 24, v2
	v_lshlrev_b32_e32 v3, 20, v3
	v_and_b32_e32 v2, 0x80000000, v2
	v_lshl_add_u32 v10, v10, 23, v31
	v_or3_b32 v3, v2, v10, v3
.LBB6_2051:                             ;   in Loop: Header=BB6_1481 Depth=2
	s_or_b64 exec, exec, s[62:63]
.LBB6_2052:                             ;   in Loop: Header=BB6_1481 Depth=2
	s_or_b64 exec, exec, s[60:61]
.LBB6_2053:                             ;   in Loop: Header=BB6_1481 Depth=2
	s_or_b64 exec, exec, s[24:25]
	v_add_f32_e32 v2, v8, v3
	v_and_b32_sdwa v10, v2, s76 dst_sel:DWORD dst_unused:UNUSED_PAD src0_sel:BYTE_3 src1_sel:DWORD
	v_and_b32_e32 v28, 0x7f800000, v2
	v_mov_b32_e32 v29, v39
	v_and_b32_e32 v38, 0x7fffff, v2
	v_or_b32_e32 v8, 0x7e, v10
	v_cmp_ne_u64_e32 vcc, s[42:43], v[28:29]
	s_and_saveexec_b64 s[24:25], vcc
	s_xor_b64 s[60:61], exec, s[24:25]
	s_cbranch_execz .LBB6_2063
; %bb.2054:                             ;   in Loop: Header=BB6_1481 Depth=2
	v_and_b32_e32 v28, 0x7fffffff, v2
	v_mov_b32_e32 v29, v39
	v_cmp_gt_u64_e32 vcc, s[44:45], v[28:29]
	s_and_saveexec_b64 s[62:63], vcc
	s_cbranch_execz .LBB6_2062
; %bb.2055:                             ;   in Loop: Header=BB6_1481 Depth=2
	v_cmp_ne_u32_e32 vcc, 0, v2
	v_mov_b32_e32 v8, 0
	s_and_saveexec_b64 s[64:65], vcc
	s_cbranch_execz .LBB6_2061
; %bb.2056:                             ;   in Loop: Header=BB6_1481 Depth=2
	v_bfe_u32 v2, v2, 23, 8
	v_sub_u32_e32 v8, 0x79, v2
	v_cmp_gt_u32_e32 vcc, s77, v2
	v_cndmask_b32_e32 v8, 0, v8, vcc
	v_cmp_eq_u32_e32 vcc, 0, v2
	v_add_u32_e32 v3, 0xffffff81, v2
	v_or_b32_e32 v28, 0x800000, v38
	v_mov_b32_e32 v2, 0xffffff82
	v_cndmask_b32_e32 v8, v8, v20, vcc
	v_cndmask_b32_e32 v29, v3, v2, vcc
	;; [unrolled: 1-line block ×3, first 2 shown]
	v_add_u32_e32 v2, 20, v8
	v_lshlrev_b64 v[2:3], v2, -1
	v_add_u32_e32 v28, 19, v8
	v_lshrrev_b64 v[36:37], v8, v[38:39]
	v_not_b32_e32 v3, v3
	v_not_b32_e32 v2, v2
	v_lshlrev_b64 v[34:35], v28, 1
	v_lshrrev_b32_e32 v28, 23, v36
	v_and_b32_e32 v3, 0, v3
	v_and_b32_e32 v2, v38, v2
	v_add3_u32 v29, v8, v29, v28
	v_bfe_u32 v8, v36, 20, 1
	v_add_u32_e32 v8, -1, v8
	v_cmp_eq_u64_e32 vcc, v[2:3], v[34:35]
	v_cndmask_b32_e32 v2, 0, v8, vcc
	v_add_u32_e32 v2, v2, v36
	v_and_b32_e32 v2, 0xfffff, v2
	v_add_co_u32_e32 v2, vcc, v2, v36
	v_add_u32_e32 v28, 6, v29
	v_addc_co_u32_e32 v3, vcc, 0, v37, vcc
	v_cmp_ne_u32_e32 vcc, 0, v28
                                        ; implicit-def: $vgpr8
	s_and_saveexec_b64 s[24:25], vcc
	s_xor_b64 s[24:25], exec, s[24:25]
; %bb.2057:                             ;   in Loop: Header=BB6_1481 Depth=2
	v_add_u32_e32 v8, 7, v29
	v_cmp_lt_u64_e32 vcc, s[48:49], v[2:3]
	v_cndmask_b32_e32 v8, v28, v8, vcc
	v_cndmask_b32_e64 v28, 0, 1, vcc
	v_lshrrev_b64 v[2:3], v28, v[2:3]
; %bb.2058:                             ;   in Loop: Header=BB6_1481 Depth=2
	s_andn2_saveexec_b64 s[24:25], s[24:25]
; %bb.2059:                             ;   in Loop: Header=BB6_1481 Depth=2
	v_bfe_u32 v8, v2, 23, 1
; %bb.2060:                             ;   in Loop: Header=BB6_1481 Depth=2
	s_or_b64 exec, exec, s[24:25]
	v_lshrrev_b64 v[2:3], 20, v[2:3]
	v_cmp_gt_i32_e32 vcc, 16, v8
	v_cndmask_b32_e32 v3, 0, v3, vcc
	v_cndmask_b32_e32 v2, 7, v2, vcc
	v_cmp_eq_u64_e64 s[24:25], 0, v[2:3]
	v_min_i32_e32 v3, 15, v8
	v_cmp_eq_u32_e32 vcc, 0, v8
	v_lshlrev_b32_e32 v3, 3, v3
	v_and_or_b32 v2, v2, 7, v3
	s_and_b64 s[24:25], vcc, s[24:25]
	v_cndmask_b32_e64 v2, v2, 0, s[24:25]
	v_or_b32_e32 v8, v2, v10
.LBB6_2061:                             ;   in Loop: Header=BB6_1481 Depth=2
	s_or_b64 exec, exec, s[64:65]
.LBB6_2062:                             ;   in Loop: Header=BB6_1481 Depth=2
	s_or_b64 exec, exec, s[62:63]
                                        ; implicit-def: $vgpr2
.LBB6_2063:                             ;   in Loop: Header=BB6_1481 Depth=2
	s_andn2_saveexec_b64 s[24:25], s[60:61]
; %bb.2064:                             ;   in Loop: Header=BB6_1481 Depth=2
	v_or_b32_sdwa v2, v2, s75 dst_sel:DWORD dst_unused:UNUSED_PAD src0_sel:BYTE_3 src1_sel:DWORD
	v_cmp_eq_u64_e32 vcc, 0, v[38:39]
	v_cndmask_b32_e32 v8, v2, v8, vcc
; %bb.2065:                             ;   in Loop: Header=BB6_1481 Depth=2
	s_or_b64 exec, exec, s[24:25]
	v_lshlrev_b32_e32 v10, 8, v19
	v_lshlrev_b32_e32 v2, 24, v30
	v_perm_b32 v3, v23, v7, s80
	v_or3_b32 v38, v3, v2, v10
	v_cmp_ne_u16_sdwa vcc, v7, v39 src0_sel:BYTE_0 src1_sel:DWORD
	v_mov_b32_e32 v3, 0
	v_mov_b32_e32 v2, 0
	s_and_saveexec_b64 s[24:25], vcc
	s_cbranch_execz .LBB6_2071
; %bb.2066:                             ;   in Loop: Header=BB6_1481 Depth=2
	v_cmp_ne_u16_sdwa vcc, v7, s76 src0_sel:BYTE_0 src1_sel:DWORD
	v_bfrev_b32_e32 v2, 1
	s_and_saveexec_b64 s[60:61], vcc
	s_cbranch_execz .LBB6_2070
; %bb.2067:                             ;   in Loop: Header=BB6_1481 Depth=2
	v_and_b32_e32 v19, 0x7f, v7
	v_cmp_ne_u32_e32 vcc, s75, v19
	v_mov_b32_e32 v2, 0x7f800001
	s_and_saveexec_b64 s[62:63], vcc
	s_cbranch_execz .LBB6_2069
; %bb.2068:                             ;   in Loop: Header=BB6_1481 Depth=2
	v_and_b32_e32 v2, 7, v7
	v_ffbh_u32_e32 v2, v2
	v_min_u32_e32 v2, 32, v2
	v_lshrrev_b32_e32 v7, 3, v19
	v_subrev_u32_e32 v23, 28, v2
	v_sub_u32_e32 v2, 29, v2
	v_cmp_gt_u32_e32 vcc, 8, v19
	v_cndmask_b32_e32 v2, v7, v2, vcc
	v_cndmask_b32_e32 v7, 0, v23, vcc
	v_lshlrev_b64 v[28:29], v7, v[38:39]
	v_lshlrev_b32_e32 v7, 20, v28
	v_lshlrev_b32_e32 v19, 24, v38
	v_and_b32_e32 v7, 0x700000, v7
	v_and_b32_e32 v19, 0x80000000, v19
	v_lshl_add_u32 v2, v2, 23, v31
	v_or3_b32 v2, v19, v2, v7
.LBB6_2069:                             ;   in Loop: Header=BB6_1481 Depth=2
	s_or_b64 exec, exec, s[62:63]
.LBB6_2070:                             ;   in Loop: Header=BB6_1481 Depth=2
	s_or_b64 exec, exec, s[60:61]
.LBB6_2071:                             ;   in Loop: Header=BB6_1481 Depth=2
	s_or_b64 exec, exec, s[24:25]
	v_cmp_ne_u16_sdwa vcc, v13, v39 src0_sel:BYTE_0 src1_sel:DWORD
	s_and_saveexec_b64 s[24:25], vcc
	s_cbranch_execz .LBB6_2077
; %bb.2072:                             ;   in Loop: Header=BB6_1481 Depth=2
	v_cmp_ne_u16_sdwa vcc, v13, s76 src0_sel:BYTE_0 src1_sel:DWORD
	v_bfrev_b32_e32 v3, 1
	s_and_saveexec_b64 s[60:61], vcc
	s_cbranch_execz .LBB6_2076
; %bb.2073:                             ;   in Loop: Header=BB6_1481 Depth=2
	v_and_b32_e32 v7, 0x7f, v13
	v_cmp_ne_u32_e32 vcc, s75, v7
	v_mov_b32_e32 v3, 0x7f800001
	s_and_saveexec_b64 s[62:63], vcc
	s_cbranch_execz .LBB6_2075
; %bb.2074:                             ;   in Loop: Header=BB6_1481 Depth=2
	v_and_b32_e32 v3, 7, v13
	v_ffbh_u32_e32 v3, v3
	v_min_u32_e32 v3, 32, v3
	v_subrev_u32_e32 v23, 28, v3
	v_cmp_gt_u32_e32 vcc, 8, v7
	v_mov_b32_e32 v28, v13
	v_mov_b32_e32 v29, v39
	v_lshrrev_b32_e32 v19, 3, v7
	v_cndmask_b32_e32 v7, 0, v23, vcc
	v_sub_u32_e32 v3, 29, v3
	v_lshlrev_b64 v[34:35], v7, v[28:29]
	v_cndmask_b32_e32 v3, v19, v3, vcc
	v_lshlrev_b32_e32 v7, 20, v34
	v_lshlrev_b32_e32 v19, 24, v28
	v_and_b32_e32 v7, 0x700000, v7
	v_and_b32_e32 v19, 0x80000000, v19
	v_lshl_add_u32 v3, v3, 23, v31
	v_or3_b32 v3, v19, v3, v7
.LBB6_2075:                             ;   in Loop: Header=BB6_1481 Depth=2
	s_or_b64 exec, exec, s[62:63]
.LBB6_2076:                             ;   in Loop: Header=BB6_1481 Depth=2
	s_or_b64 exec, exec, s[60:61]
.LBB6_2077:                             ;   in Loop: Header=BB6_1481 Depth=2
	s_or_b64 exec, exec, s[24:25]
	v_add_f32_e32 v23, v2, v3
	v_and_b32_sdwa v19, v23, s76 dst_sel:DWORD dst_unused:UNUSED_PAD src0_sel:BYTE_3 src1_sel:DWORD
	v_and_b32_e32 v28, 0x7f800000, v23
	v_mov_b32_e32 v29, v39
	v_and_b32_e32 v2, 0x7fffff, v23
	v_mov_b32_e32 v3, v39
	v_or_b32_e32 v7, 0x7e, v19
	v_cmp_ne_u64_e32 vcc, s[42:43], v[28:29]
	s_and_saveexec_b64 s[24:25], vcc
	s_xor_b64 s[60:61], exec, s[24:25]
	s_cbranch_execz .LBB6_2087
; %bb.2078:                             ;   in Loop: Header=BB6_1481 Depth=2
	v_and_b32_e32 v28, 0x7fffffff, v23
	v_mov_b32_e32 v29, v39
	v_cmp_gt_u64_e32 vcc, s[44:45], v[28:29]
	s_and_saveexec_b64 s[62:63], vcc
	s_cbranch_execz .LBB6_2086
; %bb.2079:                             ;   in Loop: Header=BB6_1481 Depth=2
	v_cmp_ne_u32_e32 vcc, 0, v23
	v_mov_b32_e32 v7, 0
	s_and_saveexec_b64 s[64:65], vcc
	s_cbranch_execz .LBB6_2085
; %bb.2080:                             ;   in Loop: Header=BB6_1481 Depth=2
	v_bfe_u32 v7, v23, 23, 8
	v_sub_u32_e32 v28, 0x79, v7
	v_cmp_gt_u32_e32 vcc, s77, v7
	v_add_u32_e32 v23, 0xffffff81, v7
	v_cndmask_b32_e32 v28, 0, v28, vcc
	v_cmp_eq_u32_e32 vcc, 0, v7
	v_mov_b32_e32 v7, 0xffffff82
	v_cndmask_b32_e32 v7, v23, v7, vcc
	v_cndmask_b32_e32 v23, v28, v20, vcc
	v_or_b32_e32 v29, 0x800000, v2
	v_add_u32_e32 v28, 20, v23
	v_cndmask_b32_e32 v2, v29, v2, vcc
	v_lshlrev_b64 v[28:29], v28, -1
	v_not_b32_e32 v28, v28
	v_and_b32_e32 v34, v2, v28
	v_add_u32_e32 v28, 19, v23
	v_lshrrev_b64 v[2:3], v23, v[2:3]
	v_not_b32_e32 v29, v29
	v_lshlrev_b64 v[36:37], v28, 1
	v_lshrrev_b32_e32 v28, 23, v2
	v_and_b32_e32 v35, 0, v29
	v_add3_u32 v28, v23, v7, v28
	v_bfe_u32 v7, v2, 20, 1
	v_add_u32_e32 v7, -1, v7
	v_cmp_eq_u64_e32 vcc, v[34:35], v[36:37]
	v_cndmask_b32_e32 v7, 0, v7, vcc
	v_add_u32_e32 v7, v7, v2
	v_and_b32_e32 v7, 0xfffff, v7
	v_add_co_u32_e32 v2, vcc, v7, v2
	v_add_u32_e32 v23, 6, v28
	v_addc_co_u32_e32 v3, vcc, 0, v3, vcc
	v_cmp_ne_u32_e32 vcc, 0, v23
                                        ; implicit-def: $vgpr7
	s_and_saveexec_b64 s[24:25], vcc
	s_xor_b64 s[24:25], exec, s[24:25]
; %bb.2081:                             ;   in Loop: Header=BB6_1481 Depth=2
	v_add_u32_e32 v7, 7, v28
	v_cmp_lt_u64_e32 vcc, s[48:49], v[2:3]
	v_cndmask_b32_e32 v7, v23, v7, vcc
	v_cndmask_b32_e64 v23, 0, 1, vcc
	v_lshrrev_b64 v[2:3], v23, v[2:3]
; %bb.2082:                             ;   in Loop: Header=BB6_1481 Depth=2
	s_andn2_saveexec_b64 s[24:25], s[24:25]
; %bb.2083:                             ;   in Loop: Header=BB6_1481 Depth=2
	v_bfe_u32 v7, v2, 23, 1
; %bb.2084:                             ;   in Loop: Header=BB6_1481 Depth=2
	s_or_b64 exec, exec, s[24:25]
	v_lshrrev_b64 v[2:3], 20, v[2:3]
	v_cmp_gt_i32_e32 vcc, 16, v7
	v_cndmask_b32_e32 v3, 0, v3, vcc
	v_cndmask_b32_e32 v2, 7, v2, vcc
	v_cmp_eq_u64_e64 s[24:25], 0, v[2:3]
	v_min_i32_e32 v3, 15, v7
	v_cmp_eq_u32_e32 vcc, 0, v7
	v_lshlrev_b32_e32 v3, 3, v3
	v_and_or_b32 v2, v2, 7, v3
	s_and_b64 s[24:25], vcc, s[24:25]
	v_cndmask_b32_e64 v2, v2, 0, s[24:25]
	v_or_b32_e32 v7, v2, v19
.LBB6_2085:                             ;   in Loop: Header=BB6_1481 Depth=2
	s_or_b64 exec, exec, s[64:65]
.LBB6_2086:                             ;   in Loop: Header=BB6_1481 Depth=2
	s_or_b64 exec, exec, s[62:63]
                                        ; implicit-def: $vgpr23
                                        ; implicit-def: $vgpr2_vgpr3
.LBB6_2087:                             ;   in Loop: Header=BB6_1481 Depth=2
	s_andn2_saveexec_b64 s[24:25], s[60:61]
; %bb.2088:                             ;   in Loop: Header=BB6_1481 Depth=2
	v_or_b32_sdwa v19, v23, s75 dst_sel:DWORD dst_unused:UNUSED_PAD src0_sel:BYTE_3 src1_sel:DWORD
	v_cmp_eq_u64_e32 vcc, 0, v[2:3]
	v_cndmask_b32_e32 v7, v19, v7, vcc
; %bb.2089:                             ;   in Loop: Header=BB6_1481 Depth=2
	s_or_b64 exec, exec, s[24:25]
	v_lshrrev_b16_e32 v2, 8, v10
	v_cmp_ne_u16_e32 vcc, 0, v2
	v_mov_b32_e32 v3, 0
	v_mov_b32_e32 v19, 0
	s_and_saveexec_b64 s[24:25], vcc
	s_cbranch_execz .LBB6_2095
; %bb.2090:                             ;   in Loop: Header=BB6_1481 Depth=2
	v_cmp_ne_u16_e32 vcc, s76, v2
	v_bfrev_b32_e32 v19, 1
	s_and_saveexec_b64 s[60:61], vcc
	s_cbranch_execz .LBB6_2094
; %bb.2091:                             ;   in Loop: Header=BB6_1481 Depth=2
	v_and_b32_e32 v23, 0x7f, v2
	v_cmp_ne_u32_e32 vcc, s75, v23
	v_mov_b32_e32 v19, 0x7f800001
	s_and_saveexec_b64 s[62:63], vcc
	s_cbranch_execz .LBB6_2093
; %bb.2092:                             ;   in Loop: Header=BB6_1481 Depth=2
	v_and_b32_e32 v19, 7, v2
	v_ffbh_u32_e32 v28, v19
	v_min_u32_e32 v33, 32, v28
	v_subrev_u32_e32 v28, 28, v33
	v_lshlrev_b64 v[28:29], v28, v[2:3]
	v_lshrrev_b32_e32 v30, 3, v23
	v_sub_u32_e32 v2, 29, v33
	v_and_b32_e32 v28, 7, v28
	v_cmp_gt_u32_e32 vcc, 8, v23
	v_cndmask_b32_e32 v2, v30, v2, vcc
	v_cndmask_b32_e32 v19, v19, v28, vcc
	v_lshlrev_b32_e32 v10, 16, v10
	v_lshlrev_b32_e32 v19, 20, v19
	v_and_b32_e32 v10, 0x80000000, v10
	v_lshl_add_u32 v2, v2, 23, v31
	v_or3_b32 v19, v10, v2, v19
.LBB6_2093:                             ;   in Loop: Header=BB6_1481 Depth=2
	s_or_b64 exec, exec, s[62:63]
.LBB6_2094:                             ;   in Loop: Header=BB6_1481 Depth=2
	s_or_b64 exec, exec, s[60:61]
.LBB6_2095:                             ;   in Loop: Header=BB6_1481 Depth=2
	s_or_b64 exec, exec, s[24:25]
	v_mov_b32_e32 v2, v13
	v_lshrrev_b16_e32 v10, 8, v2
	v_cmp_ne_u16_e32 vcc, 0, v10
	s_and_saveexec_b64 s[24:25], vcc
	s_cbranch_execz .LBB6_2101
; %bb.2096:                             ;   in Loop: Header=BB6_1481 Depth=2
	v_cmp_ne_u16_e32 vcc, s76, v10
	v_bfrev_b32_e32 v3, 1
	s_and_saveexec_b64 s[60:61], vcc
	s_cbranch_execz .LBB6_2100
; %bb.2097:                             ;   in Loop: Header=BB6_1481 Depth=2
	v_and_b32_e32 v23, 0x7f, v10
	v_cmp_ne_u32_e32 vcc, s75, v23
	v_mov_b32_e32 v3, 0x7f800001
	s_and_saveexec_b64 s[62:63], vcc
	s_cbranch_execz .LBB6_2099
; %bb.2098:                             ;   in Loop: Header=BB6_1481 Depth=2
	v_and_b32_e32 v3, 7, v10
	v_ffbh_u32_e32 v28, v3
	v_min_u32_e32 v33, 32, v28
	v_subrev_u32_e32 v28, 28, v33
	v_lshlrev_b64 v[28:29], v28, v[10:11]
	v_lshrrev_b32_e32 v30, 3, v23
	v_sub_u32_e32 v10, 29, v33
	v_and_b32_e32 v28, 7, v28
	v_cmp_gt_u32_e32 vcc, 8, v23
	v_cndmask_b32_e32 v10, v30, v10, vcc
	v_cndmask_b32_e32 v3, v3, v28, vcc
	v_lshlrev_b32_e32 v2, 16, v2
	v_lshlrev_b32_e32 v3, 20, v3
	v_and_b32_e32 v2, 0x80000000, v2
	v_lshl_add_u32 v10, v10, 23, v31
	v_or3_b32 v3, v2, v10, v3
.LBB6_2099:                             ;   in Loop: Header=BB6_1481 Depth=2
	s_or_b64 exec, exec, s[62:63]
.LBB6_2100:                             ;   in Loop: Header=BB6_1481 Depth=2
	s_or_b64 exec, exec, s[60:61]
.LBB6_2101:                             ;   in Loop: Header=BB6_1481 Depth=2
	s_or_b64 exec, exec, s[24:25]
	v_add_f32_e32 v23, v19, v3
	v_and_b32_sdwa v19, v23, s76 dst_sel:DWORD dst_unused:UNUSED_PAD src0_sel:BYTE_3 src1_sel:DWORD
	v_and_b32_e32 v28, 0x7f800000, v23
	v_mov_b32_e32 v29, v39
	v_and_b32_e32 v2, 0x7fffff, v23
	v_mov_b32_e32 v3, v39
	v_or_b32_e32 v10, 0x7e, v19
	v_cmp_ne_u64_e32 vcc, s[42:43], v[28:29]
	s_and_saveexec_b64 s[24:25], vcc
	s_xor_b64 s[60:61], exec, s[24:25]
	s_cbranch_execz .LBB6_2111
; %bb.2102:                             ;   in Loop: Header=BB6_1481 Depth=2
	v_and_b32_e32 v28, 0x7fffffff, v23
	v_mov_b32_e32 v29, v39
	v_cmp_gt_u64_e32 vcc, s[44:45], v[28:29]
	s_and_saveexec_b64 s[62:63], vcc
	s_cbranch_execz .LBB6_2110
; %bb.2103:                             ;   in Loop: Header=BB6_1481 Depth=2
	v_cmp_ne_u32_e32 vcc, 0, v23
	v_mov_b32_e32 v10, 0
	s_and_saveexec_b64 s[64:65], vcc
	s_cbranch_execz .LBB6_2109
; %bb.2104:                             ;   in Loop: Header=BB6_1481 Depth=2
	v_bfe_u32 v10, v23, 23, 8
	v_sub_u32_e32 v28, 0x79, v10
	v_cmp_gt_u32_e32 vcc, s77, v10
	v_add_u32_e32 v23, 0xffffff81, v10
	v_cndmask_b32_e32 v28, 0, v28, vcc
	v_cmp_eq_u32_e32 vcc, 0, v10
	v_mov_b32_e32 v10, 0xffffff82
	v_cndmask_b32_e32 v10, v23, v10, vcc
	v_cndmask_b32_e32 v23, v28, v20, vcc
	v_or_b32_e32 v29, 0x800000, v2
	v_add_u32_e32 v28, 20, v23
	v_cndmask_b32_e32 v2, v29, v2, vcc
	v_lshlrev_b64 v[28:29], v28, -1
	v_not_b32_e32 v28, v28
	v_and_b32_e32 v34, v2, v28
	v_add_u32_e32 v28, 19, v23
	v_lshrrev_b64 v[2:3], v23, v[2:3]
	v_not_b32_e32 v29, v29
	v_lshlrev_b64 v[36:37], v28, 1
	v_lshrrev_b32_e32 v28, 23, v2
	v_and_b32_e32 v35, 0, v29
	v_add3_u32 v28, v23, v10, v28
	v_bfe_u32 v10, v2, 20, 1
	v_add_u32_e32 v10, -1, v10
	v_cmp_eq_u64_e32 vcc, v[34:35], v[36:37]
	v_cndmask_b32_e32 v10, 0, v10, vcc
	v_add_u32_e32 v10, v10, v2
	v_and_b32_e32 v10, 0xfffff, v10
	v_add_co_u32_e32 v2, vcc, v10, v2
	v_add_u32_e32 v23, 6, v28
	v_addc_co_u32_e32 v3, vcc, 0, v3, vcc
	v_cmp_ne_u32_e32 vcc, 0, v23
                                        ; implicit-def: $vgpr10
	s_and_saveexec_b64 s[24:25], vcc
	s_xor_b64 s[24:25], exec, s[24:25]
; %bb.2105:                             ;   in Loop: Header=BB6_1481 Depth=2
	v_add_u32_e32 v10, 7, v28
	v_cmp_lt_u64_e32 vcc, s[48:49], v[2:3]
	v_cndmask_b32_e32 v10, v23, v10, vcc
	v_cndmask_b32_e64 v23, 0, 1, vcc
	v_lshrrev_b64 v[2:3], v23, v[2:3]
; %bb.2106:                             ;   in Loop: Header=BB6_1481 Depth=2
	s_andn2_saveexec_b64 s[24:25], s[24:25]
; %bb.2107:                             ;   in Loop: Header=BB6_1481 Depth=2
	v_bfe_u32 v10, v2, 23, 1
; %bb.2108:                             ;   in Loop: Header=BB6_1481 Depth=2
	s_or_b64 exec, exec, s[24:25]
	v_lshrrev_b64 v[2:3], 20, v[2:3]
	v_cmp_gt_i32_e32 vcc, 16, v10
	v_cndmask_b32_e32 v3, 0, v3, vcc
	v_cndmask_b32_e32 v2, 7, v2, vcc
	v_cmp_eq_u64_e64 s[24:25], 0, v[2:3]
	v_min_i32_e32 v3, 15, v10
	v_cmp_eq_u32_e32 vcc, 0, v10
	v_lshlrev_b32_e32 v3, 3, v3
	v_and_or_b32 v2, v2, 7, v3
	s_and_b64 s[24:25], vcc, s[24:25]
	v_cndmask_b32_e64 v2, v2, 0, s[24:25]
	v_or_b32_e32 v10, v2, v19
.LBB6_2109:                             ;   in Loop: Header=BB6_1481 Depth=2
	s_or_b64 exec, exec, s[64:65]
.LBB6_2110:                             ;   in Loop: Header=BB6_1481 Depth=2
	s_or_b64 exec, exec, s[62:63]
                                        ; implicit-def: $vgpr23
                                        ; implicit-def: $vgpr2_vgpr3
.LBB6_2111:                             ;   in Loop: Header=BB6_1481 Depth=2
	s_andn2_saveexec_b64 s[24:25], s[60:61]
; %bb.2112:                             ;   in Loop: Header=BB6_1481 Depth=2
	v_or_b32_sdwa v19, v23, s75 dst_sel:DWORD dst_unused:UNUSED_PAD src0_sel:BYTE_3 src1_sel:DWORD
	v_cmp_eq_u64_e32 vcc, 0, v[2:3]
	v_cndmask_b32_e32 v10, v19, v10, vcc
; %bb.2113:                             ;   in Loop: Header=BB6_1481 Depth=2
	s_or_b64 exec, exec, s[24:25]
	v_lshrrev_b32_e32 v2, 16, v38
	v_cmp_ne_u16_sdwa vcc, v2, v39 src0_sel:BYTE_0 src1_sel:DWORD
	v_mov_b32_e32 v3, 0
	v_mov_b32_e32 v19, 0
	s_and_saveexec_b64 s[24:25], vcc
	s_cbranch_execz .LBB6_2119
; %bb.2114:                             ;   in Loop: Header=BB6_1481 Depth=2
	v_cmp_ne_u16_sdwa vcc, v2, s76 src0_sel:BYTE_0 src1_sel:DWORD
	v_bfrev_b32_e32 v19, 1
	s_and_saveexec_b64 s[60:61], vcc
	s_cbranch_execz .LBB6_2118
; %bb.2115:                             ;   in Loop: Header=BB6_1481 Depth=2
	v_bfe_u32 v23, v38, 16, 7
	v_cmp_ne_u32_e32 vcc, s75, v23
	v_mov_b32_e32 v19, 0x7f800001
	s_and_saveexec_b64 s[62:63], vcc
	s_cbranch_execz .LBB6_2117
; %bb.2116:                             ;   in Loop: Header=BB6_1481 Depth=2
	v_and_b32_e32 v19, 7, v2
	v_ffbh_u32_e32 v28, v19
	v_min_u32_e32 v33, 32, v28
	v_subrev_u32_e32 v28, 28, v33
	v_lshlrev_b64 v[28:29], v28, v[2:3]
	v_lshrrev_b32_e32 v30, 3, v23
	v_sub_u32_e32 v29, 29, v33
	v_and_b32_e32 v28, 7, v28
	v_cmp_gt_u32_e32 vcc, 8, v23
	v_cndmask_b32_e32 v23, v30, v29, vcc
	v_cndmask_b32_e32 v19, v19, v28, vcc
	v_lshlrev_b32_e32 v2, 24, v2
	v_lshlrev_b32_e32 v19, 20, v19
	v_and_b32_e32 v2, 0x80000000, v2
	v_lshl_add_u32 v23, v23, 23, v31
	v_or3_b32 v19, v2, v23, v19
.LBB6_2117:                             ;   in Loop: Header=BB6_1481 Depth=2
	s_or_b64 exec, exec, s[62:63]
.LBB6_2118:                             ;   in Loop: Header=BB6_1481 Depth=2
	s_or_b64 exec, exec, s[60:61]
.LBB6_2119:                             ;   in Loop: Header=BB6_1481 Depth=2
	s_or_b64 exec, exec, s[24:25]
	v_lshrrev_b32_e32 v2, 16, v13
	v_cmp_ne_u16_sdwa vcc, v2, v39 src0_sel:BYTE_0 src1_sel:DWORD
	s_and_saveexec_b64 s[24:25], vcc
	s_cbranch_execz .LBB6_2125
; %bb.2120:                             ;   in Loop: Header=BB6_1481 Depth=2
	v_cmp_ne_u16_sdwa vcc, v2, s76 src0_sel:BYTE_0 src1_sel:DWORD
	v_bfrev_b32_e32 v3, 1
	s_and_saveexec_b64 s[60:61], vcc
	s_cbranch_execz .LBB6_2124
; %bb.2121:                             ;   in Loop: Header=BB6_1481 Depth=2
	v_bfe_u32 v23, v13, 16, 7
	v_cmp_ne_u32_e32 vcc, s75, v23
	v_mov_b32_e32 v3, 0x7f800001
	s_and_saveexec_b64 s[62:63], vcc
	s_cbranch_execz .LBB6_2123
; %bb.2122:                             ;   in Loop: Header=BB6_1481 Depth=2
	v_and_b32_e32 v28, 7, v2
	v_ffbh_u32_e32 v3, v28
	v_min_u32_e32 v30, 32, v3
	v_subrev_u32_e32 v3, 28, v30
	v_lshlrev_b64 v[2:3], v3, v[2:3]
	v_lshrrev_b32_e32 v29, 3, v23
	v_sub_u32_e32 v3, 29, v30
	v_and_b32_e32 v2, 7, v2
	v_cmp_gt_u32_e32 vcc, 8, v23
	v_cndmask_b32_e32 v3, v29, v3, vcc
	v_cndmask_b32_e32 v2, v28, v2, vcc
	v_lshlrev_b32_e32 v23, 8, v13
	v_lshlrev_b32_e32 v2, 20, v2
	v_and_b32_e32 v23, 0x80000000, v23
	v_lshl_add_u32 v3, v3, 23, v31
	v_or3_b32 v3, v23, v3, v2
.LBB6_2123:                             ;   in Loop: Header=BB6_1481 Depth=2
	s_or_b64 exec, exec, s[62:63]
.LBB6_2124:                             ;   in Loop: Header=BB6_1481 Depth=2
	s_or_b64 exec, exec, s[60:61]
.LBB6_2125:                             ;   in Loop: Header=BB6_1481 Depth=2
	s_or_b64 exec, exec, s[24:25]
	v_add_f32_e32 v28, v19, v3
	v_and_b32_sdwa v23, v28, s76 dst_sel:DWORD dst_unused:UNUSED_PAD src0_sel:BYTE_3 src1_sel:DWORD
	v_and_b32_e32 v34, 0x7f800000, v28
	v_mov_b32_e32 v35, v39
	v_and_b32_e32 v2, 0x7fffff, v28
	v_mov_b32_e32 v3, v39
	v_or_b32_e32 v19, 0x7e, v23
	v_cmp_ne_u64_e32 vcc, s[42:43], v[34:35]
	s_and_saveexec_b64 s[24:25], vcc
	s_xor_b64 s[60:61], exec, s[24:25]
	s_cbranch_execz .LBB6_2135
; %bb.2126:                             ;   in Loop: Header=BB6_1481 Depth=2
	v_and_b32_e32 v34, 0x7fffffff, v28
	v_mov_b32_e32 v35, v39
	v_cmp_gt_u64_e32 vcc, s[44:45], v[34:35]
	s_and_saveexec_b64 s[62:63], vcc
	s_cbranch_execz .LBB6_2134
; %bb.2127:                             ;   in Loop: Header=BB6_1481 Depth=2
	v_cmp_ne_u32_e32 vcc, 0, v28
	v_mov_b32_e32 v19, 0
	s_and_saveexec_b64 s[64:65], vcc
	s_cbranch_execz .LBB6_2133
; %bb.2128:                             ;   in Loop: Header=BB6_1481 Depth=2
	v_bfe_u32 v19, v28, 23, 8
	v_sub_u32_e32 v29, 0x79, v19
	v_cmp_gt_u32_e32 vcc, s77, v19
	v_cndmask_b32_e32 v29, 0, v29, vcc
	v_cmp_eq_u32_e32 vcc, 0, v19
	v_add_u32_e32 v28, 0xffffff81, v19
	v_mov_b32_e32 v19, 0xffffff82
	v_cndmask_b32_e32 v33, v29, v20, vcc
	v_cndmask_b32_e32 v19, v28, v19, vcc
	v_add_u32_e32 v28, 20, v33
	v_or_b32_e32 v30, 0x800000, v2
	v_lshlrev_b64 v[28:29], v28, -1
	v_cndmask_b32_e32 v2, v30, v2, vcc
	v_not_b32_e32 v28, v28
	v_and_b32_e32 v34, v2, v28
	v_add_u32_e32 v28, 19, v33
	v_lshrrev_b64 v[2:3], v33, v[2:3]
	v_not_b32_e32 v29, v29
	v_lshlrev_b64 v[36:37], v28, 1
	v_lshrrev_b32_e32 v28, 23, v2
	v_and_b32_e32 v35, 0, v29
	v_add3_u32 v29, v33, v19, v28
	v_bfe_u32 v19, v2, 20, 1
	v_add_u32_e32 v19, -1, v19
	v_cmp_eq_u64_e32 vcc, v[34:35], v[36:37]
	v_cndmask_b32_e32 v19, 0, v19, vcc
	v_add_u32_e32 v19, v19, v2
	v_and_b32_e32 v19, 0xfffff, v19
	v_add_co_u32_e32 v2, vcc, v19, v2
	v_add_u32_e32 v28, 6, v29
	v_addc_co_u32_e32 v3, vcc, 0, v3, vcc
	v_cmp_ne_u32_e32 vcc, 0, v28
                                        ; implicit-def: $vgpr19
	s_and_saveexec_b64 s[24:25], vcc
	s_xor_b64 s[24:25], exec, s[24:25]
; %bb.2129:                             ;   in Loop: Header=BB6_1481 Depth=2
	v_add_u32_e32 v19, 7, v29
	v_cmp_lt_u64_e32 vcc, s[48:49], v[2:3]
	v_cndmask_b32_e32 v19, v28, v19, vcc
	v_cndmask_b32_e64 v28, 0, 1, vcc
	v_lshrrev_b64 v[2:3], v28, v[2:3]
; %bb.2130:                             ;   in Loop: Header=BB6_1481 Depth=2
	s_andn2_saveexec_b64 s[24:25], s[24:25]
; %bb.2131:                             ;   in Loop: Header=BB6_1481 Depth=2
	v_bfe_u32 v19, v2, 23, 1
; %bb.2132:                             ;   in Loop: Header=BB6_1481 Depth=2
	s_or_b64 exec, exec, s[24:25]
	v_lshrrev_b64 v[2:3], 20, v[2:3]
	v_cmp_gt_i32_e32 vcc, 16, v19
	v_cndmask_b32_e32 v3, 0, v3, vcc
	v_cndmask_b32_e32 v2, 7, v2, vcc
	v_cmp_eq_u64_e64 s[24:25], 0, v[2:3]
	v_min_i32_e32 v3, 15, v19
	v_lshlrev_b32_e32 v3, 3, v3
	v_cmp_eq_u32_e32 vcc, 0, v19
	v_and_b32_e32 v3, 0xf8, v3
	v_and_or_b32 v2, v2, 7, v3
	s_and_b64 s[24:25], vcc, s[24:25]
	v_cndmask_b32_e64 v2, v2, 0, s[24:25]
	v_or_b32_e32 v19, v2, v23
.LBB6_2133:                             ;   in Loop: Header=BB6_1481 Depth=2
	s_or_b64 exec, exec, s[64:65]
.LBB6_2134:                             ;   in Loop: Header=BB6_1481 Depth=2
	s_or_b64 exec, exec, s[62:63]
                                        ; implicit-def: $vgpr28
                                        ; implicit-def: $vgpr2_vgpr3
.LBB6_2135:                             ;   in Loop: Header=BB6_1481 Depth=2
	s_andn2_saveexec_b64 s[24:25], s[60:61]
; %bb.2136:                             ;   in Loop: Header=BB6_1481 Depth=2
	v_or_b32_sdwa v23, v28, s75 dst_sel:DWORD dst_unused:UNUSED_PAD src0_sel:BYTE_3 src1_sel:DWORD
	v_cmp_eq_u64_e32 vcc, 0, v[2:3]
	v_cndmask_b32_e32 v19, v23, v19, vcc
; %bb.2137:                             ;   in Loop: Header=BB6_1481 Depth=2
	s_or_b64 exec, exec, s[24:25]
	v_cmp_lt_u32_e32 vcc, s47, v38
	v_mov_b32_e32 v3, 0
	v_mov_b32_e32 v23, 0
	s_and_saveexec_b64 s[24:25], vcc
	s_cbranch_execz .LBB6_2143
; %bb.2138:                             ;   in Loop: Header=BB6_1481 Depth=2
	v_lshrrev_b32_e32 v2, 24, v38
	v_cmp_ne_u32_sdwa vcc, v38, s76 src0_sel:BYTE_3 src1_sel:DWORD
	v_bfrev_b32_e32 v23, 1
	s_and_saveexec_b64 s[60:61], vcc
	s_cbranch_execz .LBB6_2142
; %bb.2139:                             ;   in Loop: Header=BB6_1481 Depth=2
	v_bfe_u32 v28, v38, 24, 7
	v_cmp_ne_u32_e32 vcc, s75, v28
	v_mov_b32_e32 v23, 0x7f800001
	s_and_saveexec_b64 s[62:63], vcc
	s_cbranch_execz .LBB6_2141
; %bb.2140:                             ;   in Loop: Header=BB6_1481 Depth=2
	v_and_b32_e32 v23, 7, v2
	v_ffbh_u32_e32 v30, v23
	v_min_u32_e32 v30, 32, v30
	v_subrev_u32_e32 v33, 28, v30
	v_lshlrev_b64 v[34:35], v33, v[2:3]
	v_lshrrev_b32_e32 v29, 3, v28
	v_sub_u32_e32 v2, 29, v30
	v_and_b32_e32 v30, 7, v34
	v_cmp_gt_u32_e32 vcc, 8, v28
	v_mov_b32_e32 v28, 24
	v_cndmask_b32_e32 v2, v29, v2, vcc
	v_cndmask_b32_e32 v23, v23, v30, vcc
	v_lshlrev_b32_sdwa v28, v28, v38 dst_sel:DWORD dst_unused:UNUSED_PAD src0_sel:DWORD src1_sel:BYTE_3
	v_lshlrev_b32_e32 v23, 20, v23
	v_and_b32_e32 v28, 0x80000000, v28
	v_lshl_add_u32 v2, v2, 23, v31
	v_or3_b32 v23, v28, v2, v23
.LBB6_2141:                             ;   in Loop: Header=BB6_1481 Depth=2
	s_or_b64 exec, exec, s[62:63]
.LBB6_2142:                             ;   in Loop: Header=BB6_1481 Depth=2
	s_or_b64 exec, exec, s[60:61]
.LBB6_2143:                             ;   in Loop: Header=BB6_1481 Depth=2
	s_or_b64 exec, exec, s[24:25]
	v_cmp_lt_u64_e32 vcc, s[46:47], v[12:13]
	s_and_saveexec_b64 s[24:25], vcc
	s_cbranch_execz .LBB6_2149
; %bb.2144:                             ;   in Loop: Header=BB6_1481 Depth=2
	v_lshrrev_b32_e32 v2, 24, v13
	v_cmp_ne_u32_e32 vcc, s76, v2
	v_bfrev_b32_e32 v3, 1
	s_and_saveexec_b64 s[60:61], vcc
	s_cbranch_execz .LBB6_2148
; %bb.2145:                             ;   in Loop: Header=BB6_1481 Depth=2
	v_bfe_u32 v12, v13, 24, 7
	v_cmp_ne_u32_e32 vcc, s75, v12
	v_mov_b32_e32 v3, 0x7f800001
	s_and_saveexec_b64 s[62:63], vcc
	s_cbranch_execz .LBB6_2147
; %bb.2146:                             ;   in Loop: Header=BB6_1481 Depth=2
	v_and_b32_e32 v3, 7, v2
	v_ffbh_u32_e32 v28, v3
	v_min_u32_e32 v30, 32, v28
	v_subrev_u32_e32 v28, 28, v30
	v_lshlrev_b64 v[28:29], v28, v[2:3]
	v_lshrrev_b32_e32 v13, 3, v12
	v_sub_u32_e32 v29, 29, v30
	v_and_b32_e32 v28, 7, v28
	v_cmp_gt_u32_e32 vcc, 8, v12
	v_cndmask_b32_e32 v12, v13, v29, vcc
	v_cndmask_b32_e32 v3, v3, v28, vcc
	v_lshlrev_b32_e32 v2, 24, v2
	v_lshlrev_b32_e32 v3, 20, v3
	v_and_b32_e32 v2, 0x80000000, v2
	v_lshl_add_u32 v12, v12, 23, v31
	v_or3_b32 v3, v2, v12, v3
.LBB6_2147:                             ;   in Loop: Header=BB6_1481 Depth=2
	s_or_b64 exec, exec, s[62:63]
.LBB6_2148:                             ;   in Loop: Header=BB6_1481 Depth=2
	s_or_b64 exec, exec, s[60:61]
.LBB6_2149:                             ;   in Loop: Header=BB6_1481 Depth=2
	s_or_b64 exec, exec, s[24:25]
	v_add_f32_e32 v3, v23, v3
	v_and_b32_sdwa v12, v3, s76 dst_sel:DWORD dst_unused:UNUSED_PAD src0_sel:BYTE_3 src1_sel:DWORD
	v_and_b32_e32 v28, 0x7f800000, v3
	v_mov_b32_e32 v29, v39
	v_and_b32_e32 v38, 0x7fffff, v3
	v_or_b32_e32 v2, 0x7e, v12
	v_cmp_ne_u64_e32 vcc, s[42:43], v[28:29]
	s_and_saveexec_b64 s[24:25], vcc
	s_xor_b64 s[60:61], exec, s[24:25]
	s_cbranch_execz .LBB6_2159
; %bb.2150:                             ;   in Loop: Header=BB6_1481 Depth=2
	v_and_b32_e32 v28, 0x7fffffff, v3
	v_mov_b32_e32 v29, v39
	v_cmp_gt_u64_e32 vcc, s[44:45], v[28:29]
	s_and_saveexec_b64 s[62:63], vcc
	s_cbranch_execz .LBB6_2158
; %bb.2151:                             ;   in Loop: Header=BB6_1481 Depth=2
	v_cmp_ne_u32_e32 vcc, 0, v3
	v_mov_b32_e32 v2, 0
	s_and_saveexec_b64 s[64:65], vcc
	s_cbranch_execz .LBB6_2157
; %bb.2152:                             ;   in Loop: Header=BB6_1481 Depth=2
	v_bfe_u32 v2, v3, 23, 8
	v_sub_u32_e32 v13, 0x79, v2
	v_cmp_gt_u32_e32 vcc, s77, v2
	v_cndmask_b32_e32 v13, 0, v13, vcc
	v_cmp_eq_u32_e32 vcc, 0, v2
	v_add_u32_e32 v3, 0xffffff81, v2
	v_or_b32_e32 v23, 0x800000, v38
	v_mov_b32_e32 v2, 0xffffff82
	v_cndmask_b32_e32 v13, v13, v20, vcc
	v_cndmask_b32_e32 v28, v3, v2, vcc
	;; [unrolled: 1-line block ×3, first 2 shown]
	v_add_u32_e32 v2, 20, v13
	v_lshlrev_b64 v[2:3], v2, -1
	v_add_u32_e32 v23, 19, v13
	v_lshrrev_b64 v[36:37], v13, v[38:39]
	v_not_b32_e32 v3, v3
	v_not_b32_e32 v2, v2
	v_lshlrev_b64 v[34:35], v23, 1
	v_lshrrev_b32_e32 v23, 23, v36
	v_and_b32_e32 v3, 0, v3
	v_and_b32_e32 v2, v38, v2
	v_add3_u32 v28, v13, v28, v23
	v_bfe_u32 v13, v36, 20, 1
	v_add_u32_e32 v13, -1, v13
	v_cmp_eq_u64_e32 vcc, v[2:3], v[34:35]
	v_cndmask_b32_e32 v2, 0, v13, vcc
	v_add_u32_e32 v2, v2, v36
	v_and_b32_e32 v2, 0xfffff, v2
	v_add_co_u32_e32 v2, vcc, v2, v36
	v_add_u32_e32 v23, 6, v28
	v_addc_co_u32_e32 v3, vcc, 0, v37, vcc
	v_cmp_ne_u32_e32 vcc, 0, v23
                                        ; implicit-def: $vgpr13
	s_and_saveexec_b64 s[24:25], vcc
	s_xor_b64 s[24:25], exec, s[24:25]
; %bb.2153:                             ;   in Loop: Header=BB6_1481 Depth=2
	v_add_u32_e32 v13, 7, v28
	v_cmp_lt_u64_e32 vcc, s[48:49], v[2:3]
	v_cndmask_b32_e32 v13, v23, v13, vcc
	v_cndmask_b32_e64 v23, 0, 1, vcc
	v_lshrrev_b64 v[2:3], v23, v[2:3]
; %bb.2154:                             ;   in Loop: Header=BB6_1481 Depth=2
	s_andn2_saveexec_b64 s[24:25], s[24:25]
; %bb.2155:                             ;   in Loop: Header=BB6_1481 Depth=2
	v_bfe_u32 v13, v2, 23, 1
; %bb.2156:                             ;   in Loop: Header=BB6_1481 Depth=2
	s_or_b64 exec, exec, s[24:25]
	v_lshrrev_b64 v[2:3], 20, v[2:3]
	v_cmp_gt_i32_e32 vcc, 16, v13
	v_cndmask_b32_e32 v3, 0, v3, vcc
	v_cndmask_b32_e32 v2, 7, v2, vcc
	v_cmp_eq_u64_e64 s[24:25], 0, v[2:3]
	v_min_i32_e32 v3, 15, v13
	v_lshlrev_b32_e32 v3, 3, v3
	v_cmp_eq_u32_e32 vcc, 0, v13
	v_and_b32_e32 v3, 0xf8, v3
	v_and_or_b32 v2, v2, 7, v3
	s_and_b64 s[24:25], vcc, s[24:25]
	v_cndmask_b32_e64 v2, v2, 0, s[24:25]
	v_or_b32_e32 v2, v2, v12
.LBB6_2157:                             ;   in Loop: Header=BB6_1481 Depth=2
	s_or_b64 exec, exec, s[64:65]
.LBB6_2158:                             ;   in Loop: Header=BB6_1481 Depth=2
	s_or_b64 exec, exec, s[62:63]
                                        ; implicit-def: $vgpr3
.LBB6_2159:                             ;   in Loop: Header=BB6_1481 Depth=2
	s_andn2_saveexec_b64 s[24:25], s[60:61]
	s_cbranch_execz .LBB6_1480
; %bb.2160:                             ;   in Loop: Header=BB6_1481 Depth=2
	v_or_b32_sdwa v3, v3, s75 dst_sel:DWORD dst_unused:UNUSED_PAD src0_sel:BYTE_3 src1_sel:DWORD
	v_cmp_eq_u64_e32 vcc, 0, v[38:39]
	v_cndmask_b32_e32 v2, v3, v2, vcc
	s_branch .LBB6_1480
.LBB6_2161:                             ;   in Loop: Header=BB6_49 Depth=1
	s_or_b64 exec, exec, s[58:59]
.LBB6_2162:                             ;   in Loop: Header=BB6_49 Depth=1
	s_or_b64 exec, exec, s[56:57]
	v_accvgpr_read_b32 v0, a43
	v_and_b32_e32 v3, 15, v0
	v_cndmask_b32_e64 v1, v18, v3, s[22:23]
	v_cmp_ne_u32_e32 vcc, 0, v1
	s_mov_b64 s[24:25], 0
	v_mov_b32_e32 v0, 0
                                        ; implicit-def: $vgpr16
                                        ; implicit-def: $vgpr2
	s_and_saveexec_b64 s[56:57], vcc
	s_cbranch_execz .LBB6_2164
; %bb.2163:                             ;   in Loop: Header=BB6_49 Depth=1
	v_accvgpr_read_b32 v0, a43
	v_sub_u32_e32 v2, v18, v3
	v_and_b32_e32 v0, 0x3ffffc00, v0
	v_cndmask_b32_e64 v2, 0, v2, s[22:23]
	v_add_u32_e32 v0, v2, v0
	v_cmp_lt_i32_e32 vcc, 0, v5
	v_accvgpr_read_b32 v2, a32
	v_cndmask_b32_e32 v2, 0, v2, vcc
	v_sub_u32_e32 v2, v2, v5
	v_lshl_add_u32 v16, v2, 6, v4
	v_ashrrev_i32_e32 v2, 31, v16
	v_lshrrev_b32_e32 v2, 26, v2
	v_add_u32_e32 v2, v16, v2
	s_mov_b64 s[24:25], exec
	v_ashrrev_i32_e32 v2, 6, v2
.LBB6_2164:                             ;   in Loop: Header=BB6_49 Depth=1
	s_or_b64 exec, exec, s[56:57]
	s_and_b64 s[22:23], s[24:25], exec
.LBB6_2165:                             ;   in Loop: Header=BB6_49 Depth=1
	s_or_b64 exec, exec, s[54:55]
	s_and_saveexec_b64 s[24:25], s[22:23]
	s_cbranch_execz .LBB6_3034
.LBB6_2166:                             ;   in Loop: Header=BB6_49 Depth=1
	v_ashrrev_i32_e32 v3, 31, v1
	v_lshrrev_b32_e32 v3, 22, v3
	v_add_u32_e32 v3, v1, v3
	v_ashrrev_i32_e32 v17, 10, v3
	v_sub_u32_e32 v4, v17, v2
	v_ashrrev_i32_e32 v3, 31, v16
	v_cmp_lt_i32_e32 vcc, 0, v4
	v_lshrrev_b32_e32 v5, 26, v3
	s_and_saveexec_b64 s[54:55], vcc
	s_cbranch_execz .LBB6_2975
; %bb.2167:                             ;   in Loop: Header=BB6_49 Depth=1
	s_trap 2
	ds_read_b128 v[6:9], v0
	v_add_u32_e32 v3, v16, v5
	v_and_b32_e32 v3, 0xffffffc0, v3
	v_sub_u32_e32 v3, v16, v3
	v_lshlrev_b32_e32 v2, 10, v2
	v_add3_u32 v14, v0, v3, v2
	ds_read_b64 v[2:3], v0
	v_ashrrev_i32_e32 v15, 31, v14
	s_waitcnt lgkmcnt(0)
	v_add_co_u32_e32 v10, vcc, v6, v14
	v_addc_co_u32_e32 v11, vcc, v7, v15, vcc
	v_add_co_u32_e32 v12, vcc, v8, v14
	v_addc_co_u32_e32 v13, vcc, v9, v15, vcc
	;; [unrolled: 2-line block ×4, first 2 shown]
	s_mov_b64 s[56:57], 0
	s_branch .LBB6_2169
.LBB6_2168:                             ;   in Loop: Header=BB6_2169 Depth=2
	s_or_b64 exec, exec, s[22:23]
	v_add_co_u32_e32 v28, vcc, 0xfffffc40, v14
	v_addc_co_u32_e32 v29, vcc, -1, v15, vcc
	v_add_co_u32_e32 v6, vcc, 0xfffffc80, v14
	flat_store_byte v[28:29], v7 glc slc
	v_addc_co_u32_e32 v7, vcc, -1, v15, vcc
	flat_store_byte v[6:7], v24 glc slc
	v_add_co_u32_e32 v6, vcc, 0xfffffcc0, v14
	v_addc_co_u32_e32 v7, vcc, -1, v15, vcc
	flat_store_byte v[6:7], v35 glc slc
	v_add_co_u32_e32 v6, vcc, 0xfffffd00, v14
	;; [unrolled: 3-line block ×13, first 2 shown]
	v_addc_co_u32_e32 v7, vcc, -1, v15, vcc
	flat_store_byte v[6:7], v8 glc slc
	flat_store_byte v[14:15], v3 glc slc
	v_accvgpr_read_b32 v3, a39
	v_add_co_u32_e32 v10, vcc, v10, v3
	v_accvgpr_read_b32 v6, a40
	v_addc_co_u32_e32 v11, vcc, v11, v6, vcc
	v_add_co_u32_e32 v12, vcc, v12, v3
	v_accvgpr_read_b32 v2, a32
	v_addc_co_u32_e32 v13, vcc, v13, v6, vcc
	v_sub_u32_e32 v4, v4, v2
	v_cmp_gt_i32_e32 vcc, 1, v4
	s_or_b64 s[56:57], vcc, s[56:57]
	v_add_co_u32_e32 v14, vcc, v14, v3
	v_addc_co_u32_e32 v15, vcc, v15, v6, vcc
	s_andn2_b64 exec, exec, s[56:57]
	s_cbranch_execz .LBB6_2974
.LBB6_2169:                             ;   Parent Loop BB6_49 Depth=1
                                        ; =>  This Inner Loop Header: Depth=2
	s_trap 2
	ds_read_b64 v[2:3], v0
	s_waitcnt lgkmcnt(0)
	v_cmp_eq_u16_sdwa vcc, v2, v39 src0_sel:BYTE_0 src1_sel:DWORD
	v_readfirstlane_b32 s22, v2
	v_readfirstlane_b32 s23, v3
	s_and_b64 vcc, exec, vcc
	s_cbranch_vccnz .LBB6_2173
; %bb.2170:                             ;   in Loop: Header=BB6_2169 Depth=2
	v_cmp_eq_u32_sdwa vcc, v2, s76 src0_sel:BYTE_0 src1_sel:DWORD
	s_and_b64 vcc, exec, vcc
	s_brev_b32 s64, 1
	s_cbranch_vccnz .LBB6_2174
; %bb.2171:                             ;   in Loop: Header=BB6_2169 Depth=2
	s_and_b32 vcc_lo, s22, 0x7f
	s_cmpk_eq_i32 vcc_lo, 0x7f
	s_mov_b32 s64, 0x7f800001
	s_cbranch_scc1 .LBB6_2174
; %bb.2172:                             ;   in Loop: Header=BB6_2169 Depth=2
	s_and_b32 vcc_hi, s22, 7
	s_flbit_i32_b32 vcc_hi, vcc_hi
	s_min_u32 vcc_hi, vcc_hi, 32
	s_lshr_b32 s58, vcc_lo, 3
	s_sub_i32 s59, vcc_hi, 28
	s_sub_i32 vcc_hi, 29, vcc_hi
	s_cmp_lt_u32 vcc_lo, 8
	s_cselect_b32 vcc_lo, s59, 0
	s_cselect_b32 s58, vcc_hi, s58
	s_lshl_b64 vcc, s[22:23], vcc_lo
	s_lshl_b32 s23, vcc_lo, 20
	s_lshl_b32 s22, s22, 24
	s_lshl_b32 vcc_lo, s58, 23
	s_and_b32 s22, s22, 0x80000000
	s_add_i32 vcc_lo, vcc_lo, 0x3c000000
	s_and_b32 s23, s23, 0x700000
	s_or_b32 s22, s22, vcc_lo
	s_or_b32 s64, s22, s23
	s_branch .LBB6_2174
.LBB6_2173:                             ;   in Loop: Header=BB6_2169 Depth=2
	s_mov_b32 s64, 0
.LBB6_2174:                             ;   in Loop: Header=BB6_2169 Depth=2
	flat_load_ubyte v3, v[10:11] glc slc
	v_mov_b32_e32 v6, 0
	s_waitcnt vmcnt(0) lgkmcnt(0)
	v_cmp_ne_u16_e32 vcc, 0, v3
	s_and_saveexec_b64 s[22:23], vcc
	s_cbranch_execz .LBB6_2180
; %bb.2175:                             ;   in Loop: Header=BB6_2169 Depth=2
	v_cmp_ne_u16_e32 vcc, s76, v3
	v_bfrev_b32_e32 v6, 1
	s_and_saveexec_b64 s[58:59], vcc
	s_cbranch_execz .LBB6_2179
; %bb.2176:                             ;   in Loop: Header=BB6_2169 Depth=2
	v_and_b32_e32 v2, 0xffff, v3
	v_and_b32_e32 v7, 0x7f, v2
	v_cmp_ne_u32_e32 vcc, s75, v7
	v_mov_b32_e32 v6, 0x7f800001
	s_and_saveexec_b64 s[60:61], vcc
	s_cbranch_execz .LBB6_2178
; %bb.2177:                             ;   in Loop: Header=BB6_2169 Depth=2
	v_and_b32_e32 v6, 7, v2
	v_ffbh_u32_e32 v8, v6
	v_min_u32_e32 v19, 32, v8
	v_subrev_u32_e32 v8, 28, v19
	v_lshlrev_b64 v[8:9], v8, v[2:3]
	v_lshrrev_b32_e32 v18, 3, v7
	v_sub_u32_e32 v2, 29, v19
	v_and_b32_e32 v8, 7, v8
	v_cmp_gt_u32_e32 vcc, 8, v7
	v_cndmask_b32_e32 v2, v18, v2, vcc
	v_cndmask_b32_e32 v6, v6, v8, vcc
	v_lshlrev_b32_e32 v3, 24, v3
	v_lshlrev_b32_e32 v6, 20, v6
	v_and_b32_e32 v3, 0x80000000, v3
	v_lshl_add_u32 v2, v2, 23, v31
	v_or3_b32 v6, v3, v2, v6
.LBB6_2178:                             ;   in Loop: Header=BB6_2169 Depth=2
	s_or_b64 exec, exec, s[60:61]
.LBB6_2179:                             ;   in Loop: Header=BB6_2169 Depth=2
	s_or_b64 exec, exec, s[58:59]
.LBB6_2180:                             ;   in Loop: Header=BB6_2169 Depth=2
	s_or_b64 exec, exec, s[22:23]
	v_mul_f32_e32 v2, s64, v6
	v_and_b32_sdwa v6, v2, s76 dst_sel:DWORD dst_unused:UNUSED_PAD src0_sel:BYTE_3 src1_sel:DWORD
	v_and_b32_e32 v8, 0x7f800000, v2
	v_mov_b32_e32 v9, v39
	v_and_b32_e32 v38, 0x7fffff, v2
	v_or_b32_e32 v7, 0x7e, v6
	v_cmp_ne_u64_e32 vcc, s[42:43], v[8:9]
	s_and_saveexec_b64 s[22:23], vcc
	s_xor_b64 s[58:59], exec, s[22:23]
	s_cbranch_execz .LBB6_2194
; %bb.2181:                             ;   in Loop: Header=BB6_2169 Depth=2
	v_and_b32_e32 v8, 0x7fffffff, v2
	v_mov_b32_e32 v9, v39
	v_cmp_gt_u64_e32 vcc, s[44:45], v[8:9]
	s_and_saveexec_b64 s[22:23], vcc
	s_xor_b64 s[60:61], exec, s[22:23]
	s_cbranch_execz .LBB6_2193
; %bb.2182:                             ;   in Loop: Header=BB6_2169 Depth=2
	v_cmp_ne_u32_e32 vcc, 0, v2
	v_mov_b32_e32 v7, 0
	s_and_saveexec_b64 s[62:63], vcc
	s_cbranch_execz .LBB6_2192
; %bb.2183:                             ;   in Loop: Header=BB6_2169 Depth=2
	v_bfe_u32 v2, v2, 23, 8
	v_sub_u32_e32 v7, 0x79, v2
	v_cmp_gt_u32_e32 vcc, s77, v2
	v_cndmask_b32_e32 v7, 0, v7, vcc
	v_cmp_eq_u32_e32 vcc, 0, v2
	v_add_u32_e32 v3, 0xffffff81, v2
	v_or_b32_e32 v8, 0x800000, v38
	v_mov_b32_e32 v2, 0xffffff82
	v_cndmask_b32_e32 v7, v7, v20, vcc
	v_cndmask_b32_e32 v9, v3, v2, vcc
	;; [unrolled: 1-line block ×3, first 2 shown]
	v_add_u32_e32 v2, 20, v7
	v_lshlrev_b64 v[2:3], v2, -1
	v_add_u32_e32 v8, 19, v7
	v_lshrrev_b64 v[22:23], v7, v[38:39]
	v_not_b32_e32 v3, v3
	v_not_b32_e32 v2, v2
	v_lshlrev_b64 v[18:19], v8, 1
	v_lshrrev_b32_e32 v8, 23, v22
	v_and_b32_e32 v3, 0, v3
	v_and_b32_e32 v2, v38, v2
	v_add3_u32 v9, v7, v9, v8
	v_bfe_u32 v8, v22, 20, 1
	v_add_u32_e32 v8, -1, v8
	v_cmp_eq_u64_e32 vcc, v[2:3], v[18:19]
	v_cndmask_b32_e32 v2, 0, v8, vcc
	v_add_u32_e32 v2, v2, v22
	v_and_b32_e32 v2, 0xfffff, v2
	v_add_co_u32_e32 v2, vcc, v2, v22
	v_add_u32_e32 v7, 6, v9
	v_addc_co_u32_e32 v3, vcc, 0, v23, vcc
	v_cmp_ne_u32_e32 vcc, 0, v7
                                        ; implicit-def: $vgpr8
	s_and_saveexec_b64 s[22:23], vcc
	s_xor_b64 s[22:23], exec, s[22:23]
; %bb.2184:                             ;   in Loop: Header=BB6_2169 Depth=2
	v_add_u32_e32 v8, 7, v9
	v_cmp_lt_u64_e32 vcc, s[48:49], v[2:3]
	v_cndmask_b32_e32 v8, v7, v8, vcc
	v_cndmask_b32_e64 v7, 0, 1, vcc
	v_lshrrev_b64 v[2:3], v7, v[2:3]
; %bb.2185:                             ;   in Loop: Header=BB6_2169 Depth=2
	s_andn2_saveexec_b64 s[22:23], s[22:23]
; %bb.2186:                             ;   in Loop: Header=BB6_2169 Depth=2
	v_bfe_u32 v8, v2, 23, 1
; %bb.2187:                             ;   in Loop: Header=BB6_2169 Depth=2
	s_or_b64 exec, exec, s[22:23]
	v_lshrrev_b64 v[2:3], 20, v[2:3]
	v_cmp_gt_i32_e32 vcc, 16, v8
	v_cndmask_b32_e32 v3, 0, v3, vcc
	v_cndmask_b32_e32 v2, 7, v2, vcc
	v_cmp_ne_u32_e32 vcc, 0, v8
	v_cmp_ne_u64_e64 s[22:23], 0, v[2:3]
	s_or_b64 s[22:23], vcc, s[22:23]
                                        ; implicit-def: $vgpr7
	s_and_saveexec_b64 vcc, s[22:23]
	s_xor_b64 s[22:23], exec, vcc
; %bb.2188:                             ;   in Loop: Header=BB6_2169 Depth=2
	v_min_i32_e32 v3, 15, v8
	v_lshl_or_b32 v3, v3, 3, v6
	v_and_or_b32 v7, v2, 7, v3
                                        ; implicit-def: $vgpr6
; %bb.2189:                             ;   in Loop: Header=BB6_2169 Depth=2
	s_andn2_saveexec_b64 s[22:23], s[22:23]
; %bb.2190:                             ;   in Loop: Header=BB6_2169 Depth=2
	v_mov_b32_e32 v7, v6
; %bb.2191:                             ;   in Loop: Header=BB6_2169 Depth=2
	s_or_b64 exec, exec, s[22:23]
.LBB6_2192:                             ;   in Loop: Header=BB6_2169 Depth=2
	s_or_b64 exec, exec, s[62:63]
.LBB6_2193:                             ;   in Loop: Header=BB6_2169 Depth=2
	s_andn2_saveexec_b64 s[22:23], s[60:61]
	s_or_b64 exec, exec, s[22:23]
                                        ; implicit-def: $vgpr2
.LBB6_2194:                             ;   in Loop: Header=BB6_2169 Depth=2
	s_andn2_saveexec_b64 s[22:23], s[58:59]
; %bb.2195:                             ;   in Loop: Header=BB6_2169 Depth=2
	v_or_b32_sdwa v2, v2, s75 dst_sel:DWORD dst_unused:UNUSED_PAD src0_sel:BYTE_3 src1_sel:DWORD
	v_cmp_eq_u64_e32 vcc, 0, v[38:39]
	v_cndmask_b32_e32 v7, v2, v7, vcc
; %bb.2196:                             ;   in Loop: Header=BB6_2169 Depth=2
	s_or_b64 exec, exec, s[22:23]
	flat_load_ubyte v3, v[10:11] offset:64 glc slc
	v_mov_b32_e32 v6, 0
	s_waitcnt vmcnt(0) lgkmcnt(0)
	v_cmp_ne_u16_e32 vcc, 0, v3
	s_and_saveexec_b64 s[22:23], vcc
	s_cbranch_execz .LBB6_2202
; %bb.2197:                             ;   in Loop: Header=BB6_2169 Depth=2
	v_cmp_ne_u16_e32 vcc, s76, v3
	v_bfrev_b32_e32 v6, 1
	s_and_saveexec_b64 s[58:59], vcc
	s_cbranch_execz .LBB6_2201
; %bb.2198:                             ;   in Loop: Header=BB6_2169 Depth=2
	v_and_b32_e32 v2, 0xffff, v3
	v_and_b32_e32 v8, 0x7f, v2
	v_cmp_ne_u32_e32 vcc, s75, v8
	v_mov_b32_e32 v6, 0x7f800001
	s_and_saveexec_b64 s[60:61], vcc
	s_cbranch_execz .LBB6_2200
; %bb.2199:                             ;   in Loop: Header=BB6_2169 Depth=2
	v_and_b32_e32 v6, 7, v2
	v_ffbh_u32_e32 v18, v6
	v_min_u32_e32 v21, 32, v18
	v_subrev_u32_e32 v18, 28, v21
	v_lshlrev_b64 v[18:19], v18, v[2:3]
	v_lshrrev_b32_e32 v9, 3, v8
	v_sub_u32_e32 v2, 29, v21
	v_and_b32_e32 v18, 7, v18
	v_cmp_gt_u32_e32 vcc, 8, v8
	v_cndmask_b32_e32 v2, v9, v2, vcc
	v_cndmask_b32_e32 v6, v6, v18, vcc
	v_lshlrev_b32_e32 v3, 24, v3
	v_lshlrev_b32_e32 v6, 20, v6
	v_and_b32_e32 v3, 0x80000000, v3
	v_lshl_add_u32 v2, v2, 23, v31
	v_or3_b32 v6, v3, v2, v6
.LBB6_2200:                             ;   in Loop: Header=BB6_2169 Depth=2
	s_or_b64 exec, exec, s[60:61]
.LBB6_2201:                             ;   in Loop: Header=BB6_2169 Depth=2
	s_or_b64 exec, exec, s[58:59]
.LBB6_2202:                             ;   in Loop: Header=BB6_2169 Depth=2
	s_or_b64 exec, exec, s[22:23]
	v_mul_f32_e32 v2, s64, v6
	v_and_b32_sdwa v6, v2, s76 dst_sel:DWORD dst_unused:UNUSED_PAD src0_sel:BYTE_3 src1_sel:DWORD
	v_and_b32_e32 v8, 0x7f800000, v2
	v_mov_b32_e32 v9, v39
	v_and_b32_e32 v38, 0x7fffff, v2
	v_or_b32_e32 v24, 0x7e, v6
	v_cmp_ne_u64_e32 vcc, s[42:43], v[8:9]
	s_and_saveexec_b64 s[22:23], vcc
	s_xor_b64 s[58:59], exec, s[22:23]
	s_cbranch_execz .LBB6_2216
; %bb.2203:                             ;   in Loop: Header=BB6_2169 Depth=2
	v_and_b32_e32 v8, 0x7fffffff, v2
	v_mov_b32_e32 v9, v39
	v_cmp_gt_u64_e32 vcc, s[44:45], v[8:9]
	s_and_saveexec_b64 s[22:23], vcc
	s_xor_b64 s[60:61], exec, s[22:23]
	s_cbranch_execz .LBB6_2215
; %bb.2204:                             ;   in Loop: Header=BB6_2169 Depth=2
	v_cmp_ne_u32_e32 vcc, 0, v2
	v_mov_b32_e32 v24, 0
	s_and_saveexec_b64 s[62:63], vcc
	s_cbranch_execz .LBB6_2214
; %bb.2205:                             ;   in Loop: Header=BB6_2169 Depth=2
	v_bfe_u32 v2, v2, 23, 8
	v_sub_u32_e32 v8, 0x79, v2
	v_cmp_gt_u32_e32 vcc, s77, v2
	v_cndmask_b32_e32 v8, 0, v8, vcc
	v_cmp_eq_u32_e32 vcc, 0, v2
	v_add_u32_e32 v3, 0xffffff81, v2
	v_or_b32_e32 v9, 0x800000, v38
	v_mov_b32_e32 v2, 0xffffff82
	v_cndmask_b32_e32 v8, v8, v20, vcc
	v_cndmask_b32_e32 v18, v3, v2, vcc
	;; [unrolled: 1-line block ×3, first 2 shown]
	v_add_u32_e32 v2, 20, v8
	v_lshlrev_b64 v[2:3], v2, -1
	v_add_u32_e32 v9, 19, v8
	v_lshrrev_b64 v[24:25], v8, v[38:39]
	v_not_b32_e32 v3, v3
	v_not_b32_e32 v2, v2
	v_lshlrev_b64 v[22:23], v9, 1
	v_lshrrev_b32_e32 v9, 23, v24
	v_and_b32_e32 v3, 0, v3
	v_and_b32_e32 v2, v38, v2
	v_add3_u32 v18, v8, v18, v9
	v_bfe_u32 v8, v24, 20, 1
	v_add_u32_e32 v8, -1, v8
	v_cmp_eq_u64_e32 vcc, v[2:3], v[22:23]
	v_cndmask_b32_e32 v2, 0, v8, vcc
	v_add_u32_e32 v2, v2, v24
	v_and_b32_e32 v2, 0xfffff, v2
	v_add_co_u32_e32 v2, vcc, v2, v24
	v_add_u32_e32 v9, 6, v18
	v_addc_co_u32_e32 v3, vcc, 0, v25, vcc
	v_cmp_ne_u32_e32 vcc, 0, v9
                                        ; implicit-def: $vgpr8
	s_and_saveexec_b64 s[22:23], vcc
	s_xor_b64 s[22:23], exec, s[22:23]
; %bb.2206:                             ;   in Loop: Header=BB6_2169 Depth=2
	v_add_u32_e32 v8, 7, v18
	v_cmp_lt_u64_e32 vcc, s[48:49], v[2:3]
	v_cndmask_b32_e32 v8, v9, v8, vcc
	v_cndmask_b32_e64 v9, 0, 1, vcc
	v_lshrrev_b64 v[2:3], v9, v[2:3]
; %bb.2207:                             ;   in Loop: Header=BB6_2169 Depth=2
	s_andn2_saveexec_b64 s[22:23], s[22:23]
; %bb.2208:                             ;   in Loop: Header=BB6_2169 Depth=2
	v_bfe_u32 v8, v2, 23, 1
; %bb.2209:                             ;   in Loop: Header=BB6_2169 Depth=2
	s_or_b64 exec, exec, s[22:23]
	v_lshrrev_b64 v[2:3], 20, v[2:3]
	v_cmp_gt_i32_e32 vcc, 16, v8
	v_cndmask_b32_e32 v3, 0, v3, vcc
	v_cndmask_b32_e32 v2, 7, v2, vcc
	v_cmp_ne_u32_e32 vcc, 0, v8
	v_cmp_ne_u64_e64 s[22:23], 0, v[2:3]
	s_or_b64 s[22:23], vcc, s[22:23]
                                        ; implicit-def: $vgpr24
	s_and_saveexec_b64 vcc, s[22:23]
	s_xor_b64 s[22:23], exec, vcc
; %bb.2210:                             ;   in Loop: Header=BB6_2169 Depth=2
	v_min_i32_e32 v3, 15, v8
	v_lshl_or_b32 v3, v3, 3, v6
	v_and_or_b32 v24, v2, 7, v3
                                        ; implicit-def: $vgpr6
; %bb.2211:                             ;   in Loop: Header=BB6_2169 Depth=2
	s_andn2_saveexec_b64 s[22:23], s[22:23]
; %bb.2212:                             ;   in Loop: Header=BB6_2169 Depth=2
	v_mov_b32_e32 v24, v6
; %bb.2213:                             ;   in Loop: Header=BB6_2169 Depth=2
	s_or_b64 exec, exec, s[22:23]
.LBB6_2214:                             ;   in Loop: Header=BB6_2169 Depth=2
	s_or_b64 exec, exec, s[62:63]
.LBB6_2215:                             ;   in Loop: Header=BB6_2169 Depth=2
	s_andn2_saveexec_b64 s[22:23], s[60:61]
	s_or_b64 exec, exec, s[22:23]
                                        ; implicit-def: $vgpr2
.LBB6_2216:                             ;   in Loop: Header=BB6_2169 Depth=2
	s_andn2_saveexec_b64 s[22:23], s[58:59]
; %bb.2217:                             ;   in Loop: Header=BB6_2169 Depth=2
	v_or_b32_sdwa v2, v2, s75 dst_sel:DWORD dst_unused:UNUSED_PAD src0_sel:BYTE_3 src1_sel:DWORD
	v_cmp_eq_u64_e32 vcc, 0, v[38:39]
	v_cndmask_b32_e32 v24, v2, v24, vcc
; %bb.2218:                             ;   in Loop: Header=BB6_2169 Depth=2
	s_or_b64 exec, exec, s[22:23]
	flat_load_ubyte v3, v[10:11] offset:128 glc slc
	v_mov_b32_e32 v6, 0
	s_waitcnt vmcnt(0) lgkmcnt(0)
	v_cmp_ne_u16_e32 vcc, 0, v3
	s_and_saveexec_b64 s[22:23], vcc
	s_cbranch_execz .LBB6_2224
; %bb.2219:                             ;   in Loop: Header=BB6_2169 Depth=2
	v_cmp_ne_u16_e32 vcc, s76, v3
	v_bfrev_b32_e32 v6, 1
	s_and_saveexec_b64 s[58:59], vcc
	s_cbranch_execz .LBB6_2223
; %bb.2220:                             ;   in Loop: Header=BB6_2169 Depth=2
	v_and_b32_e32 v2, 0xffff, v3
	v_and_b32_e32 v8, 0x7f, v2
	v_cmp_ne_u32_e32 vcc, s75, v8
	v_mov_b32_e32 v6, 0x7f800001
	s_and_saveexec_b64 s[60:61], vcc
	s_cbranch_execz .LBB6_2222
; %bb.2221:                             ;   in Loop: Header=BB6_2169 Depth=2
	v_and_b32_e32 v6, 7, v2
	v_ffbh_u32_e32 v18, v6
	v_min_u32_e32 v21, 32, v18
	v_subrev_u32_e32 v18, 28, v21
	v_lshlrev_b64 v[18:19], v18, v[2:3]
	v_lshrrev_b32_e32 v9, 3, v8
	v_sub_u32_e32 v2, 29, v21
	v_and_b32_e32 v18, 7, v18
	v_cmp_gt_u32_e32 vcc, 8, v8
	v_cndmask_b32_e32 v2, v9, v2, vcc
	v_cndmask_b32_e32 v6, v6, v18, vcc
	v_lshlrev_b32_e32 v3, 24, v3
	v_lshlrev_b32_e32 v6, 20, v6
	v_and_b32_e32 v3, 0x80000000, v3
	v_lshl_add_u32 v2, v2, 23, v31
	v_or3_b32 v6, v3, v2, v6
.LBB6_2222:                             ;   in Loop: Header=BB6_2169 Depth=2
	s_or_b64 exec, exec, s[60:61]
.LBB6_2223:                             ;   in Loop: Header=BB6_2169 Depth=2
	s_or_b64 exec, exec, s[58:59]
.LBB6_2224:                             ;   in Loop: Header=BB6_2169 Depth=2
	s_or_b64 exec, exec, s[22:23]
	v_mul_f32_e32 v2, s64, v6
	v_and_b32_sdwa v6, v2, s76 dst_sel:DWORD dst_unused:UNUSED_PAD src0_sel:BYTE_3 src1_sel:DWORD
	v_and_b32_e32 v8, 0x7f800000, v2
	v_mov_b32_e32 v9, v39
	v_and_b32_e32 v38, 0x7fffff, v2
	v_or_b32_e32 v35, 0x7e, v6
	v_cmp_ne_u64_e32 vcc, s[42:43], v[8:9]
	s_and_saveexec_b64 s[22:23], vcc
	s_xor_b64 s[58:59], exec, s[22:23]
	s_cbranch_execz .LBB6_2238
; %bb.2225:                             ;   in Loop: Header=BB6_2169 Depth=2
	v_and_b32_e32 v8, 0x7fffffff, v2
	v_mov_b32_e32 v9, v39
	v_cmp_gt_u64_e32 vcc, s[44:45], v[8:9]
	s_and_saveexec_b64 s[22:23], vcc
	s_xor_b64 s[60:61], exec, s[22:23]
	s_cbranch_execz .LBB6_2237
; %bb.2226:                             ;   in Loop: Header=BB6_2169 Depth=2
	v_cmp_ne_u32_e32 vcc, 0, v2
	v_mov_b32_e32 v35, 0
	s_and_saveexec_b64 s[62:63], vcc
	s_cbranch_execz .LBB6_2236
; %bb.2227:                             ;   in Loop: Header=BB6_2169 Depth=2
	v_bfe_u32 v2, v2, 23, 8
	v_sub_u32_e32 v8, 0x79, v2
	v_cmp_gt_u32_e32 vcc, s77, v2
	v_cndmask_b32_e32 v8, 0, v8, vcc
	v_cmp_eq_u32_e32 vcc, 0, v2
	v_add_u32_e32 v3, 0xffffff81, v2
	v_or_b32_e32 v9, 0x800000, v38
	v_mov_b32_e32 v2, 0xffffff82
	v_cndmask_b32_e32 v8, v8, v20, vcc
	v_cndmask_b32_e32 v18, v3, v2, vcc
	;; [unrolled: 1-line block ×3, first 2 shown]
	v_add_u32_e32 v2, 20, v8
	v_lshlrev_b64 v[2:3], v2, -1
	v_add_u32_e32 v9, 19, v8
	v_lshrrev_b64 v[26:27], v8, v[38:39]
	v_not_b32_e32 v3, v3
	v_not_b32_e32 v2, v2
	v_lshlrev_b64 v[22:23], v9, 1
	v_lshrrev_b32_e32 v9, 23, v26
	v_and_b32_e32 v3, 0, v3
	v_and_b32_e32 v2, v38, v2
	v_add3_u32 v18, v8, v18, v9
	v_bfe_u32 v8, v26, 20, 1
	v_add_u32_e32 v8, -1, v8
	v_cmp_eq_u64_e32 vcc, v[2:3], v[22:23]
	v_cndmask_b32_e32 v2, 0, v8, vcc
	v_add_u32_e32 v2, v2, v26
	v_and_b32_e32 v2, 0xfffff, v2
	v_add_co_u32_e32 v2, vcc, v2, v26
	v_add_u32_e32 v9, 6, v18
	v_addc_co_u32_e32 v3, vcc, 0, v27, vcc
	v_cmp_ne_u32_e32 vcc, 0, v9
                                        ; implicit-def: $vgpr8
	s_and_saveexec_b64 s[22:23], vcc
	s_xor_b64 s[22:23], exec, s[22:23]
; %bb.2228:                             ;   in Loop: Header=BB6_2169 Depth=2
	v_add_u32_e32 v8, 7, v18
	v_cmp_lt_u64_e32 vcc, s[48:49], v[2:3]
	v_cndmask_b32_e32 v8, v9, v8, vcc
	v_cndmask_b32_e64 v9, 0, 1, vcc
	v_lshrrev_b64 v[2:3], v9, v[2:3]
; %bb.2229:                             ;   in Loop: Header=BB6_2169 Depth=2
	s_andn2_saveexec_b64 s[22:23], s[22:23]
; %bb.2230:                             ;   in Loop: Header=BB6_2169 Depth=2
	v_bfe_u32 v8, v2, 23, 1
; %bb.2231:                             ;   in Loop: Header=BB6_2169 Depth=2
	s_or_b64 exec, exec, s[22:23]
	v_lshrrev_b64 v[2:3], 20, v[2:3]
	v_cmp_gt_i32_e32 vcc, 16, v8
	v_cndmask_b32_e32 v3, 0, v3, vcc
	v_cndmask_b32_e32 v2, 7, v2, vcc
	v_cmp_ne_u32_e32 vcc, 0, v8
	v_cmp_ne_u64_e64 s[22:23], 0, v[2:3]
	s_or_b64 s[22:23], vcc, s[22:23]
                                        ; implicit-def: $vgpr35
	s_and_saveexec_b64 vcc, s[22:23]
	s_xor_b64 s[22:23], exec, vcc
; %bb.2232:                             ;   in Loop: Header=BB6_2169 Depth=2
	v_min_i32_e32 v3, 15, v8
	v_lshl_or_b32 v3, v3, 3, v6
	v_and_or_b32 v35, v2, 7, v3
                                        ; implicit-def: $vgpr6
; %bb.2233:                             ;   in Loop: Header=BB6_2169 Depth=2
	s_andn2_saveexec_b64 s[22:23], s[22:23]
; %bb.2234:                             ;   in Loop: Header=BB6_2169 Depth=2
	v_mov_b32_e32 v35, v6
; %bb.2235:                             ;   in Loop: Header=BB6_2169 Depth=2
	s_or_b64 exec, exec, s[22:23]
.LBB6_2236:                             ;   in Loop: Header=BB6_2169 Depth=2
	s_or_b64 exec, exec, s[62:63]
.LBB6_2237:                             ;   in Loop: Header=BB6_2169 Depth=2
	s_andn2_saveexec_b64 s[22:23], s[60:61]
	s_or_b64 exec, exec, s[22:23]
                                        ; implicit-def: $vgpr2
.LBB6_2238:                             ;   in Loop: Header=BB6_2169 Depth=2
	s_andn2_saveexec_b64 s[22:23], s[58:59]
; %bb.2239:                             ;   in Loop: Header=BB6_2169 Depth=2
	v_or_b32_sdwa v2, v2, s75 dst_sel:DWORD dst_unused:UNUSED_PAD src0_sel:BYTE_3 src1_sel:DWORD
	v_cmp_eq_u64_e32 vcc, 0, v[38:39]
	v_cndmask_b32_e32 v35, v2, v35, vcc
; %bb.2240:                             ;   in Loop: Header=BB6_2169 Depth=2
	s_or_b64 exec, exec, s[22:23]
	flat_load_ubyte v3, v[10:11] offset:192 glc slc
	v_mov_b32_e32 v6, 0
	s_waitcnt vmcnt(0) lgkmcnt(0)
	v_cmp_ne_u16_e32 vcc, 0, v3
	s_and_saveexec_b64 s[22:23], vcc
	s_cbranch_execz .LBB6_2246
; %bb.2241:                             ;   in Loop: Header=BB6_2169 Depth=2
	v_cmp_ne_u16_e32 vcc, s76, v3
	v_bfrev_b32_e32 v6, 1
	s_and_saveexec_b64 s[58:59], vcc
	s_cbranch_execz .LBB6_2245
; %bb.2242:                             ;   in Loop: Header=BB6_2169 Depth=2
	v_and_b32_e32 v2, 0xffff, v3
	v_and_b32_e32 v8, 0x7f, v2
	v_cmp_ne_u32_e32 vcc, s75, v8
	v_mov_b32_e32 v6, 0x7f800001
	s_and_saveexec_b64 s[60:61], vcc
	s_cbranch_execz .LBB6_2244
; %bb.2243:                             ;   in Loop: Header=BB6_2169 Depth=2
	v_and_b32_e32 v6, 7, v2
	v_ffbh_u32_e32 v18, v6
	v_min_u32_e32 v21, 32, v18
	v_subrev_u32_e32 v18, 28, v21
	v_lshlrev_b64 v[18:19], v18, v[2:3]
	v_lshrrev_b32_e32 v9, 3, v8
	v_sub_u32_e32 v2, 29, v21
	v_and_b32_e32 v18, 7, v18
	v_cmp_gt_u32_e32 vcc, 8, v8
	v_cndmask_b32_e32 v2, v9, v2, vcc
	v_cndmask_b32_e32 v6, v6, v18, vcc
	v_lshlrev_b32_e32 v3, 24, v3
	v_lshlrev_b32_e32 v6, 20, v6
	v_and_b32_e32 v3, 0x80000000, v3
	v_lshl_add_u32 v2, v2, 23, v31
	v_or3_b32 v6, v3, v2, v6
.LBB6_2244:                             ;   in Loop: Header=BB6_2169 Depth=2
	s_or_b64 exec, exec, s[60:61]
.LBB6_2245:                             ;   in Loop: Header=BB6_2169 Depth=2
	s_or_b64 exec, exec, s[58:59]
.LBB6_2246:                             ;   in Loop: Header=BB6_2169 Depth=2
	s_or_b64 exec, exec, s[22:23]
	v_mul_f32_e32 v2, s64, v6
	v_and_b32_sdwa v6, v2, s76 dst_sel:DWORD dst_unused:UNUSED_PAD src0_sel:BYTE_3 src1_sel:DWORD
	v_and_b32_e32 v8, 0x7f800000, v2
	v_mov_b32_e32 v9, v39
	v_and_b32_e32 v38, 0x7fffff, v2
	v_or_b32_e32 v34, 0x7e, v6
	v_cmp_ne_u64_e32 vcc, s[42:43], v[8:9]
	s_and_saveexec_b64 s[22:23], vcc
	s_xor_b64 s[58:59], exec, s[22:23]
	s_cbranch_execz .LBB6_2260
; %bb.2247:                             ;   in Loop: Header=BB6_2169 Depth=2
	v_and_b32_e32 v8, 0x7fffffff, v2
	v_mov_b32_e32 v9, v39
	v_cmp_gt_u64_e32 vcc, s[44:45], v[8:9]
	s_and_saveexec_b64 s[22:23], vcc
	s_xor_b64 s[60:61], exec, s[22:23]
	s_cbranch_execz .LBB6_2259
; %bb.2248:                             ;   in Loop: Header=BB6_2169 Depth=2
	v_cmp_ne_u32_e32 vcc, 0, v2
	v_mov_b32_e32 v34, 0
	s_and_saveexec_b64 s[62:63], vcc
	s_cbranch_execz .LBB6_2258
; %bb.2249:                             ;   in Loop: Header=BB6_2169 Depth=2
	v_bfe_u32 v2, v2, 23, 8
	v_sub_u32_e32 v8, 0x79, v2
	v_cmp_gt_u32_e32 vcc, s77, v2
	v_cndmask_b32_e32 v8, 0, v8, vcc
	v_cmp_eq_u32_e32 vcc, 0, v2
	v_add_u32_e32 v3, 0xffffff81, v2
	v_or_b32_e32 v9, 0x800000, v38
	v_mov_b32_e32 v2, 0xffffff82
	v_cndmask_b32_e32 v8, v8, v20, vcc
	v_cndmask_b32_e32 v18, v3, v2, vcc
	;; [unrolled: 1-line block ×3, first 2 shown]
	v_add_u32_e32 v2, 20, v8
	v_lshlrev_b64 v[2:3], v2, -1
	v_add_u32_e32 v9, 19, v8
	v_lshrrev_b64 v[26:27], v8, v[38:39]
	v_not_b32_e32 v3, v3
	v_not_b32_e32 v2, v2
	v_lshlrev_b64 v[22:23], v9, 1
	v_lshrrev_b32_e32 v9, 23, v26
	v_and_b32_e32 v3, 0, v3
	v_and_b32_e32 v2, v38, v2
	v_add3_u32 v18, v8, v18, v9
	v_bfe_u32 v8, v26, 20, 1
	v_add_u32_e32 v8, -1, v8
	v_cmp_eq_u64_e32 vcc, v[2:3], v[22:23]
	v_cndmask_b32_e32 v2, 0, v8, vcc
	v_add_u32_e32 v2, v2, v26
	v_and_b32_e32 v2, 0xfffff, v2
	v_add_co_u32_e32 v2, vcc, v2, v26
	v_add_u32_e32 v9, 6, v18
	v_addc_co_u32_e32 v3, vcc, 0, v27, vcc
	v_cmp_ne_u32_e32 vcc, 0, v9
                                        ; implicit-def: $vgpr8
	s_and_saveexec_b64 s[22:23], vcc
	s_xor_b64 s[22:23], exec, s[22:23]
; %bb.2250:                             ;   in Loop: Header=BB6_2169 Depth=2
	v_add_u32_e32 v8, 7, v18
	v_cmp_lt_u64_e32 vcc, s[48:49], v[2:3]
	v_cndmask_b32_e32 v8, v9, v8, vcc
	v_cndmask_b32_e64 v9, 0, 1, vcc
	v_lshrrev_b64 v[2:3], v9, v[2:3]
; %bb.2251:                             ;   in Loop: Header=BB6_2169 Depth=2
	s_andn2_saveexec_b64 s[22:23], s[22:23]
; %bb.2252:                             ;   in Loop: Header=BB6_2169 Depth=2
	v_bfe_u32 v8, v2, 23, 1
; %bb.2253:                             ;   in Loop: Header=BB6_2169 Depth=2
	s_or_b64 exec, exec, s[22:23]
	v_lshrrev_b64 v[2:3], 20, v[2:3]
	v_cmp_gt_i32_e32 vcc, 16, v8
	v_cndmask_b32_e32 v3, 0, v3, vcc
	v_cndmask_b32_e32 v2, 7, v2, vcc
	v_cmp_ne_u32_e32 vcc, 0, v8
	v_cmp_ne_u64_e64 s[22:23], 0, v[2:3]
	s_or_b64 s[22:23], vcc, s[22:23]
                                        ; implicit-def: $vgpr34
	s_and_saveexec_b64 vcc, s[22:23]
	s_xor_b64 s[22:23], exec, vcc
; %bb.2254:                             ;   in Loop: Header=BB6_2169 Depth=2
	v_min_i32_e32 v3, 15, v8
	v_lshl_or_b32 v3, v3, 3, v6
	v_and_or_b32 v34, v2, 7, v3
                                        ; implicit-def: $vgpr6
; %bb.2255:                             ;   in Loop: Header=BB6_2169 Depth=2
	s_andn2_saveexec_b64 s[22:23], s[22:23]
; %bb.2256:                             ;   in Loop: Header=BB6_2169 Depth=2
	v_mov_b32_e32 v34, v6
; %bb.2257:                             ;   in Loop: Header=BB6_2169 Depth=2
	s_or_b64 exec, exec, s[22:23]
.LBB6_2258:                             ;   in Loop: Header=BB6_2169 Depth=2
	s_or_b64 exec, exec, s[62:63]
.LBB6_2259:                             ;   in Loop: Header=BB6_2169 Depth=2
	s_andn2_saveexec_b64 s[22:23], s[60:61]
	s_or_b64 exec, exec, s[22:23]
                                        ; implicit-def: $vgpr2
.LBB6_2260:                             ;   in Loop: Header=BB6_2169 Depth=2
	s_andn2_saveexec_b64 s[22:23], s[58:59]
; %bb.2261:                             ;   in Loop: Header=BB6_2169 Depth=2
	v_or_b32_sdwa v2, v2, s75 dst_sel:DWORD dst_unused:UNUSED_PAD src0_sel:BYTE_3 src1_sel:DWORD
	v_cmp_eq_u64_e32 vcc, 0, v[38:39]
	v_cndmask_b32_e32 v34, v2, v34, vcc
; %bb.2262:                             ;   in Loop: Header=BB6_2169 Depth=2
	s_or_b64 exec, exec, s[22:23]
	flat_load_ubyte v3, v[10:11] offset:256 glc slc
	v_mov_b32_e32 v6, 0
	s_waitcnt vmcnt(0) lgkmcnt(0)
	v_cmp_ne_u16_e32 vcc, 0, v3
	s_and_saveexec_b64 s[22:23], vcc
	s_cbranch_execz .LBB6_2268
; %bb.2263:                             ;   in Loop: Header=BB6_2169 Depth=2
	v_cmp_ne_u16_e32 vcc, s76, v3
	v_bfrev_b32_e32 v6, 1
	s_and_saveexec_b64 s[58:59], vcc
	s_cbranch_execz .LBB6_2267
; %bb.2264:                             ;   in Loop: Header=BB6_2169 Depth=2
	v_and_b32_e32 v2, 0xffff, v3
	v_and_b32_e32 v8, 0x7f, v2
	v_cmp_ne_u32_e32 vcc, s75, v8
	v_mov_b32_e32 v6, 0x7f800001
	s_and_saveexec_b64 s[60:61], vcc
	s_cbranch_execz .LBB6_2266
; %bb.2265:                             ;   in Loop: Header=BB6_2169 Depth=2
	v_and_b32_e32 v6, 7, v2
	v_ffbh_u32_e32 v18, v6
	v_min_u32_e32 v21, 32, v18
	v_subrev_u32_e32 v18, 28, v21
	v_lshlrev_b64 v[18:19], v18, v[2:3]
	v_lshrrev_b32_e32 v9, 3, v8
	v_sub_u32_e32 v2, 29, v21
	v_and_b32_e32 v18, 7, v18
	v_cmp_gt_u32_e32 vcc, 8, v8
	v_cndmask_b32_e32 v2, v9, v2, vcc
	v_cndmask_b32_e32 v6, v6, v18, vcc
	v_lshlrev_b32_e32 v3, 24, v3
	v_lshlrev_b32_e32 v6, 20, v6
	v_and_b32_e32 v3, 0x80000000, v3
	v_lshl_add_u32 v2, v2, 23, v31
	v_or3_b32 v6, v3, v2, v6
.LBB6_2266:                             ;   in Loop: Header=BB6_2169 Depth=2
	s_or_b64 exec, exec, s[60:61]
.LBB6_2267:                             ;   in Loop: Header=BB6_2169 Depth=2
	s_or_b64 exec, exec, s[58:59]
.LBB6_2268:                             ;   in Loop: Header=BB6_2169 Depth=2
	s_or_b64 exec, exec, s[22:23]
	v_mul_f32_e32 v2, s64, v6
	v_and_b32_sdwa v6, v2, s76 dst_sel:DWORD dst_unused:UNUSED_PAD src0_sel:BYTE_3 src1_sel:DWORD
	v_and_b32_e32 v8, 0x7f800000, v2
	v_mov_b32_e32 v9, v39
	v_and_b32_e32 v38, 0x7fffff, v2
	v_or_b32_e32 v33, 0x7e, v6
	v_cmp_ne_u64_e32 vcc, s[42:43], v[8:9]
	s_and_saveexec_b64 s[22:23], vcc
	s_xor_b64 s[58:59], exec, s[22:23]
	s_cbranch_execz .LBB6_2282
; %bb.2269:                             ;   in Loop: Header=BB6_2169 Depth=2
	v_and_b32_e32 v8, 0x7fffffff, v2
	v_mov_b32_e32 v9, v39
	v_cmp_gt_u64_e32 vcc, s[44:45], v[8:9]
	s_and_saveexec_b64 s[22:23], vcc
	s_xor_b64 s[60:61], exec, s[22:23]
	s_cbranch_execz .LBB6_2281
; %bb.2270:                             ;   in Loop: Header=BB6_2169 Depth=2
	v_cmp_ne_u32_e32 vcc, 0, v2
	v_mov_b32_e32 v33, 0
	s_and_saveexec_b64 s[62:63], vcc
	s_cbranch_execz .LBB6_2280
; %bb.2271:                             ;   in Loop: Header=BB6_2169 Depth=2
	v_bfe_u32 v2, v2, 23, 8
	v_sub_u32_e32 v8, 0x79, v2
	v_cmp_gt_u32_e32 vcc, s77, v2
	v_cndmask_b32_e32 v8, 0, v8, vcc
	v_cmp_eq_u32_e32 vcc, 0, v2
	v_add_u32_e32 v3, 0xffffff81, v2
	v_or_b32_e32 v9, 0x800000, v38
	v_mov_b32_e32 v2, 0xffffff82
	v_cndmask_b32_e32 v8, v8, v20, vcc
	v_cndmask_b32_e32 v18, v3, v2, vcc
	;; [unrolled: 1-line block ×3, first 2 shown]
	v_add_u32_e32 v2, 20, v8
	v_lshlrev_b64 v[2:3], v2, -1
	v_add_u32_e32 v9, 19, v8
	v_lshrrev_b64 v[26:27], v8, v[38:39]
	v_not_b32_e32 v3, v3
	v_not_b32_e32 v2, v2
	v_lshlrev_b64 v[22:23], v9, 1
	v_lshrrev_b32_e32 v9, 23, v26
	v_and_b32_e32 v3, 0, v3
	v_and_b32_e32 v2, v38, v2
	v_add3_u32 v18, v8, v18, v9
	v_bfe_u32 v8, v26, 20, 1
	v_add_u32_e32 v8, -1, v8
	v_cmp_eq_u64_e32 vcc, v[2:3], v[22:23]
	v_cndmask_b32_e32 v2, 0, v8, vcc
	v_add_u32_e32 v2, v2, v26
	v_and_b32_e32 v2, 0xfffff, v2
	v_add_co_u32_e32 v2, vcc, v2, v26
	v_add_u32_e32 v9, 6, v18
	v_addc_co_u32_e32 v3, vcc, 0, v27, vcc
	v_cmp_ne_u32_e32 vcc, 0, v9
                                        ; implicit-def: $vgpr8
	s_and_saveexec_b64 s[22:23], vcc
	s_xor_b64 s[22:23], exec, s[22:23]
; %bb.2272:                             ;   in Loop: Header=BB6_2169 Depth=2
	v_add_u32_e32 v8, 7, v18
	v_cmp_lt_u64_e32 vcc, s[48:49], v[2:3]
	v_cndmask_b32_e32 v8, v9, v8, vcc
	v_cndmask_b32_e64 v9, 0, 1, vcc
	v_lshrrev_b64 v[2:3], v9, v[2:3]
; %bb.2273:                             ;   in Loop: Header=BB6_2169 Depth=2
	s_andn2_saveexec_b64 s[22:23], s[22:23]
; %bb.2274:                             ;   in Loop: Header=BB6_2169 Depth=2
	v_bfe_u32 v8, v2, 23, 1
; %bb.2275:                             ;   in Loop: Header=BB6_2169 Depth=2
	s_or_b64 exec, exec, s[22:23]
	v_lshrrev_b64 v[2:3], 20, v[2:3]
	v_cmp_gt_i32_e32 vcc, 16, v8
	v_cndmask_b32_e32 v3, 0, v3, vcc
	v_cndmask_b32_e32 v2, 7, v2, vcc
	v_cmp_ne_u32_e32 vcc, 0, v8
	v_cmp_ne_u64_e64 s[22:23], 0, v[2:3]
	s_or_b64 s[22:23], vcc, s[22:23]
                                        ; implicit-def: $vgpr33
	s_and_saveexec_b64 vcc, s[22:23]
	s_xor_b64 s[22:23], exec, vcc
; %bb.2276:                             ;   in Loop: Header=BB6_2169 Depth=2
	v_min_i32_e32 v3, 15, v8
	v_lshl_or_b32 v3, v3, 3, v6
	v_and_or_b32 v33, v2, 7, v3
                                        ; implicit-def: $vgpr6
; %bb.2277:                             ;   in Loop: Header=BB6_2169 Depth=2
	s_andn2_saveexec_b64 s[22:23], s[22:23]
; %bb.2278:                             ;   in Loop: Header=BB6_2169 Depth=2
	v_mov_b32_e32 v33, v6
; %bb.2279:                             ;   in Loop: Header=BB6_2169 Depth=2
	s_or_b64 exec, exec, s[22:23]
.LBB6_2280:                             ;   in Loop: Header=BB6_2169 Depth=2
	s_or_b64 exec, exec, s[62:63]
.LBB6_2281:                             ;   in Loop: Header=BB6_2169 Depth=2
	s_andn2_saveexec_b64 s[22:23], s[60:61]
	s_or_b64 exec, exec, s[22:23]
                                        ; implicit-def: $vgpr2
.LBB6_2282:                             ;   in Loop: Header=BB6_2169 Depth=2
	s_andn2_saveexec_b64 s[22:23], s[58:59]
; %bb.2283:                             ;   in Loop: Header=BB6_2169 Depth=2
	v_or_b32_sdwa v2, v2, s75 dst_sel:DWORD dst_unused:UNUSED_PAD src0_sel:BYTE_3 src1_sel:DWORD
	v_cmp_eq_u64_e32 vcc, 0, v[38:39]
	v_cndmask_b32_e32 v33, v2, v33, vcc
; %bb.2284:                             ;   in Loop: Header=BB6_2169 Depth=2
	s_or_b64 exec, exec, s[22:23]
	flat_load_ubyte v3, v[10:11] offset:320 glc slc
	v_mov_b32_e32 v6, 0
	s_waitcnt vmcnt(0) lgkmcnt(0)
	v_cmp_ne_u16_e32 vcc, 0, v3
	s_and_saveexec_b64 s[22:23], vcc
	s_cbranch_execz .LBB6_2290
; %bb.2285:                             ;   in Loop: Header=BB6_2169 Depth=2
	v_cmp_ne_u16_e32 vcc, s76, v3
	v_bfrev_b32_e32 v6, 1
	s_and_saveexec_b64 s[58:59], vcc
	s_cbranch_execz .LBB6_2289
; %bb.2286:                             ;   in Loop: Header=BB6_2169 Depth=2
	v_and_b32_e32 v2, 0xffff, v3
	v_and_b32_e32 v8, 0x7f, v2
	v_cmp_ne_u32_e32 vcc, s75, v8
	v_mov_b32_e32 v6, 0x7f800001
	s_and_saveexec_b64 s[60:61], vcc
	s_cbranch_execz .LBB6_2288
; %bb.2287:                             ;   in Loop: Header=BB6_2169 Depth=2
	v_and_b32_e32 v6, 7, v2
	v_ffbh_u32_e32 v18, v6
	v_min_u32_e32 v21, 32, v18
	v_subrev_u32_e32 v18, 28, v21
	v_lshlrev_b64 v[18:19], v18, v[2:3]
	v_lshrrev_b32_e32 v9, 3, v8
	v_sub_u32_e32 v2, 29, v21
	v_and_b32_e32 v18, 7, v18
	v_cmp_gt_u32_e32 vcc, 8, v8
	v_cndmask_b32_e32 v2, v9, v2, vcc
	v_cndmask_b32_e32 v6, v6, v18, vcc
	v_lshlrev_b32_e32 v3, 24, v3
	v_lshlrev_b32_e32 v6, 20, v6
	v_and_b32_e32 v3, 0x80000000, v3
	v_lshl_add_u32 v2, v2, 23, v31
	v_or3_b32 v6, v3, v2, v6
.LBB6_2288:                             ;   in Loop: Header=BB6_2169 Depth=2
	s_or_b64 exec, exec, s[60:61]
.LBB6_2289:                             ;   in Loop: Header=BB6_2169 Depth=2
	s_or_b64 exec, exec, s[58:59]
.LBB6_2290:                             ;   in Loop: Header=BB6_2169 Depth=2
	s_or_b64 exec, exec, s[22:23]
	v_mul_f32_e32 v2, s64, v6
	v_and_b32_sdwa v6, v2, s76 dst_sel:DWORD dst_unused:UNUSED_PAD src0_sel:BYTE_3 src1_sel:DWORD
	v_and_b32_e32 v8, 0x7f800000, v2
	v_mov_b32_e32 v9, v39
	v_and_b32_e32 v38, 0x7fffff, v2
	v_or_b32_e32 v32, 0x7e, v6
	v_cmp_ne_u64_e32 vcc, s[42:43], v[8:9]
	s_and_saveexec_b64 s[22:23], vcc
	s_xor_b64 s[58:59], exec, s[22:23]
	s_cbranch_execz .LBB6_2304
; %bb.2291:                             ;   in Loop: Header=BB6_2169 Depth=2
	v_and_b32_e32 v8, 0x7fffffff, v2
	v_mov_b32_e32 v9, v39
	v_cmp_gt_u64_e32 vcc, s[44:45], v[8:9]
	s_and_saveexec_b64 s[22:23], vcc
	s_xor_b64 s[60:61], exec, s[22:23]
	s_cbranch_execz .LBB6_2303
; %bb.2292:                             ;   in Loop: Header=BB6_2169 Depth=2
	v_cmp_ne_u32_e32 vcc, 0, v2
	v_mov_b32_e32 v32, 0
	s_and_saveexec_b64 s[62:63], vcc
	s_cbranch_execz .LBB6_2302
; %bb.2293:                             ;   in Loop: Header=BB6_2169 Depth=2
	v_bfe_u32 v2, v2, 23, 8
	v_sub_u32_e32 v8, 0x79, v2
	v_cmp_gt_u32_e32 vcc, s77, v2
	v_cndmask_b32_e32 v8, 0, v8, vcc
	v_cmp_eq_u32_e32 vcc, 0, v2
	v_add_u32_e32 v3, 0xffffff81, v2
	v_or_b32_e32 v9, 0x800000, v38
	v_mov_b32_e32 v2, 0xffffff82
	v_cndmask_b32_e32 v8, v8, v20, vcc
	v_cndmask_b32_e32 v18, v3, v2, vcc
	;; [unrolled: 1-line block ×3, first 2 shown]
	v_add_u32_e32 v2, 20, v8
	v_lshlrev_b64 v[2:3], v2, -1
	v_add_u32_e32 v9, 19, v8
	v_lshrrev_b64 v[26:27], v8, v[38:39]
	v_not_b32_e32 v3, v3
	v_not_b32_e32 v2, v2
	v_lshlrev_b64 v[22:23], v9, 1
	v_lshrrev_b32_e32 v9, 23, v26
	v_and_b32_e32 v3, 0, v3
	v_and_b32_e32 v2, v38, v2
	v_add3_u32 v18, v8, v18, v9
	v_bfe_u32 v8, v26, 20, 1
	v_add_u32_e32 v8, -1, v8
	v_cmp_eq_u64_e32 vcc, v[2:3], v[22:23]
	v_cndmask_b32_e32 v2, 0, v8, vcc
	v_add_u32_e32 v2, v2, v26
	v_and_b32_e32 v2, 0xfffff, v2
	v_add_co_u32_e32 v2, vcc, v2, v26
	v_add_u32_e32 v9, 6, v18
	v_addc_co_u32_e32 v3, vcc, 0, v27, vcc
	v_cmp_ne_u32_e32 vcc, 0, v9
                                        ; implicit-def: $vgpr8
	s_and_saveexec_b64 s[22:23], vcc
	s_xor_b64 s[22:23], exec, s[22:23]
; %bb.2294:                             ;   in Loop: Header=BB6_2169 Depth=2
	v_add_u32_e32 v8, 7, v18
	v_cmp_lt_u64_e32 vcc, s[48:49], v[2:3]
	v_cndmask_b32_e32 v8, v9, v8, vcc
	v_cndmask_b32_e64 v9, 0, 1, vcc
	v_lshrrev_b64 v[2:3], v9, v[2:3]
; %bb.2295:                             ;   in Loop: Header=BB6_2169 Depth=2
	s_andn2_saveexec_b64 s[22:23], s[22:23]
; %bb.2296:                             ;   in Loop: Header=BB6_2169 Depth=2
	v_bfe_u32 v8, v2, 23, 1
; %bb.2297:                             ;   in Loop: Header=BB6_2169 Depth=2
	s_or_b64 exec, exec, s[22:23]
	v_lshrrev_b64 v[2:3], 20, v[2:3]
	v_cmp_gt_i32_e32 vcc, 16, v8
	v_cndmask_b32_e32 v3, 0, v3, vcc
	v_cndmask_b32_e32 v2, 7, v2, vcc
	v_cmp_ne_u32_e32 vcc, 0, v8
	v_cmp_ne_u64_e64 s[22:23], 0, v[2:3]
	s_or_b64 s[22:23], vcc, s[22:23]
                                        ; implicit-def: $vgpr32
	s_and_saveexec_b64 vcc, s[22:23]
	s_xor_b64 s[22:23], exec, vcc
; %bb.2298:                             ;   in Loop: Header=BB6_2169 Depth=2
	v_min_i32_e32 v3, 15, v8
	v_lshl_or_b32 v3, v3, 3, v6
	v_and_or_b32 v32, v2, 7, v3
                                        ; implicit-def: $vgpr6
; %bb.2299:                             ;   in Loop: Header=BB6_2169 Depth=2
	s_andn2_saveexec_b64 s[22:23], s[22:23]
; %bb.2300:                             ;   in Loop: Header=BB6_2169 Depth=2
	v_mov_b32_e32 v32, v6
; %bb.2301:                             ;   in Loop: Header=BB6_2169 Depth=2
	s_or_b64 exec, exec, s[22:23]
.LBB6_2302:                             ;   in Loop: Header=BB6_2169 Depth=2
	s_or_b64 exec, exec, s[62:63]
.LBB6_2303:                             ;   in Loop: Header=BB6_2169 Depth=2
	s_andn2_saveexec_b64 s[22:23], s[60:61]
	s_or_b64 exec, exec, s[22:23]
                                        ; implicit-def: $vgpr2
.LBB6_2304:                             ;   in Loop: Header=BB6_2169 Depth=2
	s_andn2_saveexec_b64 s[22:23], s[58:59]
; %bb.2305:                             ;   in Loop: Header=BB6_2169 Depth=2
	v_or_b32_sdwa v2, v2, s75 dst_sel:DWORD dst_unused:UNUSED_PAD src0_sel:BYTE_3 src1_sel:DWORD
	v_cmp_eq_u64_e32 vcc, 0, v[38:39]
	v_cndmask_b32_e32 v32, v2, v32, vcc
; %bb.2306:                             ;   in Loop: Header=BB6_2169 Depth=2
	s_or_b64 exec, exec, s[22:23]
	flat_load_ubyte v3, v[10:11] offset:384 glc slc
	v_mov_b32_e32 v6, 0
	s_waitcnt vmcnt(0) lgkmcnt(0)
	v_cmp_ne_u16_e32 vcc, 0, v3
	s_and_saveexec_b64 s[22:23], vcc
	s_cbranch_execz .LBB6_2312
; %bb.2307:                             ;   in Loop: Header=BB6_2169 Depth=2
	v_cmp_ne_u16_e32 vcc, s76, v3
	v_bfrev_b32_e32 v6, 1
	s_and_saveexec_b64 s[58:59], vcc
	s_cbranch_execz .LBB6_2311
; %bb.2308:                             ;   in Loop: Header=BB6_2169 Depth=2
	v_and_b32_e32 v2, 0xffff, v3
	v_and_b32_e32 v8, 0x7f, v2
	v_cmp_ne_u32_e32 vcc, s75, v8
	v_mov_b32_e32 v6, 0x7f800001
	s_and_saveexec_b64 s[60:61], vcc
	s_cbranch_execz .LBB6_2310
; %bb.2309:                             ;   in Loop: Header=BB6_2169 Depth=2
	v_and_b32_e32 v6, 7, v2
	v_ffbh_u32_e32 v18, v6
	v_min_u32_e32 v21, 32, v18
	v_subrev_u32_e32 v18, 28, v21
	v_lshlrev_b64 v[18:19], v18, v[2:3]
	v_lshrrev_b32_e32 v9, 3, v8
	v_sub_u32_e32 v2, 29, v21
	v_and_b32_e32 v18, 7, v18
	v_cmp_gt_u32_e32 vcc, 8, v8
	v_cndmask_b32_e32 v2, v9, v2, vcc
	v_cndmask_b32_e32 v6, v6, v18, vcc
	v_lshlrev_b32_e32 v3, 24, v3
	v_lshlrev_b32_e32 v6, 20, v6
	v_and_b32_e32 v3, 0x80000000, v3
	v_lshl_add_u32 v2, v2, 23, v31
	v_or3_b32 v6, v3, v2, v6
.LBB6_2310:                             ;   in Loop: Header=BB6_2169 Depth=2
	s_or_b64 exec, exec, s[60:61]
.LBB6_2311:                             ;   in Loop: Header=BB6_2169 Depth=2
	s_or_b64 exec, exec, s[58:59]
.LBB6_2312:                             ;   in Loop: Header=BB6_2169 Depth=2
	s_or_b64 exec, exec, s[22:23]
	v_mul_f32_e32 v2, s64, v6
	v_and_b32_sdwa v6, v2, s76 dst_sel:DWORD dst_unused:UNUSED_PAD src0_sel:BYTE_3 src1_sel:DWORD
	v_and_b32_e32 v8, 0x7f800000, v2
	v_mov_b32_e32 v9, v39
	v_and_b32_e32 v38, 0x7fffff, v2
	v_or_b32_e32 v30, 0x7e, v6
	v_cmp_ne_u64_e32 vcc, s[42:43], v[8:9]
	s_and_saveexec_b64 s[22:23], vcc
	s_xor_b64 s[58:59], exec, s[22:23]
	s_cbranch_execz .LBB6_2326
; %bb.2313:                             ;   in Loop: Header=BB6_2169 Depth=2
	v_and_b32_e32 v8, 0x7fffffff, v2
	v_mov_b32_e32 v9, v39
	v_cmp_gt_u64_e32 vcc, s[44:45], v[8:9]
	s_and_saveexec_b64 s[22:23], vcc
	s_xor_b64 s[60:61], exec, s[22:23]
	s_cbranch_execz .LBB6_2325
; %bb.2314:                             ;   in Loop: Header=BB6_2169 Depth=2
	v_cmp_ne_u32_e32 vcc, 0, v2
	v_mov_b32_e32 v30, 0
	s_and_saveexec_b64 s[62:63], vcc
	s_cbranch_execz .LBB6_2324
; %bb.2315:                             ;   in Loop: Header=BB6_2169 Depth=2
	v_bfe_u32 v2, v2, 23, 8
	v_sub_u32_e32 v8, 0x79, v2
	v_cmp_gt_u32_e32 vcc, s77, v2
	v_cndmask_b32_e32 v8, 0, v8, vcc
	v_cmp_eq_u32_e32 vcc, 0, v2
	v_add_u32_e32 v3, 0xffffff81, v2
	v_or_b32_e32 v9, 0x800000, v38
	v_mov_b32_e32 v2, 0xffffff82
	v_cndmask_b32_e32 v8, v8, v20, vcc
	v_cndmask_b32_e32 v18, v3, v2, vcc
	;; [unrolled: 1-line block ×3, first 2 shown]
	v_add_u32_e32 v2, 20, v8
	v_lshlrev_b64 v[2:3], v2, -1
	v_add_u32_e32 v9, 19, v8
	v_lshrrev_b64 v[26:27], v8, v[38:39]
	v_not_b32_e32 v3, v3
	v_not_b32_e32 v2, v2
	v_lshlrev_b64 v[22:23], v9, 1
	v_lshrrev_b32_e32 v9, 23, v26
	v_and_b32_e32 v3, 0, v3
	v_and_b32_e32 v2, v38, v2
	v_add3_u32 v18, v8, v18, v9
	v_bfe_u32 v8, v26, 20, 1
	v_add_u32_e32 v8, -1, v8
	v_cmp_eq_u64_e32 vcc, v[2:3], v[22:23]
	v_cndmask_b32_e32 v2, 0, v8, vcc
	v_add_u32_e32 v2, v2, v26
	v_and_b32_e32 v2, 0xfffff, v2
	v_add_co_u32_e32 v2, vcc, v2, v26
	v_add_u32_e32 v9, 6, v18
	v_addc_co_u32_e32 v3, vcc, 0, v27, vcc
	v_cmp_ne_u32_e32 vcc, 0, v9
                                        ; implicit-def: $vgpr8
	s_and_saveexec_b64 s[22:23], vcc
	s_xor_b64 s[22:23], exec, s[22:23]
; %bb.2316:                             ;   in Loop: Header=BB6_2169 Depth=2
	v_add_u32_e32 v8, 7, v18
	v_cmp_lt_u64_e32 vcc, s[48:49], v[2:3]
	v_cndmask_b32_e32 v8, v9, v8, vcc
	v_cndmask_b32_e64 v9, 0, 1, vcc
	v_lshrrev_b64 v[2:3], v9, v[2:3]
; %bb.2317:                             ;   in Loop: Header=BB6_2169 Depth=2
	s_andn2_saveexec_b64 s[22:23], s[22:23]
; %bb.2318:                             ;   in Loop: Header=BB6_2169 Depth=2
	v_bfe_u32 v8, v2, 23, 1
; %bb.2319:                             ;   in Loop: Header=BB6_2169 Depth=2
	s_or_b64 exec, exec, s[22:23]
	v_lshrrev_b64 v[2:3], 20, v[2:3]
	v_cmp_gt_i32_e32 vcc, 16, v8
	v_cndmask_b32_e32 v3, 0, v3, vcc
	v_cndmask_b32_e32 v2, 7, v2, vcc
	v_cmp_ne_u32_e32 vcc, 0, v8
	v_cmp_ne_u64_e64 s[22:23], 0, v[2:3]
	s_or_b64 s[22:23], vcc, s[22:23]
                                        ; implicit-def: $vgpr30
	s_and_saveexec_b64 vcc, s[22:23]
	s_xor_b64 s[22:23], exec, vcc
; %bb.2320:                             ;   in Loop: Header=BB6_2169 Depth=2
	v_min_i32_e32 v3, 15, v8
	v_lshl_or_b32 v3, v3, 3, v6
	v_and_or_b32 v30, v2, 7, v3
                                        ; implicit-def: $vgpr6
; %bb.2321:                             ;   in Loop: Header=BB6_2169 Depth=2
	s_andn2_saveexec_b64 s[22:23], s[22:23]
; %bb.2322:                             ;   in Loop: Header=BB6_2169 Depth=2
	v_mov_b32_e32 v30, v6
; %bb.2323:                             ;   in Loop: Header=BB6_2169 Depth=2
	s_or_b64 exec, exec, s[22:23]
.LBB6_2324:                             ;   in Loop: Header=BB6_2169 Depth=2
	s_or_b64 exec, exec, s[62:63]
.LBB6_2325:                             ;   in Loop: Header=BB6_2169 Depth=2
	s_andn2_saveexec_b64 s[22:23], s[60:61]
	s_or_b64 exec, exec, s[22:23]
                                        ; implicit-def: $vgpr2
.LBB6_2326:                             ;   in Loop: Header=BB6_2169 Depth=2
	s_andn2_saveexec_b64 s[22:23], s[58:59]
; %bb.2327:                             ;   in Loop: Header=BB6_2169 Depth=2
	v_or_b32_sdwa v2, v2, s75 dst_sel:DWORD dst_unused:UNUSED_PAD src0_sel:BYTE_3 src1_sel:DWORD
	v_cmp_eq_u64_e32 vcc, 0, v[38:39]
	v_cndmask_b32_e32 v30, v2, v30, vcc
; %bb.2328:                             ;   in Loop: Header=BB6_2169 Depth=2
	s_or_b64 exec, exec, s[22:23]
	flat_load_ubyte v3, v[10:11] offset:448 glc slc
	v_mov_b32_e32 v6, 0
	s_waitcnt vmcnt(0) lgkmcnt(0)
	v_cmp_ne_u16_e32 vcc, 0, v3
	s_and_saveexec_b64 s[22:23], vcc
	s_cbranch_execz .LBB6_2334
; %bb.2329:                             ;   in Loop: Header=BB6_2169 Depth=2
	v_cmp_ne_u16_e32 vcc, s76, v3
	v_bfrev_b32_e32 v6, 1
	s_and_saveexec_b64 s[58:59], vcc
	s_cbranch_execz .LBB6_2333
; %bb.2330:                             ;   in Loop: Header=BB6_2169 Depth=2
	v_and_b32_e32 v2, 0xffff, v3
	v_and_b32_e32 v8, 0x7f, v2
	v_cmp_ne_u32_e32 vcc, s75, v8
	v_mov_b32_e32 v6, 0x7f800001
	s_and_saveexec_b64 s[60:61], vcc
	s_cbranch_execz .LBB6_2332
; %bb.2331:                             ;   in Loop: Header=BB6_2169 Depth=2
	v_and_b32_e32 v6, 7, v2
	v_ffbh_u32_e32 v18, v6
	v_min_u32_e32 v21, 32, v18
	v_subrev_u32_e32 v18, 28, v21
	v_lshlrev_b64 v[18:19], v18, v[2:3]
	v_lshrrev_b32_e32 v9, 3, v8
	v_sub_u32_e32 v2, 29, v21
	v_and_b32_e32 v18, 7, v18
	v_cmp_gt_u32_e32 vcc, 8, v8
	v_cndmask_b32_e32 v2, v9, v2, vcc
	v_cndmask_b32_e32 v6, v6, v18, vcc
	v_lshlrev_b32_e32 v3, 24, v3
	v_lshlrev_b32_e32 v6, 20, v6
	v_and_b32_e32 v3, 0x80000000, v3
	v_lshl_add_u32 v2, v2, 23, v31
	v_or3_b32 v6, v3, v2, v6
.LBB6_2332:                             ;   in Loop: Header=BB6_2169 Depth=2
	s_or_b64 exec, exec, s[60:61]
.LBB6_2333:                             ;   in Loop: Header=BB6_2169 Depth=2
	s_or_b64 exec, exec, s[58:59]
.LBB6_2334:                             ;   in Loop: Header=BB6_2169 Depth=2
	s_or_b64 exec, exec, s[22:23]
	v_mul_f32_e32 v2, s64, v6
	v_and_b32_sdwa v6, v2, s76 dst_sel:DWORD dst_unused:UNUSED_PAD src0_sel:BYTE_3 src1_sel:DWORD
	v_and_b32_e32 v8, 0x7f800000, v2
	v_mov_b32_e32 v9, v39
	v_and_b32_e32 v38, 0x7fffff, v2
	v_or_b32_e32 v27, 0x7e, v6
	v_cmp_ne_u64_e32 vcc, s[42:43], v[8:9]
	s_and_saveexec_b64 s[22:23], vcc
	s_xor_b64 s[58:59], exec, s[22:23]
	s_cbranch_execz .LBB6_2348
; %bb.2335:                             ;   in Loop: Header=BB6_2169 Depth=2
	v_and_b32_e32 v8, 0x7fffffff, v2
	v_mov_b32_e32 v9, v39
	v_cmp_gt_u64_e32 vcc, s[44:45], v[8:9]
	s_and_saveexec_b64 s[22:23], vcc
	s_xor_b64 s[60:61], exec, s[22:23]
	s_cbranch_execz .LBB6_2347
; %bb.2336:                             ;   in Loop: Header=BB6_2169 Depth=2
	v_cmp_ne_u32_e32 vcc, 0, v2
	v_mov_b32_e32 v27, 0
	s_and_saveexec_b64 s[62:63], vcc
	s_cbranch_execz .LBB6_2346
; %bb.2337:                             ;   in Loop: Header=BB6_2169 Depth=2
	v_bfe_u32 v2, v2, 23, 8
	v_sub_u32_e32 v8, 0x79, v2
	v_cmp_gt_u32_e32 vcc, s77, v2
	v_cndmask_b32_e32 v8, 0, v8, vcc
	v_cmp_eq_u32_e32 vcc, 0, v2
	v_add_u32_e32 v3, 0xffffff81, v2
	v_or_b32_e32 v9, 0x800000, v38
	v_mov_b32_e32 v2, 0xffffff82
	v_cndmask_b32_e32 v8, v8, v20, vcc
	v_cndmask_b32_e32 v18, v3, v2, vcc
	v_cndmask_b32_e32 v38, v9, v38, vcc
	v_add_u32_e32 v2, 20, v8
	v_lshlrev_b64 v[2:3], v2, -1
	v_add_u32_e32 v9, 19, v8
	v_lshrrev_b64 v[26:27], v8, v[38:39]
	v_not_b32_e32 v3, v3
	v_not_b32_e32 v2, v2
	v_lshlrev_b64 v[22:23], v9, 1
	v_lshrrev_b32_e32 v9, 23, v26
	v_and_b32_e32 v3, 0, v3
	v_and_b32_e32 v2, v38, v2
	v_add3_u32 v18, v8, v18, v9
	v_bfe_u32 v8, v26, 20, 1
	v_add_u32_e32 v8, -1, v8
	v_cmp_eq_u64_e32 vcc, v[2:3], v[22:23]
	v_cndmask_b32_e32 v2, 0, v8, vcc
	v_add_u32_e32 v2, v2, v26
	v_and_b32_e32 v2, 0xfffff, v2
	v_add_co_u32_e32 v2, vcc, v2, v26
	v_add_u32_e32 v9, 6, v18
	v_addc_co_u32_e32 v3, vcc, 0, v27, vcc
	v_cmp_ne_u32_e32 vcc, 0, v9
                                        ; implicit-def: $vgpr8
	s_and_saveexec_b64 s[22:23], vcc
	s_xor_b64 s[22:23], exec, s[22:23]
; %bb.2338:                             ;   in Loop: Header=BB6_2169 Depth=2
	v_add_u32_e32 v8, 7, v18
	v_cmp_lt_u64_e32 vcc, s[48:49], v[2:3]
	v_cndmask_b32_e32 v8, v9, v8, vcc
	v_cndmask_b32_e64 v9, 0, 1, vcc
	v_lshrrev_b64 v[2:3], v9, v[2:3]
; %bb.2339:                             ;   in Loop: Header=BB6_2169 Depth=2
	s_andn2_saveexec_b64 s[22:23], s[22:23]
; %bb.2340:                             ;   in Loop: Header=BB6_2169 Depth=2
	v_bfe_u32 v8, v2, 23, 1
; %bb.2341:                             ;   in Loop: Header=BB6_2169 Depth=2
	s_or_b64 exec, exec, s[22:23]
	v_lshrrev_b64 v[2:3], 20, v[2:3]
	v_cmp_gt_i32_e32 vcc, 16, v8
	v_cndmask_b32_e32 v3, 0, v3, vcc
	v_cndmask_b32_e32 v2, 7, v2, vcc
	v_cmp_ne_u32_e32 vcc, 0, v8
	v_cmp_ne_u64_e64 s[22:23], 0, v[2:3]
	s_or_b64 s[22:23], vcc, s[22:23]
                                        ; implicit-def: $vgpr27
	s_and_saveexec_b64 vcc, s[22:23]
	s_xor_b64 s[22:23], exec, vcc
; %bb.2342:                             ;   in Loop: Header=BB6_2169 Depth=2
	v_min_i32_e32 v3, 15, v8
	v_lshl_or_b32 v3, v3, 3, v6
	v_and_or_b32 v27, v2, 7, v3
                                        ; implicit-def: $vgpr6
; %bb.2343:                             ;   in Loop: Header=BB6_2169 Depth=2
	s_andn2_saveexec_b64 s[22:23], s[22:23]
; %bb.2344:                             ;   in Loop: Header=BB6_2169 Depth=2
	v_mov_b32_e32 v27, v6
; %bb.2345:                             ;   in Loop: Header=BB6_2169 Depth=2
	s_or_b64 exec, exec, s[22:23]
.LBB6_2346:                             ;   in Loop: Header=BB6_2169 Depth=2
	s_or_b64 exec, exec, s[62:63]
.LBB6_2347:                             ;   in Loop: Header=BB6_2169 Depth=2
	s_andn2_saveexec_b64 s[22:23], s[60:61]
	s_or_b64 exec, exec, s[22:23]
                                        ; implicit-def: $vgpr2
.LBB6_2348:                             ;   in Loop: Header=BB6_2169 Depth=2
	s_andn2_saveexec_b64 s[22:23], s[58:59]
; %bb.2349:                             ;   in Loop: Header=BB6_2169 Depth=2
	v_or_b32_sdwa v2, v2, s75 dst_sel:DWORD dst_unused:UNUSED_PAD src0_sel:BYTE_3 src1_sel:DWORD
	v_cmp_eq_u64_e32 vcc, 0, v[38:39]
	v_cndmask_b32_e32 v27, v2, v27, vcc
; %bb.2350:                             ;   in Loop: Header=BB6_2169 Depth=2
	s_or_b64 exec, exec, s[22:23]
	flat_load_ubyte v3, v[10:11] offset:512 glc slc
	v_mov_b32_e32 v6, 0
	s_waitcnt vmcnt(0) lgkmcnt(0)
	v_cmp_ne_u16_e32 vcc, 0, v3
	s_and_saveexec_b64 s[22:23], vcc
	s_cbranch_execz .LBB6_2356
; %bb.2351:                             ;   in Loop: Header=BB6_2169 Depth=2
	v_cmp_ne_u16_e32 vcc, s76, v3
	v_bfrev_b32_e32 v6, 1
	s_and_saveexec_b64 s[58:59], vcc
	s_cbranch_execz .LBB6_2355
; %bb.2352:                             ;   in Loop: Header=BB6_2169 Depth=2
	v_and_b32_e32 v2, 0xffff, v3
	v_and_b32_e32 v8, 0x7f, v2
	v_cmp_ne_u32_e32 vcc, s75, v8
	v_mov_b32_e32 v6, 0x7f800001
	s_and_saveexec_b64 s[60:61], vcc
	s_cbranch_execz .LBB6_2354
; %bb.2353:                             ;   in Loop: Header=BB6_2169 Depth=2
	v_and_b32_e32 v6, 7, v2
	v_ffbh_u32_e32 v18, v6
	v_min_u32_e32 v21, 32, v18
	v_subrev_u32_e32 v18, 28, v21
	v_lshlrev_b64 v[18:19], v18, v[2:3]
	v_lshrrev_b32_e32 v9, 3, v8
	v_sub_u32_e32 v2, 29, v21
	v_and_b32_e32 v18, 7, v18
	v_cmp_gt_u32_e32 vcc, 8, v8
	v_cndmask_b32_e32 v2, v9, v2, vcc
	v_cndmask_b32_e32 v6, v6, v18, vcc
	v_lshlrev_b32_e32 v3, 24, v3
	v_lshlrev_b32_e32 v6, 20, v6
	v_and_b32_e32 v3, 0x80000000, v3
	v_lshl_add_u32 v2, v2, 23, v31
	v_or3_b32 v6, v3, v2, v6
.LBB6_2354:                             ;   in Loop: Header=BB6_2169 Depth=2
	s_or_b64 exec, exec, s[60:61]
.LBB6_2355:                             ;   in Loop: Header=BB6_2169 Depth=2
	s_or_b64 exec, exec, s[58:59]
.LBB6_2356:                             ;   in Loop: Header=BB6_2169 Depth=2
	s_or_b64 exec, exec, s[22:23]
	v_mul_f32_e32 v2, s64, v6
	v_and_b32_sdwa v6, v2, s76 dst_sel:DWORD dst_unused:UNUSED_PAD src0_sel:BYTE_3 src1_sel:DWORD
	v_and_b32_e32 v8, 0x7f800000, v2
	v_mov_b32_e32 v9, v39
	v_and_b32_e32 v38, 0x7fffff, v2
	v_or_b32_e32 v26, 0x7e, v6
	v_cmp_ne_u64_e32 vcc, s[42:43], v[8:9]
	s_and_saveexec_b64 s[22:23], vcc
	s_xor_b64 s[58:59], exec, s[22:23]
	s_cbranch_execz .LBB6_2370
; %bb.2357:                             ;   in Loop: Header=BB6_2169 Depth=2
	v_and_b32_e32 v8, 0x7fffffff, v2
	v_mov_b32_e32 v9, v39
	v_cmp_gt_u64_e32 vcc, s[44:45], v[8:9]
	s_and_saveexec_b64 s[22:23], vcc
	s_xor_b64 s[60:61], exec, s[22:23]
	s_cbranch_execz .LBB6_2369
; %bb.2358:                             ;   in Loop: Header=BB6_2169 Depth=2
	v_cmp_ne_u32_e32 vcc, 0, v2
	v_mov_b32_e32 v26, 0
	s_and_saveexec_b64 s[62:63], vcc
	s_cbranch_execz .LBB6_2368
; %bb.2359:                             ;   in Loop: Header=BB6_2169 Depth=2
	v_bfe_u32 v2, v2, 23, 8
	v_sub_u32_e32 v8, 0x79, v2
	v_cmp_gt_u32_e32 vcc, s77, v2
	v_cndmask_b32_e32 v8, 0, v8, vcc
	v_cmp_eq_u32_e32 vcc, 0, v2
	v_add_u32_e32 v3, 0xffffff81, v2
	v_or_b32_e32 v9, 0x800000, v38
	v_mov_b32_e32 v2, 0xffffff82
	v_cndmask_b32_e32 v8, v8, v20, vcc
	v_cndmask_b32_e32 v18, v3, v2, vcc
	;; [unrolled: 1-line block ×3, first 2 shown]
	v_add_u32_e32 v2, 20, v8
	v_lshlrev_b64 v[2:3], v2, -1
	v_add_u32_e32 v9, 19, v8
	v_lshrrev_b64 v[28:29], v8, v[38:39]
	v_not_b32_e32 v3, v3
	v_not_b32_e32 v2, v2
	v_lshlrev_b64 v[22:23], v9, 1
	v_lshrrev_b32_e32 v9, 23, v28
	v_and_b32_e32 v3, 0, v3
	v_and_b32_e32 v2, v38, v2
	v_add3_u32 v18, v8, v18, v9
	v_bfe_u32 v8, v28, 20, 1
	v_add_u32_e32 v8, -1, v8
	v_cmp_eq_u64_e32 vcc, v[2:3], v[22:23]
	v_cndmask_b32_e32 v2, 0, v8, vcc
	v_add_u32_e32 v2, v2, v28
	v_and_b32_e32 v2, 0xfffff, v2
	v_add_co_u32_e32 v2, vcc, v2, v28
	v_add_u32_e32 v9, 6, v18
	v_addc_co_u32_e32 v3, vcc, 0, v29, vcc
	v_cmp_ne_u32_e32 vcc, 0, v9
                                        ; implicit-def: $vgpr8
	s_and_saveexec_b64 s[22:23], vcc
	s_xor_b64 s[22:23], exec, s[22:23]
; %bb.2360:                             ;   in Loop: Header=BB6_2169 Depth=2
	v_add_u32_e32 v8, 7, v18
	v_cmp_lt_u64_e32 vcc, s[48:49], v[2:3]
	v_cndmask_b32_e32 v8, v9, v8, vcc
	v_cndmask_b32_e64 v9, 0, 1, vcc
	v_lshrrev_b64 v[2:3], v9, v[2:3]
; %bb.2361:                             ;   in Loop: Header=BB6_2169 Depth=2
	s_andn2_saveexec_b64 s[22:23], s[22:23]
; %bb.2362:                             ;   in Loop: Header=BB6_2169 Depth=2
	v_bfe_u32 v8, v2, 23, 1
; %bb.2363:                             ;   in Loop: Header=BB6_2169 Depth=2
	s_or_b64 exec, exec, s[22:23]
	v_lshrrev_b64 v[2:3], 20, v[2:3]
	v_cmp_gt_i32_e32 vcc, 16, v8
	v_cndmask_b32_e32 v3, 0, v3, vcc
	v_cndmask_b32_e32 v2, 7, v2, vcc
	v_cmp_ne_u32_e32 vcc, 0, v8
	v_cmp_ne_u64_e64 s[22:23], 0, v[2:3]
	s_or_b64 s[22:23], vcc, s[22:23]
                                        ; implicit-def: $vgpr26
	s_and_saveexec_b64 vcc, s[22:23]
	s_xor_b64 s[22:23], exec, vcc
; %bb.2364:                             ;   in Loop: Header=BB6_2169 Depth=2
	v_min_i32_e32 v3, 15, v8
	v_lshl_or_b32 v3, v3, 3, v6
	v_and_or_b32 v26, v2, 7, v3
                                        ; implicit-def: $vgpr6
; %bb.2365:                             ;   in Loop: Header=BB6_2169 Depth=2
	s_andn2_saveexec_b64 s[22:23], s[22:23]
; %bb.2366:                             ;   in Loop: Header=BB6_2169 Depth=2
	v_mov_b32_e32 v26, v6
; %bb.2367:                             ;   in Loop: Header=BB6_2169 Depth=2
	s_or_b64 exec, exec, s[22:23]
.LBB6_2368:                             ;   in Loop: Header=BB6_2169 Depth=2
	s_or_b64 exec, exec, s[62:63]
.LBB6_2369:                             ;   in Loop: Header=BB6_2169 Depth=2
	s_andn2_saveexec_b64 s[22:23], s[60:61]
	s_or_b64 exec, exec, s[22:23]
                                        ; implicit-def: $vgpr2
.LBB6_2370:                             ;   in Loop: Header=BB6_2169 Depth=2
	s_andn2_saveexec_b64 s[22:23], s[58:59]
; %bb.2371:                             ;   in Loop: Header=BB6_2169 Depth=2
	v_or_b32_sdwa v2, v2, s75 dst_sel:DWORD dst_unused:UNUSED_PAD src0_sel:BYTE_3 src1_sel:DWORD
	v_cmp_eq_u64_e32 vcc, 0, v[38:39]
	v_cndmask_b32_e32 v26, v2, v26, vcc
; %bb.2372:                             ;   in Loop: Header=BB6_2169 Depth=2
	s_or_b64 exec, exec, s[22:23]
	flat_load_ubyte v3, v[10:11] offset:576 glc slc
	v_mov_b32_e32 v6, 0
	s_waitcnt vmcnt(0) lgkmcnt(0)
	v_cmp_ne_u16_e32 vcc, 0, v3
	s_and_saveexec_b64 s[22:23], vcc
	s_cbranch_execz .LBB6_2378
; %bb.2373:                             ;   in Loop: Header=BB6_2169 Depth=2
	v_cmp_ne_u16_e32 vcc, s76, v3
	v_bfrev_b32_e32 v6, 1
	s_and_saveexec_b64 s[58:59], vcc
	s_cbranch_execz .LBB6_2377
; %bb.2374:                             ;   in Loop: Header=BB6_2169 Depth=2
	v_and_b32_e32 v2, 0xffff, v3
	v_and_b32_e32 v8, 0x7f, v2
	v_cmp_ne_u32_e32 vcc, s75, v8
	v_mov_b32_e32 v6, 0x7f800001
	s_and_saveexec_b64 s[60:61], vcc
	s_cbranch_execz .LBB6_2376
; %bb.2375:                             ;   in Loop: Header=BB6_2169 Depth=2
	v_and_b32_e32 v6, 7, v2
	v_ffbh_u32_e32 v18, v6
	v_min_u32_e32 v21, 32, v18
	v_subrev_u32_e32 v18, 28, v21
	v_lshlrev_b64 v[18:19], v18, v[2:3]
	v_lshrrev_b32_e32 v9, 3, v8
	v_sub_u32_e32 v2, 29, v21
	v_and_b32_e32 v18, 7, v18
	v_cmp_gt_u32_e32 vcc, 8, v8
	v_cndmask_b32_e32 v2, v9, v2, vcc
	v_cndmask_b32_e32 v6, v6, v18, vcc
	v_lshlrev_b32_e32 v3, 24, v3
	v_lshlrev_b32_e32 v6, 20, v6
	v_and_b32_e32 v3, 0x80000000, v3
	v_lshl_add_u32 v2, v2, 23, v31
	v_or3_b32 v6, v3, v2, v6
.LBB6_2376:                             ;   in Loop: Header=BB6_2169 Depth=2
	s_or_b64 exec, exec, s[60:61]
.LBB6_2377:                             ;   in Loop: Header=BB6_2169 Depth=2
	s_or_b64 exec, exec, s[58:59]
.LBB6_2378:                             ;   in Loop: Header=BB6_2169 Depth=2
	s_or_b64 exec, exec, s[22:23]
	v_mul_f32_e32 v2, s64, v6
	v_and_b32_sdwa v6, v2, s76 dst_sel:DWORD dst_unused:UNUSED_PAD src0_sel:BYTE_3 src1_sel:DWORD
	v_and_b32_e32 v8, 0x7f800000, v2
	v_mov_b32_e32 v9, v39
	v_and_b32_e32 v38, 0x7fffff, v2
	v_or_b32_e32 v23, 0x7e, v6
	v_cmp_ne_u64_e32 vcc, s[42:43], v[8:9]
	s_and_saveexec_b64 s[22:23], vcc
	s_xor_b64 s[58:59], exec, s[22:23]
	s_cbranch_execz .LBB6_2392
; %bb.2379:                             ;   in Loop: Header=BB6_2169 Depth=2
	v_and_b32_e32 v8, 0x7fffffff, v2
	v_mov_b32_e32 v9, v39
	v_cmp_gt_u64_e32 vcc, s[44:45], v[8:9]
	s_and_saveexec_b64 s[22:23], vcc
	s_xor_b64 s[60:61], exec, s[22:23]
	s_cbranch_execz .LBB6_2391
; %bb.2380:                             ;   in Loop: Header=BB6_2169 Depth=2
	v_cmp_ne_u32_e32 vcc, 0, v2
	v_mov_b32_e32 v23, 0
	s_and_saveexec_b64 s[62:63], vcc
	s_cbranch_execz .LBB6_2390
; %bb.2381:                             ;   in Loop: Header=BB6_2169 Depth=2
	v_bfe_u32 v2, v2, 23, 8
	v_sub_u32_e32 v8, 0x79, v2
	v_cmp_gt_u32_e32 vcc, s77, v2
	v_cndmask_b32_e32 v8, 0, v8, vcc
	v_cmp_eq_u32_e32 vcc, 0, v2
	v_add_u32_e32 v3, 0xffffff81, v2
	v_or_b32_e32 v9, 0x800000, v38
	v_mov_b32_e32 v2, 0xffffff82
	v_cndmask_b32_e32 v8, v8, v20, vcc
	v_cndmask_b32_e32 v18, v3, v2, vcc
	;; [unrolled: 1-line block ×3, first 2 shown]
	v_add_u32_e32 v2, 20, v8
	v_lshlrev_b64 v[2:3], v2, -1
	v_add_u32_e32 v9, 19, v8
	v_lshrrev_b64 v[28:29], v8, v[38:39]
	v_not_b32_e32 v3, v3
	v_not_b32_e32 v2, v2
	v_lshlrev_b64 v[22:23], v9, 1
	v_lshrrev_b32_e32 v9, 23, v28
	v_and_b32_e32 v3, 0, v3
	v_and_b32_e32 v2, v38, v2
	v_add3_u32 v18, v8, v18, v9
	v_bfe_u32 v8, v28, 20, 1
	v_add_u32_e32 v8, -1, v8
	v_cmp_eq_u64_e32 vcc, v[2:3], v[22:23]
	v_cndmask_b32_e32 v2, 0, v8, vcc
	v_add_u32_e32 v2, v2, v28
	v_and_b32_e32 v2, 0xfffff, v2
	v_add_co_u32_e32 v2, vcc, v2, v28
	v_add_u32_e32 v9, 6, v18
	v_addc_co_u32_e32 v3, vcc, 0, v29, vcc
	v_cmp_ne_u32_e32 vcc, 0, v9
                                        ; implicit-def: $vgpr8
	s_and_saveexec_b64 s[22:23], vcc
	s_xor_b64 s[22:23], exec, s[22:23]
; %bb.2382:                             ;   in Loop: Header=BB6_2169 Depth=2
	v_add_u32_e32 v8, 7, v18
	v_cmp_lt_u64_e32 vcc, s[48:49], v[2:3]
	v_cndmask_b32_e32 v8, v9, v8, vcc
	v_cndmask_b32_e64 v9, 0, 1, vcc
	v_lshrrev_b64 v[2:3], v9, v[2:3]
; %bb.2383:                             ;   in Loop: Header=BB6_2169 Depth=2
	s_andn2_saveexec_b64 s[22:23], s[22:23]
; %bb.2384:                             ;   in Loop: Header=BB6_2169 Depth=2
	v_bfe_u32 v8, v2, 23, 1
; %bb.2385:                             ;   in Loop: Header=BB6_2169 Depth=2
	s_or_b64 exec, exec, s[22:23]
	v_lshrrev_b64 v[2:3], 20, v[2:3]
	v_cmp_gt_i32_e32 vcc, 16, v8
	v_cndmask_b32_e32 v3, 0, v3, vcc
	v_cndmask_b32_e32 v2, 7, v2, vcc
	v_cmp_ne_u32_e32 vcc, 0, v8
	v_cmp_ne_u64_e64 s[22:23], 0, v[2:3]
	s_or_b64 s[22:23], vcc, s[22:23]
                                        ; implicit-def: $vgpr23
	s_and_saveexec_b64 vcc, s[22:23]
	s_xor_b64 s[22:23], exec, vcc
; %bb.2386:                             ;   in Loop: Header=BB6_2169 Depth=2
	v_min_i32_e32 v3, 15, v8
	v_lshl_or_b32 v3, v3, 3, v6
	v_and_or_b32 v23, v2, 7, v3
                                        ; implicit-def: $vgpr6
; %bb.2387:                             ;   in Loop: Header=BB6_2169 Depth=2
	s_andn2_saveexec_b64 s[22:23], s[22:23]
; %bb.2388:                             ;   in Loop: Header=BB6_2169 Depth=2
	v_mov_b32_e32 v23, v6
; %bb.2389:                             ;   in Loop: Header=BB6_2169 Depth=2
	s_or_b64 exec, exec, s[22:23]
.LBB6_2390:                             ;   in Loop: Header=BB6_2169 Depth=2
	s_or_b64 exec, exec, s[62:63]
.LBB6_2391:                             ;   in Loop: Header=BB6_2169 Depth=2
	s_andn2_saveexec_b64 s[22:23], s[60:61]
	s_or_b64 exec, exec, s[22:23]
                                        ; implicit-def: $vgpr2
.LBB6_2392:                             ;   in Loop: Header=BB6_2169 Depth=2
	s_andn2_saveexec_b64 s[22:23], s[58:59]
; %bb.2393:                             ;   in Loop: Header=BB6_2169 Depth=2
	v_or_b32_sdwa v2, v2, s75 dst_sel:DWORD dst_unused:UNUSED_PAD src0_sel:BYTE_3 src1_sel:DWORD
	v_cmp_eq_u64_e32 vcc, 0, v[38:39]
	v_cndmask_b32_e32 v23, v2, v23, vcc
; %bb.2394:                             ;   in Loop: Header=BB6_2169 Depth=2
	s_or_b64 exec, exec, s[22:23]
	flat_load_ubyte v3, v[10:11] offset:640 glc slc
	v_mov_b32_e32 v6, 0
	s_waitcnt vmcnt(0) lgkmcnt(0)
	v_cmp_ne_u16_e32 vcc, 0, v3
	s_and_saveexec_b64 s[22:23], vcc
	s_cbranch_execz .LBB6_2400
; %bb.2395:                             ;   in Loop: Header=BB6_2169 Depth=2
	v_cmp_ne_u16_e32 vcc, s76, v3
	v_bfrev_b32_e32 v6, 1
	s_and_saveexec_b64 s[58:59], vcc
	s_cbranch_execz .LBB6_2399
; %bb.2396:                             ;   in Loop: Header=BB6_2169 Depth=2
	v_and_b32_e32 v2, 0xffff, v3
	v_and_b32_e32 v8, 0x7f, v2
	v_cmp_ne_u32_e32 vcc, s75, v8
	v_mov_b32_e32 v6, 0x7f800001
	s_and_saveexec_b64 s[60:61], vcc
	s_cbranch_execz .LBB6_2398
; %bb.2397:                             ;   in Loop: Header=BB6_2169 Depth=2
	v_and_b32_e32 v6, 7, v2
	v_ffbh_u32_e32 v18, v6
	v_min_u32_e32 v21, 32, v18
	v_subrev_u32_e32 v18, 28, v21
	v_lshlrev_b64 v[18:19], v18, v[2:3]
	v_lshrrev_b32_e32 v9, 3, v8
	v_sub_u32_e32 v2, 29, v21
	v_and_b32_e32 v18, 7, v18
	v_cmp_gt_u32_e32 vcc, 8, v8
	v_cndmask_b32_e32 v2, v9, v2, vcc
	v_cndmask_b32_e32 v6, v6, v18, vcc
	v_lshlrev_b32_e32 v3, 24, v3
	v_lshlrev_b32_e32 v6, 20, v6
	v_and_b32_e32 v3, 0x80000000, v3
	v_lshl_add_u32 v2, v2, 23, v31
	v_or3_b32 v6, v3, v2, v6
.LBB6_2398:                             ;   in Loop: Header=BB6_2169 Depth=2
	s_or_b64 exec, exec, s[60:61]
.LBB6_2399:                             ;   in Loop: Header=BB6_2169 Depth=2
	s_or_b64 exec, exec, s[58:59]
.LBB6_2400:                             ;   in Loop: Header=BB6_2169 Depth=2
	s_or_b64 exec, exec, s[22:23]
	v_mul_f32_e32 v2, s64, v6
	v_and_b32_sdwa v6, v2, s76 dst_sel:DWORD dst_unused:UNUSED_PAD src0_sel:BYTE_3 src1_sel:DWORD
	v_and_b32_e32 v8, 0x7f800000, v2
	v_mov_b32_e32 v9, v39
	v_and_b32_e32 v38, 0x7fffff, v2
	v_or_b32_e32 v22, 0x7e, v6
	v_cmp_ne_u64_e32 vcc, s[42:43], v[8:9]
	s_and_saveexec_b64 s[22:23], vcc
	s_xor_b64 s[58:59], exec, s[22:23]
	s_cbranch_execz .LBB6_2414
; %bb.2401:                             ;   in Loop: Header=BB6_2169 Depth=2
	v_and_b32_e32 v8, 0x7fffffff, v2
	v_mov_b32_e32 v9, v39
	v_cmp_gt_u64_e32 vcc, s[44:45], v[8:9]
	s_and_saveexec_b64 s[22:23], vcc
	s_xor_b64 s[60:61], exec, s[22:23]
	s_cbranch_execz .LBB6_2413
; %bb.2402:                             ;   in Loop: Header=BB6_2169 Depth=2
	v_cmp_ne_u32_e32 vcc, 0, v2
	v_mov_b32_e32 v22, 0
	s_and_saveexec_b64 s[62:63], vcc
	s_cbranch_execz .LBB6_2412
; %bb.2403:                             ;   in Loop: Header=BB6_2169 Depth=2
	v_bfe_u32 v2, v2, 23, 8
	v_sub_u32_e32 v8, 0x79, v2
	v_cmp_gt_u32_e32 vcc, s77, v2
	v_cndmask_b32_e32 v8, 0, v8, vcc
	v_cmp_eq_u32_e32 vcc, 0, v2
	v_add_u32_e32 v3, 0xffffff81, v2
	v_or_b32_e32 v9, 0x800000, v38
	v_mov_b32_e32 v2, 0xffffff82
	v_cndmask_b32_e32 v8, v8, v20, vcc
	v_cndmask_b32_e32 v18, v3, v2, vcc
	;; [unrolled: 1-line block ×3, first 2 shown]
	v_add_u32_e32 v2, 20, v8
	v_lshlrev_b64 v[2:3], v2, -1
	v_add_u32_e32 v9, 19, v8
	v_lshrrev_b64 v[36:37], v8, v[38:39]
	v_not_b32_e32 v3, v3
	v_not_b32_e32 v2, v2
	v_lshlrev_b64 v[28:29], v9, 1
	v_lshrrev_b32_e32 v9, 23, v36
	v_and_b32_e32 v3, 0, v3
	v_and_b32_e32 v2, v38, v2
	v_add3_u32 v18, v8, v18, v9
	v_bfe_u32 v8, v36, 20, 1
	v_add_u32_e32 v8, -1, v8
	v_cmp_eq_u64_e32 vcc, v[2:3], v[28:29]
	v_cndmask_b32_e32 v2, 0, v8, vcc
	v_add_u32_e32 v2, v2, v36
	v_and_b32_e32 v2, 0xfffff, v2
	v_add_co_u32_e32 v2, vcc, v2, v36
	v_add_u32_e32 v9, 6, v18
	v_addc_co_u32_e32 v3, vcc, 0, v37, vcc
	v_cmp_ne_u32_e32 vcc, 0, v9
                                        ; implicit-def: $vgpr8
	s_and_saveexec_b64 s[22:23], vcc
	s_xor_b64 s[22:23], exec, s[22:23]
; %bb.2404:                             ;   in Loop: Header=BB6_2169 Depth=2
	v_add_u32_e32 v8, 7, v18
	v_cmp_lt_u64_e32 vcc, s[48:49], v[2:3]
	v_cndmask_b32_e32 v8, v9, v8, vcc
	v_cndmask_b32_e64 v9, 0, 1, vcc
	v_lshrrev_b64 v[2:3], v9, v[2:3]
; %bb.2405:                             ;   in Loop: Header=BB6_2169 Depth=2
	s_andn2_saveexec_b64 s[22:23], s[22:23]
; %bb.2406:                             ;   in Loop: Header=BB6_2169 Depth=2
	v_bfe_u32 v8, v2, 23, 1
; %bb.2407:                             ;   in Loop: Header=BB6_2169 Depth=2
	s_or_b64 exec, exec, s[22:23]
	v_lshrrev_b64 v[2:3], 20, v[2:3]
	v_cmp_gt_i32_e32 vcc, 16, v8
	v_cndmask_b32_e32 v3, 0, v3, vcc
	v_cndmask_b32_e32 v2, 7, v2, vcc
	v_cmp_ne_u32_e32 vcc, 0, v8
	v_cmp_ne_u64_e64 s[22:23], 0, v[2:3]
	s_or_b64 s[22:23], vcc, s[22:23]
                                        ; implicit-def: $vgpr22
	s_and_saveexec_b64 vcc, s[22:23]
	s_xor_b64 s[22:23], exec, vcc
; %bb.2408:                             ;   in Loop: Header=BB6_2169 Depth=2
	v_min_i32_e32 v3, 15, v8
	v_lshl_or_b32 v3, v3, 3, v6
	v_and_or_b32 v22, v2, 7, v3
                                        ; implicit-def: $vgpr6
; %bb.2409:                             ;   in Loop: Header=BB6_2169 Depth=2
	s_andn2_saveexec_b64 s[22:23], s[22:23]
; %bb.2410:                             ;   in Loop: Header=BB6_2169 Depth=2
	v_mov_b32_e32 v22, v6
; %bb.2411:                             ;   in Loop: Header=BB6_2169 Depth=2
	s_or_b64 exec, exec, s[22:23]
.LBB6_2412:                             ;   in Loop: Header=BB6_2169 Depth=2
	s_or_b64 exec, exec, s[62:63]
.LBB6_2413:                             ;   in Loop: Header=BB6_2169 Depth=2
	s_andn2_saveexec_b64 s[22:23], s[60:61]
	s_or_b64 exec, exec, s[22:23]
                                        ; implicit-def: $vgpr2
.LBB6_2414:                             ;   in Loop: Header=BB6_2169 Depth=2
	s_andn2_saveexec_b64 s[22:23], s[58:59]
; %bb.2415:                             ;   in Loop: Header=BB6_2169 Depth=2
	v_or_b32_sdwa v2, v2, s75 dst_sel:DWORD dst_unused:UNUSED_PAD src0_sel:BYTE_3 src1_sel:DWORD
	v_cmp_eq_u64_e32 vcc, 0, v[38:39]
	v_cndmask_b32_e32 v22, v2, v22, vcc
; %bb.2416:                             ;   in Loop: Header=BB6_2169 Depth=2
	s_or_b64 exec, exec, s[22:23]
	flat_load_ubyte v3, v[10:11] offset:704 glc slc
	v_mov_b32_e32 v6, 0
	s_waitcnt vmcnt(0) lgkmcnt(0)
	v_cmp_ne_u16_e32 vcc, 0, v3
	s_and_saveexec_b64 s[22:23], vcc
	s_cbranch_execz .LBB6_2422
; %bb.2417:                             ;   in Loop: Header=BB6_2169 Depth=2
	v_cmp_ne_u16_e32 vcc, s76, v3
	v_bfrev_b32_e32 v6, 1
	s_and_saveexec_b64 s[58:59], vcc
	s_cbranch_execz .LBB6_2421
; %bb.2418:                             ;   in Loop: Header=BB6_2169 Depth=2
	v_and_b32_e32 v2, 0xffff, v3
	v_and_b32_e32 v8, 0x7f, v2
	v_cmp_ne_u32_e32 vcc, s75, v8
	v_mov_b32_e32 v6, 0x7f800001
	s_and_saveexec_b64 s[60:61], vcc
	s_cbranch_execz .LBB6_2420
; %bb.2419:                             ;   in Loop: Header=BB6_2169 Depth=2
	v_and_b32_e32 v6, 7, v2
	v_ffbh_u32_e32 v18, v6
	v_min_u32_e32 v21, 32, v18
	v_subrev_u32_e32 v18, 28, v21
	v_lshlrev_b64 v[18:19], v18, v[2:3]
	v_lshrrev_b32_e32 v9, 3, v8
	v_sub_u32_e32 v2, 29, v21
	v_and_b32_e32 v18, 7, v18
	v_cmp_gt_u32_e32 vcc, 8, v8
	v_cndmask_b32_e32 v2, v9, v2, vcc
	v_cndmask_b32_e32 v6, v6, v18, vcc
	v_lshlrev_b32_e32 v3, 24, v3
	v_lshlrev_b32_e32 v6, 20, v6
	v_and_b32_e32 v3, 0x80000000, v3
	v_lshl_add_u32 v2, v2, 23, v31
	v_or3_b32 v6, v3, v2, v6
.LBB6_2420:                             ;   in Loop: Header=BB6_2169 Depth=2
	s_or_b64 exec, exec, s[60:61]
.LBB6_2421:                             ;   in Loop: Header=BB6_2169 Depth=2
	s_or_b64 exec, exec, s[58:59]
.LBB6_2422:                             ;   in Loop: Header=BB6_2169 Depth=2
	s_or_b64 exec, exec, s[22:23]
	v_mul_f32_e32 v2, s64, v6
	v_and_b32_sdwa v6, v2, s76 dst_sel:DWORD dst_unused:UNUSED_PAD src0_sel:BYTE_3 src1_sel:DWORD
	v_and_b32_e32 v8, 0x7f800000, v2
	v_mov_b32_e32 v9, v39
	v_and_b32_e32 v38, 0x7fffff, v2
	v_or_b32_e32 v21, 0x7e, v6
	v_cmp_ne_u64_e32 vcc, s[42:43], v[8:9]
	s_and_saveexec_b64 s[22:23], vcc
	s_xor_b64 s[58:59], exec, s[22:23]
	s_cbranch_execz .LBB6_2436
; %bb.2423:                             ;   in Loop: Header=BB6_2169 Depth=2
	v_and_b32_e32 v8, 0x7fffffff, v2
	v_mov_b32_e32 v9, v39
	v_cmp_gt_u64_e32 vcc, s[44:45], v[8:9]
	s_and_saveexec_b64 s[22:23], vcc
	s_xor_b64 s[60:61], exec, s[22:23]
	s_cbranch_execz .LBB6_2435
; %bb.2424:                             ;   in Loop: Header=BB6_2169 Depth=2
	v_cmp_ne_u32_e32 vcc, 0, v2
	v_mov_b32_e32 v21, 0
	s_and_saveexec_b64 s[62:63], vcc
	s_cbranch_execz .LBB6_2434
; %bb.2425:                             ;   in Loop: Header=BB6_2169 Depth=2
	v_bfe_u32 v2, v2, 23, 8
	v_sub_u32_e32 v8, 0x79, v2
	v_cmp_gt_u32_e32 vcc, s77, v2
	v_cndmask_b32_e32 v8, 0, v8, vcc
	v_cmp_eq_u32_e32 vcc, 0, v2
	v_add_u32_e32 v3, 0xffffff81, v2
	v_or_b32_e32 v9, 0x800000, v38
	v_mov_b32_e32 v2, 0xffffff82
	v_cndmask_b32_e32 v8, v8, v20, vcc
	v_cndmask_b32_e32 v18, v3, v2, vcc
	;; [unrolled: 1-line block ×3, first 2 shown]
	v_add_u32_e32 v2, 20, v8
	v_lshlrev_b64 v[2:3], v2, -1
	v_add_u32_e32 v9, 19, v8
	v_lshrrev_b64 v[36:37], v8, v[38:39]
	v_not_b32_e32 v3, v3
	v_not_b32_e32 v2, v2
	v_lshlrev_b64 v[28:29], v9, 1
	v_lshrrev_b32_e32 v9, 23, v36
	v_and_b32_e32 v3, 0, v3
	v_and_b32_e32 v2, v38, v2
	v_add3_u32 v18, v8, v18, v9
	v_bfe_u32 v8, v36, 20, 1
	v_add_u32_e32 v8, -1, v8
	v_cmp_eq_u64_e32 vcc, v[2:3], v[28:29]
	v_cndmask_b32_e32 v2, 0, v8, vcc
	v_add_u32_e32 v2, v2, v36
	v_and_b32_e32 v2, 0xfffff, v2
	v_add_co_u32_e32 v2, vcc, v2, v36
	v_add_u32_e32 v9, 6, v18
	v_addc_co_u32_e32 v3, vcc, 0, v37, vcc
	v_cmp_ne_u32_e32 vcc, 0, v9
                                        ; implicit-def: $vgpr8
	s_and_saveexec_b64 s[22:23], vcc
	s_xor_b64 s[22:23], exec, s[22:23]
; %bb.2426:                             ;   in Loop: Header=BB6_2169 Depth=2
	v_add_u32_e32 v8, 7, v18
	v_cmp_lt_u64_e32 vcc, s[48:49], v[2:3]
	v_cndmask_b32_e32 v8, v9, v8, vcc
	v_cndmask_b32_e64 v9, 0, 1, vcc
	v_lshrrev_b64 v[2:3], v9, v[2:3]
; %bb.2427:                             ;   in Loop: Header=BB6_2169 Depth=2
	s_andn2_saveexec_b64 s[22:23], s[22:23]
; %bb.2428:                             ;   in Loop: Header=BB6_2169 Depth=2
	v_bfe_u32 v8, v2, 23, 1
; %bb.2429:                             ;   in Loop: Header=BB6_2169 Depth=2
	s_or_b64 exec, exec, s[22:23]
	v_lshrrev_b64 v[2:3], 20, v[2:3]
	v_cmp_gt_i32_e32 vcc, 16, v8
	v_cndmask_b32_e32 v3, 0, v3, vcc
	v_cndmask_b32_e32 v2, 7, v2, vcc
	v_cmp_ne_u32_e32 vcc, 0, v8
	v_cmp_ne_u64_e64 s[22:23], 0, v[2:3]
	s_or_b64 s[22:23], vcc, s[22:23]
                                        ; implicit-def: $vgpr21
	s_and_saveexec_b64 vcc, s[22:23]
	s_xor_b64 s[22:23], exec, vcc
; %bb.2430:                             ;   in Loop: Header=BB6_2169 Depth=2
	v_min_i32_e32 v3, 15, v8
	v_lshl_or_b32 v3, v3, 3, v6
	v_and_or_b32 v21, v2, 7, v3
                                        ; implicit-def: $vgpr6
; %bb.2431:                             ;   in Loop: Header=BB6_2169 Depth=2
	s_andn2_saveexec_b64 s[22:23], s[22:23]
; %bb.2432:                             ;   in Loop: Header=BB6_2169 Depth=2
	v_mov_b32_e32 v21, v6
; %bb.2433:                             ;   in Loop: Header=BB6_2169 Depth=2
	s_or_b64 exec, exec, s[22:23]
.LBB6_2434:                             ;   in Loop: Header=BB6_2169 Depth=2
	s_or_b64 exec, exec, s[62:63]
.LBB6_2435:                             ;   in Loop: Header=BB6_2169 Depth=2
	s_andn2_saveexec_b64 s[22:23], s[60:61]
	s_or_b64 exec, exec, s[22:23]
                                        ; implicit-def: $vgpr2
.LBB6_2436:                             ;   in Loop: Header=BB6_2169 Depth=2
	s_andn2_saveexec_b64 s[22:23], s[58:59]
; %bb.2437:                             ;   in Loop: Header=BB6_2169 Depth=2
	v_or_b32_sdwa v2, v2, s75 dst_sel:DWORD dst_unused:UNUSED_PAD src0_sel:BYTE_3 src1_sel:DWORD
	v_cmp_eq_u64_e32 vcc, 0, v[38:39]
	v_cndmask_b32_e32 v21, v2, v21, vcc
; %bb.2438:                             ;   in Loop: Header=BB6_2169 Depth=2
	s_or_b64 exec, exec, s[22:23]
	flat_load_ubyte v3, v[10:11] offset:768 glc slc
	v_mov_b32_e32 v6, 0
	s_waitcnt vmcnt(0) lgkmcnt(0)
	v_cmp_ne_u16_e32 vcc, 0, v3
	s_and_saveexec_b64 s[22:23], vcc
	s_cbranch_execz .LBB6_2444
; %bb.2439:                             ;   in Loop: Header=BB6_2169 Depth=2
	v_cmp_ne_u16_e32 vcc, s76, v3
	v_bfrev_b32_e32 v6, 1
	s_and_saveexec_b64 s[58:59], vcc
	s_cbranch_execz .LBB6_2443
; %bb.2440:                             ;   in Loop: Header=BB6_2169 Depth=2
	v_and_b32_e32 v2, 0xffff, v3
	v_and_b32_e32 v8, 0x7f, v2
	v_cmp_ne_u32_e32 vcc, s75, v8
	v_mov_b32_e32 v6, 0x7f800001
	s_and_saveexec_b64 s[60:61], vcc
	s_cbranch_execz .LBB6_2442
; %bb.2441:                             ;   in Loop: Header=BB6_2169 Depth=2
	v_and_b32_e32 v6, 7, v2
	v_ffbh_u32_e32 v18, v6
	v_min_u32_e32 v25, 32, v18
	v_subrev_u32_e32 v18, 28, v25
	v_lshlrev_b64 v[18:19], v18, v[2:3]
	v_lshrrev_b32_e32 v9, 3, v8
	v_sub_u32_e32 v2, 29, v25
	v_and_b32_e32 v18, 7, v18
	v_cmp_gt_u32_e32 vcc, 8, v8
	v_cndmask_b32_e32 v2, v9, v2, vcc
	v_cndmask_b32_e32 v6, v6, v18, vcc
	v_lshlrev_b32_e32 v3, 24, v3
	v_lshlrev_b32_e32 v6, 20, v6
	v_and_b32_e32 v3, 0x80000000, v3
	v_lshl_add_u32 v2, v2, 23, v31
	v_or3_b32 v6, v3, v2, v6
.LBB6_2442:                             ;   in Loop: Header=BB6_2169 Depth=2
	s_or_b64 exec, exec, s[60:61]
.LBB6_2443:                             ;   in Loop: Header=BB6_2169 Depth=2
	s_or_b64 exec, exec, s[58:59]
.LBB6_2444:                             ;   in Loop: Header=BB6_2169 Depth=2
	s_or_b64 exec, exec, s[22:23]
	v_mul_f32_e32 v2, s64, v6
	v_and_b32_sdwa v6, v2, s76 dst_sel:DWORD dst_unused:UNUSED_PAD src0_sel:BYTE_3 src1_sel:DWORD
	v_and_b32_e32 v8, 0x7f800000, v2
	v_mov_b32_e32 v9, v39
	v_and_b32_e32 v38, 0x7fffff, v2
	v_or_b32_e32 v19, 0x7e, v6
	v_cmp_ne_u64_e32 vcc, s[42:43], v[8:9]
	s_and_saveexec_b64 s[22:23], vcc
	s_xor_b64 s[58:59], exec, s[22:23]
	s_cbranch_execz .LBB6_2458
; %bb.2445:                             ;   in Loop: Header=BB6_2169 Depth=2
	v_and_b32_e32 v8, 0x7fffffff, v2
	v_mov_b32_e32 v9, v39
	v_cmp_gt_u64_e32 vcc, s[44:45], v[8:9]
	s_and_saveexec_b64 s[22:23], vcc
	s_xor_b64 s[60:61], exec, s[22:23]
	s_cbranch_execz .LBB6_2457
; %bb.2446:                             ;   in Loop: Header=BB6_2169 Depth=2
	v_cmp_ne_u32_e32 vcc, 0, v2
	v_mov_b32_e32 v19, 0
	s_and_saveexec_b64 s[62:63], vcc
	s_cbranch_execz .LBB6_2456
; %bb.2447:                             ;   in Loop: Header=BB6_2169 Depth=2
	v_bfe_u32 v2, v2, 23, 8
	v_sub_u32_e32 v8, 0x79, v2
	v_cmp_gt_u32_e32 vcc, s77, v2
	v_cndmask_b32_e32 v8, 0, v8, vcc
	v_cmp_eq_u32_e32 vcc, 0, v2
	v_add_u32_e32 v3, 0xffffff81, v2
	v_or_b32_e32 v9, 0x800000, v38
	v_mov_b32_e32 v2, 0xffffff82
	v_cndmask_b32_e32 v8, v8, v20, vcc
	v_cndmask_b32_e32 v18, v3, v2, vcc
	;; [unrolled: 1-line block ×3, first 2 shown]
	v_add_u32_e32 v2, 20, v8
	v_lshlrev_b64 v[2:3], v2, -1
	v_add_u32_e32 v9, 19, v8
	v_lshrrev_b64 v[36:37], v8, v[38:39]
	v_not_b32_e32 v3, v3
	v_not_b32_e32 v2, v2
	v_lshlrev_b64 v[28:29], v9, 1
	v_lshrrev_b32_e32 v9, 23, v36
	v_and_b32_e32 v3, 0, v3
	v_and_b32_e32 v2, v38, v2
	v_add3_u32 v18, v8, v18, v9
	v_bfe_u32 v8, v36, 20, 1
	v_add_u32_e32 v8, -1, v8
	v_cmp_eq_u64_e32 vcc, v[2:3], v[28:29]
	v_cndmask_b32_e32 v2, 0, v8, vcc
	v_add_u32_e32 v2, v2, v36
	v_and_b32_e32 v2, 0xfffff, v2
	v_add_co_u32_e32 v2, vcc, v2, v36
	v_add_u32_e32 v9, 6, v18
	v_addc_co_u32_e32 v3, vcc, 0, v37, vcc
	v_cmp_ne_u32_e32 vcc, 0, v9
                                        ; implicit-def: $vgpr8
	s_and_saveexec_b64 s[22:23], vcc
	s_xor_b64 s[22:23], exec, s[22:23]
; %bb.2448:                             ;   in Loop: Header=BB6_2169 Depth=2
	v_add_u32_e32 v8, 7, v18
	v_cmp_lt_u64_e32 vcc, s[48:49], v[2:3]
	v_cndmask_b32_e32 v8, v9, v8, vcc
	v_cndmask_b32_e64 v9, 0, 1, vcc
	v_lshrrev_b64 v[2:3], v9, v[2:3]
; %bb.2449:                             ;   in Loop: Header=BB6_2169 Depth=2
	s_andn2_saveexec_b64 s[22:23], s[22:23]
; %bb.2450:                             ;   in Loop: Header=BB6_2169 Depth=2
	v_bfe_u32 v8, v2, 23, 1
; %bb.2451:                             ;   in Loop: Header=BB6_2169 Depth=2
	s_or_b64 exec, exec, s[22:23]
	v_lshrrev_b64 v[2:3], 20, v[2:3]
	v_cmp_gt_i32_e32 vcc, 16, v8
	v_cndmask_b32_e32 v3, 0, v3, vcc
	v_cndmask_b32_e32 v2, 7, v2, vcc
	v_cmp_ne_u32_e32 vcc, 0, v8
	v_cmp_ne_u64_e64 s[22:23], 0, v[2:3]
	s_or_b64 s[22:23], vcc, s[22:23]
                                        ; implicit-def: $vgpr19
	s_and_saveexec_b64 vcc, s[22:23]
	s_xor_b64 s[22:23], exec, vcc
; %bb.2452:                             ;   in Loop: Header=BB6_2169 Depth=2
	v_min_i32_e32 v3, 15, v8
	v_lshl_or_b32 v3, v3, 3, v6
	v_and_or_b32 v19, v2, 7, v3
                                        ; implicit-def: $vgpr6
; %bb.2453:                             ;   in Loop: Header=BB6_2169 Depth=2
	s_andn2_saveexec_b64 s[22:23], s[22:23]
; %bb.2454:                             ;   in Loop: Header=BB6_2169 Depth=2
	v_mov_b32_e32 v19, v6
; %bb.2455:                             ;   in Loop: Header=BB6_2169 Depth=2
	s_or_b64 exec, exec, s[22:23]
.LBB6_2456:                             ;   in Loop: Header=BB6_2169 Depth=2
	s_or_b64 exec, exec, s[62:63]
.LBB6_2457:                             ;   in Loop: Header=BB6_2169 Depth=2
	s_andn2_saveexec_b64 s[22:23], s[60:61]
	s_or_b64 exec, exec, s[22:23]
                                        ; implicit-def: $vgpr2
.LBB6_2458:                             ;   in Loop: Header=BB6_2169 Depth=2
	s_andn2_saveexec_b64 s[22:23], s[58:59]
; %bb.2459:                             ;   in Loop: Header=BB6_2169 Depth=2
	v_or_b32_sdwa v2, v2, s75 dst_sel:DWORD dst_unused:UNUSED_PAD src0_sel:BYTE_3 src1_sel:DWORD
	v_cmp_eq_u64_e32 vcc, 0, v[38:39]
	v_cndmask_b32_e32 v19, v2, v19, vcc
; %bb.2460:                             ;   in Loop: Header=BB6_2169 Depth=2
	s_or_b64 exec, exec, s[22:23]
	flat_load_ubyte v3, v[10:11] offset:832 glc slc
	v_mov_b32_e32 v6, 0
	s_waitcnt vmcnt(0) lgkmcnt(0)
	v_cmp_ne_u16_e32 vcc, 0, v3
	s_and_saveexec_b64 s[22:23], vcc
	s_cbranch_execz .LBB6_2466
; %bb.2461:                             ;   in Loop: Header=BB6_2169 Depth=2
	v_cmp_ne_u16_e32 vcc, s76, v3
	v_bfrev_b32_e32 v6, 1
	s_and_saveexec_b64 s[58:59], vcc
	s_cbranch_execz .LBB6_2465
; %bb.2462:                             ;   in Loop: Header=BB6_2169 Depth=2
	v_and_b32_e32 v2, 0xffff, v3
	v_and_b32_e32 v8, 0x7f, v2
	v_cmp_ne_u32_e32 vcc, s75, v8
	v_mov_b32_e32 v6, 0x7f800001
	s_and_saveexec_b64 s[60:61], vcc
	s_cbranch_execz .LBB6_2464
; %bb.2463:                             ;   in Loop: Header=BB6_2169 Depth=2
	v_and_b32_e32 v6, 7, v2
	v_ffbh_u32_e32 v18, v6
	v_min_u32_e32 v18, 32, v18
	v_subrev_u32_e32 v25, 28, v18
	v_lshlrev_b64 v[28:29], v25, v[2:3]
	v_lshrrev_b32_e32 v9, 3, v8
	v_sub_u32_e32 v2, 29, v18
	v_and_b32_e32 v18, 7, v28
	v_cmp_gt_u32_e32 vcc, 8, v8
	v_cndmask_b32_e32 v2, v9, v2, vcc
	v_cndmask_b32_e32 v6, v6, v18, vcc
	v_lshlrev_b32_e32 v3, 24, v3
	v_lshlrev_b32_e32 v6, 20, v6
	v_and_b32_e32 v3, 0x80000000, v3
	v_lshl_add_u32 v2, v2, 23, v31
	v_or3_b32 v6, v3, v2, v6
.LBB6_2464:                             ;   in Loop: Header=BB6_2169 Depth=2
	s_or_b64 exec, exec, s[60:61]
.LBB6_2465:                             ;   in Loop: Header=BB6_2169 Depth=2
	s_or_b64 exec, exec, s[58:59]
.LBB6_2466:                             ;   in Loop: Header=BB6_2169 Depth=2
	s_or_b64 exec, exec, s[22:23]
	v_mul_f32_e32 v2, s64, v6
	v_and_b32_sdwa v6, v2, s76 dst_sel:DWORD dst_unused:UNUSED_PAD src0_sel:BYTE_3 src1_sel:DWORD
	v_and_b32_e32 v8, 0x7f800000, v2
	v_mov_b32_e32 v9, v39
	v_and_b32_e32 v38, 0x7fffff, v2
	v_or_b32_e32 v18, 0x7e, v6
	v_cmp_ne_u64_e32 vcc, s[42:43], v[8:9]
	s_and_saveexec_b64 s[22:23], vcc
	s_xor_b64 s[58:59], exec, s[22:23]
	s_cbranch_execz .LBB6_2480
; %bb.2467:                             ;   in Loop: Header=BB6_2169 Depth=2
	v_and_b32_e32 v8, 0x7fffffff, v2
	v_mov_b32_e32 v9, v39
	v_cmp_gt_u64_e32 vcc, s[44:45], v[8:9]
	s_and_saveexec_b64 s[22:23], vcc
	s_xor_b64 s[60:61], exec, s[22:23]
	s_cbranch_execz .LBB6_2479
; %bb.2468:                             ;   in Loop: Header=BB6_2169 Depth=2
	v_cmp_ne_u32_e32 vcc, 0, v2
	v_mov_b32_e32 v18, 0
	s_and_saveexec_b64 s[62:63], vcc
	s_cbranch_execz .LBB6_2478
; %bb.2469:                             ;   in Loop: Header=BB6_2169 Depth=2
	v_bfe_u32 v2, v2, 23, 8
	v_sub_u32_e32 v8, 0x79, v2
	v_cmp_gt_u32_e32 vcc, s77, v2
	v_cndmask_b32_e32 v8, 0, v8, vcc
	v_cmp_eq_u32_e32 vcc, 0, v2
	v_add_u32_e32 v3, 0xffffff81, v2
	v_or_b32_e32 v9, 0x800000, v38
	v_mov_b32_e32 v2, 0xffffff82
	v_cndmask_b32_e32 v8, v8, v20, vcc
	v_cndmask_b32_e32 v18, v3, v2, vcc
	;; [unrolled: 1-line block ×3, first 2 shown]
	v_add_u32_e32 v2, 20, v8
	v_lshlrev_b64 v[2:3], v2, -1
	v_add_u32_e32 v9, 19, v8
	v_lshrrev_b64 v[36:37], v8, v[38:39]
	v_not_b32_e32 v3, v3
	v_not_b32_e32 v2, v2
	v_lshlrev_b64 v[28:29], v9, 1
	v_lshrrev_b32_e32 v9, 23, v36
	v_and_b32_e32 v3, 0, v3
	v_and_b32_e32 v2, v38, v2
	v_add3_u32 v18, v8, v18, v9
	v_bfe_u32 v8, v36, 20, 1
	v_add_u32_e32 v8, -1, v8
	v_cmp_eq_u64_e32 vcc, v[2:3], v[28:29]
	v_cndmask_b32_e32 v2, 0, v8, vcc
	v_add_u32_e32 v2, v2, v36
	v_and_b32_e32 v2, 0xfffff, v2
	v_add_co_u32_e32 v2, vcc, v2, v36
	v_add_u32_e32 v9, 6, v18
	v_addc_co_u32_e32 v3, vcc, 0, v37, vcc
	v_cmp_ne_u32_e32 vcc, 0, v9
                                        ; implicit-def: $vgpr8
	s_and_saveexec_b64 s[22:23], vcc
	s_xor_b64 s[22:23], exec, s[22:23]
; %bb.2470:                             ;   in Loop: Header=BB6_2169 Depth=2
	v_add_u32_e32 v8, 7, v18
	v_cmp_lt_u64_e32 vcc, s[48:49], v[2:3]
	v_cndmask_b32_e32 v8, v9, v8, vcc
	v_cndmask_b32_e64 v9, 0, 1, vcc
	v_lshrrev_b64 v[2:3], v9, v[2:3]
; %bb.2471:                             ;   in Loop: Header=BB6_2169 Depth=2
	s_andn2_saveexec_b64 s[22:23], s[22:23]
; %bb.2472:                             ;   in Loop: Header=BB6_2169 Depth=2
	v_bfe_u32 v8, v2, 23, 1
; %bb.2473:                             ;   in Loop: Header=BB6_2169 Depth=2
	s_or_b64 exec, exec, s[22:23]
	v_lshrrev_b64 v[2:3], 20, v[2:3]
	v_cmp_gt_i32_e32 vcc, 16, v8
	v_cndmask_b32_e32 v3, 0, v3, vcc
	v_cndmask_b32_e32 v2, 7, v2, vcc
	v_cmp_ne_u32_e32 vcc, 0, v8
	v_cmp_ne_u64_e64 s[22:23], 0, v[2:3]
	s_or_b64 s[22:23], vcc, s[22:23]
                                        ; implicit-def: $vgpr18
	s_and_saveexec_b64 vcc, s[22:23]
	s_xor_b64 s[22:23], exec, vcc
; %bb.2474:                             ;   in Loop: Header=BB6_2169 Depth=2
	v_min_i32_e32 v3, 15, v8
	v_lshl_or_b32 v3, v3, 3, v6
	v_and_or_b32 v18, v2, 7, v3
                                        ; implicit-def: $vgpr6
; %bb.2475:                             ;   in Loop: Header=BB6_2169 Depth=2
	s_andn2_saveexec_b64 s[22:23], s[22:23]
; %bb.2476:                             ;   in Loop: Header=BB6_2169 Depth=2
	v_mov_b32_e32 v18, v6
; %bb.2477:                             ;   in Loop: Header=BB6_2169 Depth=2
	s_or_b64 exec, exec, s[22:23]
.LBB6_2478:                             ;   in Loop: Header=BB6_2169 Depth=2
	s_or_b64 exec, exec, s[62:63]
.LBB6_2479:                             ;   in Loop: Header=BB6_2169 Depth=2
	s_andn2_saveexec_b64 s[22:23], s[60:61]
	s_or_b64 exec, exec, s[22:23]
                                        ; implicit-def: $vgpr2
.LBB6_2480:                             ;   in Loop: Header=BB6_2169 Depth=2
	s_andn2_saveexec_b64 s[22:23], s[58:59]
; %bb.2481:                             ;   in Loop: Header=BB6_2169 Depth=2
	v_or_b32_sdwa v2, v2, s75 dst_sel:DWORD dst_unused:UNUSED_PAD src0_sel:BYTE_3 src1_sel:DWORD
	v_cmp_eq_u64_e32 vcc, 0, v[38:39]
	v_cndmask_b32_e32 v18, v2, v18, vcc
; %bb.2482:                             ;   in Loop: Header=BB6_2169 Depth=2
	s_or_b64 exec, exec, s[22:23]
	flat_load_ubyte v3, v[10:11] offset:896 glc slc
	v_mov_b32_e32 v6, 0
	s_waitcnt vmcnt(0) lgkmcnt(0)
	v_cmp_ne_u16_e32 vcc, 0, v3
	s_and_saveexec_b64 s[22:23], vcc
	s_cbranch_execz .LBB6_2488
; %bb.2483:                             ;   in Loop: Header=BB6_2169 Depth=2
	v_cmp_ne_u16_e32 vcc, s76, v3
	v_bfrev_b32_e32 v6, 1
	s_and_saveexec_b64 s[58:59], vcc
	s_cbranch_execz .LBB6_2487
; %bb.2484:                             ;   in Loop: Header=BB6_2169 Depth=2
	v_and_b32_e32 v2, 0xffff, v3
	v_and_b32_e32 v8, 0x7f, v2
	v_cmp_ne_u32_e32 vcc, s75, v8
	v_mov_b32_e32 v6, 0x7f800001
	s_and_saveexec_b64 s[60:61], vcc
	s_cbranch_execz .LBB6_2486
; %bb.2485:                             ;   in Loop: Header=BB6_2169 Depth=2
	v_and_b32_e32 v6, 7, v2
	v_ffbh_u32_e32 v25, v6
	v_min_u32_e32 v25, 32, v25
	v_subrev_u32_e32 v28, 28, v25
	v_lshlrev_b64 v[28:29], v28, v[2:3]
	v_lshrrev_b32_e32 v9, 3, v8
	v_sub_u32_e32 v2, 29, v25
	v_and_b32_e32 v25, 7, v28
	v_cmp_gt_u32_e32 vcc, 8, v8
	v_cndmask_b32_e32 v2, v9, v2, vcc
	v_cndmask_b32_e32 v6, v6, v25, vcc
	v_lshlrev_b32_e32 v3, 24, v3
	v_lshlrev_b32_e32 v6, 20, v6
	v_and_b32_e32 v3, 0x80000000, v3
	v_lshl_add_u32 v2, v2, 23, v31
	v_or3_b32 v6, v3, v2, v6
.LBB6_2486:                             ;   in Loop: Header=BB6_2169 Depth=2
	s_or_b64 exec, exec, s[60:61]
.LBB6_2487:                             ;   in Loop: Header=BB6_2169 Depth=2
	s_or_b64 exec, exec, s[58:59]
.LBB6_2488:                             ;   in Loop: Header=BB6_2169 Depth=2
	s_or_b64 exec, exec, s[22:23]
	v_mul_f32_e32 v2, s64, v6
	v_and_b32_sdwa v6, v2, s76 dst_sel:DWORD dst_unused:UNUSED_PAD src0_sel:BYTE_3 src1_sel:DWORD
	v_and_b32_e32 v28, 0x7f800000, v2
	v_mov_b32_e32 v29, v39
	v_and_b32_e32 v38, 0x7fffff, v2
	v_or_b32_e32 v8, 0x7e, v6
	v_cmp_ne_u64_e32 vcc, s[42:43], v[28:29]
	s_and_saveexec_b64 s[22:23], vcc
	s_xor_b64 s[58:59], exec, s[22:23]
	s_cbranch_execz .LBB6_2502
; %bb.2489:                             ;   in Loop: Header=BB6_2169 Depth=2
	v_and_b32_e32 v28, 0x7fffffff, v2
	v_mov_b32_e32 v29, v39
	v_cmp_gt_u64_e32 vcc, s[44:45], v[28:29]
	s_and_saveexec_b64 s[22:23], vcc
	s_xor_b64 s[60:61], exec, s[22:23]
	s_cbranch_execz .LBB6_2501
; %bb.2490:                             ;   in Loop: Header=BB6_2169 Depth=2
	v_cmp_ne_u32_e32 vcc, 0, v2
	v_mov_b32_e32 v8, 0
	s_and_saveexec_b64 s[62:63], vcc
	s_cbranch_execz .LBB6_2500
; %bb.2491:                             ;   in Loop: Header=BB6_2169 Depth=2
	v_bfe_u32 v2, v2, 23, 8
	v_sub_u32_e32 v8, 0x79, v2
	v_cmp_gt_u32_e32 vcc, s77, v2
	v_cndmask_b32_e32 v8, 0, v8, vcc
	v_cmp_eq_u32_e32 vcc, 0, v2
	v_add_u32_e32 v3, 0xffffff81, v2
	v_or_b32_e32 v9, 0x800000, v38
	v_mov_b32_e32 v2, 0xffffff82
	v_cndmask_b32_e32 v8, v8, v20, vcc
	v_cndmask_b32_e32 v25, v3, v2, vcc
	;; [unrolled: 1-line block ×3, first 2 shown]
	v_add_u32_e32 v2, 20, v8
	v_lshlrev_b64 v[2:3], v2, -1
	v_add_u32_e32 v9, 19, v8
	v_lshrrev_b64 v[36:37], v8, v[38:39]
	v_not_b32_e32 v3, v3
	v_not_b32_e32 v2, v2
	v_lshlrev_b64 v[28:29], v9, 1
	v_lshrrev_b32_e32 v9, 23, v36
	v_and_b32_e32 v3, 0, v3
	v_and_b32_e32 v2, v38, v2
	v_add3_u32 v25, v8, v25, v9
	v_bfe_u32 v9, v36, 20, 1
	v_add_u32_e32 v9, -1, v9
	v_cmp_eq_u64_e32 vcc, v[2:3], v[28:29]
	v_cndmask_b32_e32 v2, 0, v9, vcc
	v_add_u32_e32 v2, v2, v36
	v_and_b32_e32 v2, 0xfffff, v2
	v_add_co_u32_e32 v2, vcc, v2, v36
	v_add_u32_e32 v8, 6, v25
	v_addc_co_u32_e32 v3, vcc, 0, v37, vcc
	v_cmp_ne_u32_e32 vcc, 0, v8
                                        ; implicit-def: $vgpr9
	s_and_saveexec_b64 s[22:23], vcc
	s_xor_b64 s[22:23], exec, s[22:23]
; %bb.2492:                             ;   in Loop: Header=BB6_2169 Depth=2
	v_add_u32_e32 v9, 7, v25
	v_cmp_lt_u64_e32 vcc, s[48:49], v[2:3]
	v_cndmask_b32_e32 v9, v8, v9, vcc
	v_cndmask_b32_e64 v8, 0, 1, vcc
	v_lshrrev_b64 v[2:3], v8, v[2:3]
; %bb.2493:                             ;   in Loop: Header=BB6_2169 Depth=2
	s_andn2_saveexec_b64 s[22:23], s[22:23]
; %bb.2494:                             ;   in Loop: Header=BB6_2169 Depth=2
	v_bfe_u32 v9, v2, 23, 1
; %bb.2495:                             ;   in Loop: Header=BB6_2169 Depth=2
	s_or_b64 exec, exec, s[22:23]
	v_lshrrev_b64 v[2:3], 20, v[2:3]
	v_cmp_gt_i32_e32 vcc, 16, v9
	v_cndmask_b32_e32 v3, 0, v3, vcc
	v_cndmask_b32_e32 v2, 7, v2, vcc
	v_cmp_ne_u32_e32 vcc, 0, v9
	v_cmp_ne_u64_e64 s[22:23], 0, v[2:3]
	s_or_b64 s[22:23], vcc, s[22:23]
                                        ; implicit-def: $vgpr8
	s_and_saveexec_b64 vcc, s[22:23]
	s_xor_b64 s[22:23], exec, vcc
; %bb.2496:                             ;   in Loop: Header=BB6_2169 Depth=2
	v_min_i32_e32 v3, 15, v9
	v_lshl_or_b32 v3, v3, 3, v6
	v_and_or_b32 v8, v2, 7, v3
                                        ; implicit-def: $vgpr6
; %bb.2497:                             ;   in Loop: Header=BB6_2169 Depth=2
	s_andn2_saveexec_b64 s[22:23], s[22:23]
; %bb.2498:                             ;   in Loop: Header=BB6_2169 Depth=2
	v_mov_b32_e32 v8, v6
; %bb.2499:                             ;   in Loop: Header=BB6_2169 Depth=2
	s_or_b64 exec, exec, s[22:23]
.LBB6_2500:                             ;   in Loop: Header=BB6_2169 Depth=2
	s_or_b64 exec, exec, s[62:63]
.LBB6_2501:                             ;   in Loop: Header=BB6_2169 Depth=2
	s_andn2_saveexec_b64 s[22:23], s[60:61]
	s_or_b64 exec, exec, s[22:23]
                                        ; implicit-def: $vgpr2
.LBB6_2502:                             ;   in Loop: Header=BB6_2169 Depth=2
	s_andn2_saveexec_b64 s[22:23], s[58:59]
; %bb.2503:                             ;   in Loop: Header=BB6_2169 Depth=2
	v_or_b32_sdwa v2, v2, s75 dst_sel:DWORD dst_unused:UNUSED_PAD src0_sel:BYTE_3 src1_sel:DWORD
	v_cmp_eq_u64_e32 vcc, 0, v[38:39]
	v_cndmask_b32_e32 v8, v2, v8, vcc
; %bb.2504:                             ;   in Loop: Header=BB6_2169 Depth=2
	s_or_b64 exec, exec, s[22:23]
	flat_load_ubyte v3, v[10:11] offset:960 glc slc
	v_mov_b32_e32 v6, 0
	s_waitcnt vmcnt(0) lgkmcnt(0)
	v_cmp_ne_u16_e32 vcc, 0, v3
	s_and_saveexec_b64 s[22:23], vcc
	s_cbranch_execz .LBB6_2510
; %bb.2505:                             ;   in Loop: Header=BB6_2169 Depth=2
	v_cmp_ne_u16_e32 vcc, s76, v3
	v_bfrev_b32_e32 v6, 1
	s_and_saveexec_b64 s[58:59], vcc
	s_cbranch_execz .LBB6_2509
; %bb.2506:                             ;   in Loop: Header=BB6_2169 Depth=2
	v_and_b32_e32 v2, 0xffff, v3
	v_and_b32_e32 v9, 0x7f, v2
	v_cmp_ne_u32_e32 vcc, s75, v9
	v_mov_b32_e32 v6, 0x7f800001
	s_and_saveexec_b64 s[60:61], vcc
	s_cbranch_execz .LBB6_2508
; %bb.2507:                             ;   in Loop: Header=BB6_2169 Depth=2
	v_and_b32_e32 v6, 7, v2
	v_ffbh_u32_e32 v28, v6
	v_min_u32_e32 v36, 32, v28
	v_subrev_u32_e32 v28, 28, v36
	v_lshlrev_b64 v[28:29], v28, v[2:3]
	v_lshrrev_b32_e32 v25, 3, v9
	v_sub_u32_e32 v2, 29, v36
	v_and_b32_e32 v28, 7, v28
	v_cmp_gt_u32_e32 vcc, 8, v9
	v_cndmask_b32_e32 v2, v25, v2, vcc
	v_cndmask_b32_e32 v6, v6, v28, vcc
	v_lshlrev_b32_e32 v3, 24, v3
	v_lshlrev_b32_e32 v6, 20, v6
	v_and_b32_e32 v3, 0x80000000, v3
	v_lshl_add_u32 v2, v2, 23, v31
	v_or3_b32 v6, v3, v2, v6
.LBB6_2508:                             ;   in Loop: Header=BB6_2169 Depth=2
	s_or_b64 exec, exec, s[60:61]
.LBB6_2509:                             ;   in Loop: Header=BB6_2169 Depth=2
	s_or_b64 exec, exec, s[58:59]
.LBB6_2510:                             ;   in Loop: Header=BB6_2169 Depth=2
	s_or_b64 exec, exec, s[22:23]
	v_mul_f32_e32 v2, s64, v6
	v_and_b32_sdwa v9, v2, s76 dst_sel:DWORD dst_unused:UNUSED_PAD src0_sel:BYTE_3 src1_sel:DWORD
	v_and_b32_e32 v28, 0x7f800000, v2
	v_mov_b32_e32 v29, v39
	v_and_b32_e32 v38, 0x7fffff, v2
	v_or_b32_e32 v6, 0x7e, v9
	v_cmp_ne_u64_e32 vcc, s[42:43], v[28:29]
	s_and_saveexec_b64 s[22:23], vcc
	s_xor_b64 s[58:59], exec, s[22:23]
	s_cbranch_execz .LBB6_2524
; %bb.2511:                             ;   in Loop: Header=BB6_2169 Depth=2
	v_and_b32_e32 v28, 0x7fffffff, v2
	v_mov_b32_e32 v29, v39
	v_cmp_gt_u64_e32 vcc, s[44:45], v[28:29]
	s_and_saveexec_b64 s[22:23], vcc
	s_xor_b64 s[60:61], exec, s[22:23]
	s_cbranch_execz .LBB6_2523
; %bb.2512:                             ;   in Loop: Header=BB6_2169 Depth=2
	v_cmp_ne_u32_e32 vcc, 0, v2
	v_mov_b32_e32 v6, 0
	s_and_saveexec_b64 s[62:63], vcc
	s_cbranch_execz .LBB6_2522
; %bb.2513:                             ;   in Loop: Header=BB6_2169 Depth=2
	v_bfe_u32 v2, v2, 23, 8
	v_sub_u32_e32 v6, 0x79, v2
	v_cmp_gt_u32_e32 vcc, s77, v2
	v_cndmask_b32_e32 v6, 0, v6, vcc
	v_cmp_eq_u32_e32 vcc, 0, v2
	v_add_u32_e32 v3, 0xffffff81, v2
	v_or_b32_e32 v25, 0x800000, v38
	v_mov_b32_e32 v2, 0xffffff82
	v_cndmask_b32_e32 v6, v6, v20, vcc
	v_cndmask_b32_e32 v28, v3, v2, vcc
	;; [unrolled: 1-line block ×3, first 2 shown]
	v_add_u32_e32 v2, 20, v6
	v_lshlrev_b64 v[2:3], v2, -1
	v_add_u32_e32 v25, 19, v6
	v_lshrrev_b64 v[48:49], v6, v[38:39]
	v_not_b32_e32 v3, v3
	v_not_b32_e32 v2, v2
	v_lshlrev_b64 v[36:37], v25, 1
	v_lshrrev_b32_e32 v25, 23, v48
	v_and_b32_e32 v3, 0, v3
	v_and_b32_e32 v2, v38, v2
	v_add3_u32 v28, v6, v28, v25
	v_bfe_u32 v25, v48, 20, 1
	v_add_u32_e32 v25, -1, v25
	v_cmp_eq_u64_e32 vcc, v[2:3], v[36:37]
	v_cndmask_b32_e32 v2, 0, v25, vcc
	v_add_u32_e32 v2, v2, v48
	v_and_b32_e32 v2, 0xfffff, v2
	v_add_co_u32_e32 v2, vcc, v2, v48
	v_add_u32_e32 v6, 6, v28
	v_addc_co_u32_e32 v3, vcc, 0, v49, vcc
	v_cmp_ne_u32_e32 vcc, 0, v6
                                        ; implicit-def: $vgpr25
	s_and_saveexec_b64 s[22:23], vcc
	s_xor_b64 s[22:23], exec, s[22:23]
; %bb.2514:                             ;   in Loop: Header=BB6_2169 Depth=2
	v_add_u32_e32 v25, 7, v28
	v_cmp_lt_u64_e32 vcc, s[48:49], v[2:3]
	v_cndmask_b32_e32 v25, v6, v25, vcc
	v_cndmask_b32_e64 v6, 0, 1, vcc
	v_lshrrev_b64 v[2:3], v6, v[2:3]
; %bb.2515:                             ;   in Loop: Header=BB6_2169 Depth=2
	s_andn2_saveexec_b64 s[22:23], s[22:23]
; %bb.2516:                             ;   in Loop: Header=BB6_2169 Depth=2
	v_bfe_u32 v25, v2, 23, 1
; %bb.2517:                             ;   in Loop: Header=BB6_2169 Depth=2
	s_or_b64 exec, exec, s[22:23]
	v_lshrrev_b64 v[2:3], 20, v[2:3]
	v_cmp_gt_i32_e32 vcc, 16, v25
	v_cndmask_b32_e32 v3, 0, v3, vcc
	v_cndmask_b32_e32 v2, 7, v2, vcc
	v_cmp_ne_u32_e32 vcc, 0, v25
	v_cmp_ne_u64_e64 s[22:23], 0, v[2:3]
	s_or_b64 s[22:23], vcc, s[22:23]
                                        ; implicit-def: $vgpr6
	s_and_saveexec_b64 vcc, s[22:23]
	s_xor_b64 s[22:23], exec, vcc
; %bb.2518:                             ;   in Loop: Header=BB6_2169 Depth=2
	v_min_i32_e32 v3, 15, v25
	v_lshl_or_b32 v3, v3, 3, v9
	v_and_or_b32 v6, v2, 7, v3
                                        ; implicit-def: $vgpr9
; %bb.2519:                             ;   in Loop: Header=BB6_2169 Depth=2
	s_andn2_saveexec_b64 s[22:23], s[22:23]
; %bb.2520:                             ;   in Loop: Header=BB6_2169 Depth=2
	v_mov_b32_e32 v6, v9
; %bb.2521:                             ;   in Loop: Header=BB6_2169 Depth=2
	s_or_b64 exec, exec, s[22:23]
.LBB6_2522:                             ;   in Loop: Header=BB6_2169 Depth=2
	s_or_b64 exec, exec, s[62:63]
.LBB6_2523:                             ;   in Loop: Header=BB6_2169 Depth=2
	s_andn2_saveexec_b64 s[22:23], s[60:61]
	s_or_b64 exec, exec, s[22:23]
                                        ; implicit-def: $vgpr2
.LBB6_2524:                             ;   in Loop: Header=BB6_2169 Depth=2
	s_andn2_saveexec_b64 s[22:23], s[58:59]
; %bb.2525:                             ;   in Loop: Header=BB6_2169 Depth=2
	v_or_b32_sdwa v2, v2, s75 dst_sel:DWORD dst_unused:UNUSED_PAD src0_sel:BYTE_3 src1_sel:DWORD
	v_cmp_eq_u64_e32 vcc, 0, v[38:39]
	v_cndmask_b32_e32 v6, v2, v6, vcc
; %bb.2526:                             ;   in Loop: Header=BB6_2169 Depth=2
	s_or_b64 exec, exec, s[22:23]
	flat_load_ubyte v3, v[12:13] glc slc
	flat_load_ubyte v44, v[12:13] offset:64 glc slc
	flat_load_ubyte v43, v[12:13] offset:128 glc slc
	;; [unrolled: 1-line block ×15, first 2 shown]
	v_and_b32_e32 v2, 0xff, v7
	v_cmp_ne_u16_e32 vcc, 0, v2
	v_mov_b32_e32 v38, 0
	v_mov_b32_e32 v45, 0
	s_and_saveexec_b64 s[22:23], vcc
	s_cbranch_execz .LBB6_2532
; %bb.2527:                             ;   in Loop: Header=BB6_2169 Depth=2
	v_cmp_ne_u16_e32 vcc, s76, v2
	v_bfrev_b32_e32 v45, 1
	s_and_saveexec_b64 s[58:59], vcc
	s_cbranch_execz .LBB6_2531
; %bb.2528:                             ;   in Loop: Header=BB6_2169 Depth=2
	v_and_b32_e32 v46, 0x7f, v7
	v_cmp_ne_u32_e32 vcc, s75, v46
	v_mov_b32_e32 v45, 0x7f800001
	s_and_saveexec_b64 s[60:61], vcc
	s_cbranch_execz .LBB6_2530
; %bb.2529:                             ;   in Loop: Header=BB6_2169 Depth=2
	v_and_b32_e32 v52, 7, v2
	v_ffbh_u32_e32 v36, v52
	v_min_u32_e32 v45, 32, v36
	v_subrev_u32_e32 v36, 28, v45
	s_waitcnt vmcnt(0) lgkmcnt(0)
	v_lshlrev_b64 v[36:37], v36, v[2:3]
	v_lshrrev_b32_e32 v53, 3, v46
	v_sub_u32_e32 v2, 29, v45
	v_and_b32_e32 v36, 7, v36
	v_cmp_gt_u32_e32 vcc, 8, v46
	v_cndmask_b32_e32 v2, v53, v2, vcc
	v_cndmask_b32_e32 v36, v52, v36, vcc
	v_lshlrev_b32_e32 v7, 24, v7
	v_accvgpr_read_b32 v53, a45
	v_lshlrev_b32_e32 v36, 20, v36
	v_and_b32_e32 v7, 0x80000000, v7
	v_lshl_add_u32 v2, v2, 23, v31
	v_accvgpr_read_b32 v52, a44
	v_or3_b32 v45, v7, v2, v36
.LBB6_2530:                             ;   in Loop: Header=BB6_2169 Depth=2
	s_or_b64 exec, exec, s[60:61]
.LBB6_2531:                             ;   in Loop: Header=BB6_2169 Depth=2
	s_or_b64 exec, exec, s[58:59]
.LBB6_2532:                             ;   in Loop: Header=BB6_2169 Depth=2
	s_or_b64 exec, exec, s[22:23]
	s_waitcnt vmcnt(0) lgkmcnt(0)
	v_and_b32_e32 v2, 0xff, v3
	v_cmp_ne_u16_e32 vcc, 0, v2
	s_and_saveexec_b64 s[22:23], vcc
	s_cbranch_execz .LBB6_2538
; %bb.2533:                             ;   in Loop: Header=BB6_2169 Depth=2
	v_cmp_ne_u16_e32 vcc, s76, v2
	v_bfrev_b32_e32 v38, 1
	s_and_saveexec_b64 s[58:59], vcc
	s_cbranch_execz .LBB6_2537
; %bb.2534:                             ;   in Loop: Header=BB6_2169 Depth=2
	v_and_b32_e32 v7, 0x7f, v3
	v_cmp_ne_u32_e32 vcc, s75, v7
	v_mov_b32_e32 v38, 0x7f800001
	s_and_saveexec_b64 s[60:61], vcc
	s_cbranch_execz .LBB6_2536
; %bb.2535:                             ;   in Loop: Header=BB6_2169 Depth=2
	v_and_b32_e32 v38, 7, v2
	v_ffbh_u32_e32 v36, v38
	v_min_u32_e32 v53, 32, v36
	v_subrev_u32_e32 v36, 28, v53
	v_lshlrev_b64 v[36:37], v36, v[2:3]
	v_lshrrev_b32_e32 v52, 3, v7
	v_sub_u32_e32 v2, 29, v53
	v_and_b32_e32 v36, 7, v36
	v_cmp_gt_u32_e32 vcc, 8, v7
	v_cndmask_b32_e32 v2, v52, v2, vcc
	v_cndmask_b32_e32 v7, v38, v36, vcc
	v_lshlrev_b32_e32 v3, 24, v3
	v_accvgpr_read_b32 v53, a45
	v_lshlrev_b32_e32 v7, 20, v7
	v_and_b32_e32 v3, 0x80000000, v3
	v_lshl_add_u32 v2, v2, 23, v31
	v_accvgpr_read_b32 v52, a44
	v_or3_b32 v38, v3, v2, v7
.LBB6_2536:                             ;   in Loop: Header=BB6_2169 Depth=2
	s_or_b64 exec, exec, s[60:61]
.LBB6_2537:                             ;   in Loop: Header=BB6_2169 Depth=2
	s_or_b64 exec, exec, s[58:59]
.LBB6_2538:                             ;   in Loop: Header=BB6_2169 Depth=2
	s_or_b64 exec, exec, s[22:23]
	v_add_f32_e32 v2, v45, v38
	v_and_b32_sdwa v45, v2, s76 dst_sel:DWORD dst_unused:UNUSED_PAD src0_sel:BYTE_3 src1_sel:DWORD
	v_and_b32_e32 v36, 0x7f800000, v2
	v_mov_b32_e32 v37, v39
	v_and_b32_e32 v38, 0x7fffff, v2
	v_or_b32_e32 v7, 0x7e, v45
	v_cmp_ne_u64_e32 vcc, s[42:43], v[36:37]
	s_and_saveexec_b64 s[22:23], vcc
	s_xor_b64 s[58:59], exec, s[22:23]
	s_cbranch_execz .LBB6_2552
; %bb.2539:                             ;   in Loop: Header=BB6_2169 Depth=2
	v_and_b32_e32 v36, 0x7fffffff, v2
	v_mov_b32_e32 v37, v39
	v_cmp_gt_u64_e32 vcc, s[44:45], v[36:37]
	s_and_saveexec_b64 s[22:23], vcc
	s_xor_b64 s[60:61], exec, s[22:23]
	s_cbranch_execz .LBB6_2551
; %bb.2540:                             ;   in Loop: Header=BB6_2169 Depth=2
	v_cmp_ne_u32_e32 vcc, 0, v2
	v_mov_b32_e32 v7, 0
	s_and_saveexec_b64 s[62:63], vcc
	s_cbranch_execz .LBB6_2550
; %bb.2541:                             ;   in Loop: Header=BB6_2169 Depth=2
	v_bfe_u32 v2, v2, 23, 8
	v_sub_u32_e32 v7, 0x79, v2
	v_cmp_gt_u32_e32 vcc, s77, v2
	v_cndmask_b32_e32 v7, 0, v7, vcc
	v_cmp_eq_u32_e32 vcc, 0, v2
	v_add_u32_e32 v3, 0xffffff81, v2
	v_mov_b32_e32 v2, 0xffffff82
	v_cndmask_b32_e32 v7, v7, v20, vcc
	v_or_b32_e32 v36, 0x800000, v38
	v_cndmask_b32_e32 v46, v3, v2, vcc
	v_add_u32_e32 v2, 20, v7
	v_cndmask_b32_e32 v38, v36, v38, vcc
	v_lshlrev_b64 v[2:3], v2, -1
	v_not_b32_e32 v2, v2
	v_lshrrev_b64 v[52:53], v7, v[38:39]
	v_not_b32_e32 v3, v3
	v_and_b32_e32 v2, v38, v2
	v_add_u32_e32 v36, 19, v7
	v_lshrrev_b32_e32 v38, 23, v52
	v_and_b32_e32 v3, 0, v3
	v_lshlrev_b64 v[36:37], v36, 1
	v_add3_u32 v46, v7, v46, v38
	v_bfe_u32 v38, v52, 20, 1
	v_add_u32_e32 v38, -1, v38
	v_cmp_eq_u64_e32 vcc, v[2:3], v[36:37]
	v_cndmask_b32_e32 v2, 0, v38, vcc
	v_add_u32_e32 v2, v2, v52
	v_and_b32_e32 v2, 0xfffff, v2
	v_add_co_u32_e32 v2, vcc, v2, v52
	v_add_u32_e32 v7, 6, v46
	v_addc_co_u32_e32 v3, vcc, 0, v53, vcc
	v_cmp_ne_u32_e32 vcc, 0, v7
                                        ; implicit-def: $vgpr38
	s_and_saveexec_b64 s[22:23], vcc
	s_xor_b64 s[22:23], exec, s[22:23]
; %bb.2542:                             ;   in Loop: Header=BB6_2169 Depth=2
	v_add_u32_e32 v36, 7, v46
	v_cmp_lt_u64_e32 vcc, s[48:49], v[2:3]
	v_cndmask_b32_e32 v38, v7, v36, vcc
	v_cndmask_b32_e64 v7, 0, 1, vcc
	v_lshrrev_b64 v[2:3], v7, v[2:3]
; %bb.2543:                             ;   in Loop: Header=BB6_2169 Depth=2
	s_andn2_saveexec_b64 s[22:23], s[22:23]
; %bb.2544:                             ;   in Loop: Header=BB6_2169 Depth=2
	v_bfe_u32 v38, v2, 23, 1
; %bb.2545:                             ;   in Loop: Header=BB6_2169 Depth=2
	s_or_b64 exec, exec, s[22:23]
	v_lshrrev_b64 v[2:3], 20, v[2:3]
	v_cmp_gt_i32_e32 vcc, 16, v38
	v_cndmask_b32_e32 v3, 0, v3, vcc
	v_cndmask_b32_e32 v2, 7, v2, vcc
	v_cmp_ne_u32_e32 vcc, 0, v38
	v_cmp_ne_u64_e64 s[22:23], 0, v[2:3]
	s_or_b64 s[22:23], vcc, s[22:23]
                                        ; implicit-def: $vgpr7
	s_mov_b64 vcc, exec
	s_and_b64 s[64:65], vcc, s[22:23]
	v_accvgpr_read_b32 v53, a45
	s_xor_b64 s[22:23], s[64:65], vcc
	v_accvgpr_read_b32 v52, a44
	s_mov_b64 exec, s[64:65]
; %bb.2546:                             ;   in Loop: Header=BB6_2169 Depth=2
	v_min_i32_e32 v3, 15, v38
	v_lshl_or_b32 v3, v3, 3, v45
	v_and_or_b32 v7, v2, 7, v3
                                        ; implicit-def: $vgpr45
; %bb.2547:                             ;   in Loop: Header=BB6_2169 Depth=2
	s_andn2_saveexec_b64 s[22:23], s[22:23]
; %bb.2548:                             ;   in Loop: Header=BB6_2169 Depth=2
	v_mov_b32_e32 v7, v45
; %bb.2549:                             ;   in Loop: Header=BB6_2169 Depth=2
	s_or_b64 exec, exec, s[22:23]
.LBB6_2550:                             ;   in Loop: Header=BB6_2169 Depth=2
	s_or_b64 exec, exec, s[62:63]
.LBB6_2551:                             ;   in Loop: Header=BB6_2169 Depth=2
	s_andn2_saveexec_b64 s[22:23], s[60:61]
	s_or_b64 exec, exec, s[22:23]
                                        ; implicit-def: $vgpr2
.LBB6_2552:                             ;   in Loop: Header=BB6_2169 Depth=2
	s_andn2_saveexec_b64 s[22:23], s[58:59]
; %bb.2553:                             ;   in Loop: Header=BB6_2169 Depth=2
	v_or_b32_sdwa v2, v2, s75 dst_sel:DWORD dst_unused:UNUSED_PAD src0_sel:BYTE_3 src1_sel:DWORD
	v_cmp_eq_u64_e32 vcc, 0, v[38:39]
	v_cndmask_b32_e32 v7, v2, v7, vcc
; %bb.2554:                             ;   in Loop: Header=BB6_2169 Depth=2
	s_or_b64 exec, exec, s[22:23]
	v_and_b32_e32 v2, 0xff, v24
	v_cmp_ne_u16_e32 vcc, 0, v2
	v_mov_b32_e32 v3, 0
	v_mov_b32_e32 v38, 0
	s_and_saveexec_b64 s[22:23], vcc
	s_cbranch_execz .LBB6_2560
; %bb.2555:                             ;   in Loop: Header=BB6_2169 Depth=2
	v_cmp_ne_u16_e32 vcc, s76, v2
	v_bfrev_b32_e32 v38, 1
	s_and_saveexec_b64 s[58:59], vcc
	s_cbranch_execz .LBB6_2559
; %bb.2556:                             ;   in Loop: Header=BB6_2169 Depth=2
	v_and_b32_e32 v45, 0x7f, v24
	v_cmp_ne_u32_e32 vcc, s75, v45
	v_mov_b32_e32 v38, 0x7f800001
	s_and_saveexec_b64 s[60:61], vcc
	s_cbranch_execz .LBB6_2558
; %bb.2557:                             ;   in Loop: Header=BB6_2169 Depth=2
	v_and_b32_e32 v38, 7, v2
	v_ffbh_u32_e32 v36, v38
	v_min_u32_e32 v53, 32, v36
	v_subrev_u32_e32 v36, 28, v53
	v_lshlrev_b64 v[36:37], v36, v[2:3]
	v_lshrrev_b32_e32 v52, 3, v45
	v_sub_u32_e32 v2, 29, v53
	v_and_b32_e32 v36, 7, v36
	v_cmp_gt_u32_e32 vcc, 8, v45
	v_cndmask_b32_e32 v2, v52, v2, vcc
	v_cndmask_b32_e32 v36, v38, v36, vcc
	v_lshlrev_b32_e32 v24, 24, v24
	v_accvgpr_read_b32 v53, a45
	v_lshlrev_b32_e32 v36, 20, v36
	v_and_b32_e32 v24, 0x80000000, v24
	v_lshl_add_u32 v2, v2, 23, v31
	v_accvgpr_read_b32 v52, a44
	v_or3_b32 v38, v24, v2, v36
.LBB6_2558:                             ;   in Loop: Header=BB6_2169 Depth=2
	s_or_b64 exec, exec, s[60:61]
.LBB6_2559:                             ;   in Loop: Header=BB6_2169 Depth=2
	s_or_b64 exec, exec, s[58:59]
.LBB6_2560:                             ;   in Loop: Header=BB6_2169 Depth=2
	s_or_b64 exec, exec, s[22:23]
	v_and_b32_e32 v2, 0xff, v44
	v_cmp_ne_u16_e32 vcc, 0, v2
	s_and_saveexec_b64 s[22:23], vcc
	s_cbranch_execz .LBB6_2566
; %bb.2561:                             ;   in Loop: Header=BB6_2169 Depth=2
	v_cmp_ne_u16_e32 vcc, s76, v2
	v_bfrev_b32_e32 v3, 1
	s_and_saveexec_b64 s[58:59], vcc
	s_cbranch_execz .LBB6_2565
; %bb.2562:                             ;   in Loop: Header=BB6_2169 Depth=2
	v_and_b32_e32 v24, 0x7f, v44
	v_cmp_ne_u32_e32 vcc, s75, v24
	v_mov_b32_e32 v3, 0x7f800001
	s_and_saveexec_b64 s[60:61], vcc
	s_cbranch_execz .LBB6_2564
; %bb.2563:                             ;   in Loop: Header=BB6_2169 Depth=2
	v_and_b32_e32 v36, 7, v2
	v_ffbh_u32_e32 v3, v36
	v_min_u32_e32 v52, 32, v3
	v_subrev_u32_e32 v3, 28, v52
	v_lshlrev_b64 v[2:3], v3, v[2:3]
	v_lshrrev_b32_e32 v37, 3, v24
	v_sub_u32_e32 v3, 29, v52
	v_and_b32_e32 v2, 7, v2
	v_cmp_gt_u32_e32 vcc, 8, v24
	v_cndmask_b32_e32 v3, v37, v3, vcc
	v_cndmask_b32_e32 v2, v36, v2, vcc
	v_lshlrev_b32_e32 v24, 24, v44
	v_accvgpr_read_b32 v53, a45
	v_lshlrev_b32_e32 v2, 20, v2
	v_and_b32_e32 v24, 0x80000000, v24
	v_lshl_add_u32 v3, v3, 23, v31
	v_accvgpr_read_b32 v52, a44
	v_or3_b32 v3, v24, v3, v2
.LBB6_2564:                             ;   in Loop: Header=BB6_2169 Depth=2
	s_or_b64 exec, exec, s[60:61]
.LBB6_2565:                             ;   in Loop: Header=BB6_2169 Depth=2
	s_or_b64 exec, exec, s[58:59]
.LBB6_2566:                             ;   in Loop: Header=BB6_2169 Depth=2
	s_or_b64 exec, exec, s[22:23]
	v_add_f32_e32 v2, v38, v3
	v_and_b32_sdwa v44, v2, s76 dst_sel:DWORD dst_unused:UNUSED_PAD src0_sel:BYTE_3 src1_sel:DWORD
	v_and_b32_e32 v36, 0x7f800000, v2
	v_mov_b32_e32 v37, v39
	v_and_b32_e32 v38, 0x7fffff, v2
	v_or_b32_e32 v24, 0x7e, v44
	v_cmp_ne_u64_e32 vcc, s[42:43], v[36:37]
	s_and_saveexec_b64 s[22:23], vcc
	s_xor_b64 s[58:59], exec, s[22:23]
	s_cbranch_execz .LBB6_2580
; %bb.2567:                             ;   in Loop: Header=BB6_2169 Depth=2
	v_and_b32_e32 v36, 0x7fffffff, v2
	v_mov_b32_e32 v37, v39
	v_cmp_gt_u64_e32 vcc, s[44:45], v[36:37]
	s_and_saveexec_b64 s[22:23], vcc
	s_xor_b64 s[60:61], exec, s[22:23]
	s_cbranch_execz .LBB6_2579
; %bb.2568:                             ;   in Loop: Header=BB6_2169 Depth=2
	v_cmp_ne_u32_e32 vcc, 0, v2
	v_mov_b32_e32 v24, 0
	s_and_saveexec_b64 s[62:63], vcc
	s_cbranch_execz .LBB6_2578
; %bb.2569:                             ;   in Loop: Header=BB6_2169 Depth=2
	v_bfe_u32 v2, v2, 23, 8
	v_sub_u32_e32 v24, 0x79, v2
	v_cmp_gt_u32_e32 vcc, s77, v2
	v_cndmask_b32_e32 v24, 0, v24, vcc
	v_cmp_eq_u32_e32 vcc, 0, v2
	v_add_u32_e32 v3, 0xffffff81, v2
	v_mov_b32_e32 v2, 0xffffff82
	v_cndmask_b32_e32 v24, v24, v20, vcc
	v_or_b32_e32 v36, 0x800000, v38
	v_cndmask_b32_e32 v45, v3, v2, vcc
	v_add_u32_e32 v2, 20, v24
	v_cndmask_b32_e32 v38, v36, v38, vcc
	v_lshlrev_b64 v[2:3], v2, -1
	v_not_b32_e32 v2, v2
	v_lshrrev_b64 v[52:53], v24, v[38:39]
	v_not_b32_e32 v3, v3
	v_and_b32_e32 v2, v38, v2
	v_add_u32_e32 v36, 19, v24
	v_lshrrev_b32_e32 v38, 23, v52
	v_and_b32_e32 v3, 0, v3
	v_lshlrev_b64 v[36:37], v36, 1
	v_add3_u32 v45, v24, v45, v38
	v_bfe_u32 v38, v52, 20, 1
	v_add_u32_e32 v38, -1, v38
	v_cmp_eq_u64_e32 vcc, v[2:3], v[36:37]
	v_cndmask_b32_e32 v2, 0, v38, vcc
	v_add_u32_e32 v2, v2, v52
	v_and_b32_e32 v2, 0xfffff, v2
	v_add_co_u32_e32 v2, vcc, v2, v52
	v_add_u32_e32 v24, 6, v45
	v_addc_co_u32_e32 v3, vcc, 0, v53, vcc
	v_cmp_ne_u32_e32 vcc, 0, v24
                                        ; implicit-def: $vgpr38
	s_and_saveexec_b64 s[22:23], vcc
	s_xor_b64 s[22:23], exec, s[22:23]
; %bb.2570:                             ;   in Loop: Header=BB6_2169 Depth=2
	v_add_u32_e32 v36, 7, v45
	v_cmp_lt_u64_e32 vcc, s[48:49], v[2:3]
	v_cndmask_b32_e32 v38, v24, v36, vcc
	v_cndmask_b32_e64 v24, 0, 1, vcc
	v_lshrrev_b64 v[2:3], v24, v[2:3]
; %bb.2571:                             ;   in Loop: Header=BB6_2169 Depth=2
	s_andn2_saveexec_b64 s[22:23], s[22:23]
; %bb.2572:                             ;   in Loop: Header=BB6_2169 Depth=2
	v_bfe_u32 v38, v2, 23, 1
; %bb.2573:                             ;   in Loop: Header=BB6_2169 Depth=2
	s_or_b64 exec, exec, s[22:23]
	v_lshrrev_b64 v[2:3], 20, v[2:3]
	v_cmp_gt_i32_e32 vcc, 16, v38
	v_cndmask_b32_e32 v3, 0, v3, vcc
	v_cndmask_b32_e32 v2, 7, v2, vcc
	v_cmp_ne_u32_e32 vcc, 0, v38
	v_cmp_ne_u64_e64 s[22:23], 0, v[2:3]
	s_or_b64 s[22:23], vcc, s[22:23]
                                        ; implicit-def: $vgpr24
	s_mov_b64 vcc, exec
	s_and_b64 s[64:65], vcc, s[22:23]
	v_accvgpr_read_b32 v53, a45
	s_xor_b64 s[22:23], s[64:65], vcc
	v_accvgpr_read_b32 v52, a44
	s_mov_b64 exec, s[64:65]
; %bb.2574:                             ;   in Loop: Header=BB6_2169 Depth=2
	v_min_i32_e32 v3, 15, v38
	v_lshl_or_b32 v3, v3, 3, v44
	v_and_or_b32 v24, v2, 7, v3
                                        ; implicit-def: $vgpr44
; %bb.2575:                             ;   in Loop: Header=BB6_2169 Depth=2
	s_andn2_saveexec_b64 s[22:23], s[22:23]
; %bb.2576:                             ;   in Loop: Header=BB6_2169 Depth=2
	v_mov_b32_e32 v24, v44
; %bb.2577:                             ;   in Loop: Header=BB6_2169 Depth=2
	s_or_b64 exec, exec, s[22:23]
.LBB6_2578:                             ;   in Loop: Header=BB6_2169 Depth=2
	s_or_b64 exec, exec, s[62:63]
.LBB6_2579:                             ;   in Loop: Header=BB6_2169 Depth=2
	s_andn2_saveexec_b64 s[22:23], s[60:61]
	s_or_b64 exec, exec, s[22:23]
                                        ; implicit-def: $vgpr2
.LBB6_2580:                             ;   in Loop: Header=BB6_2169 Depth=2
	s_andn2_saveexec_b64 s[22:23], s[58:59]
; %bb.2581:                             ;   in Loop: Header=BB6_2169 Depth=2
	v_or_b32_sdwa v2, v2, s75 dst_sel:DWORD dst_unused:UNUSED_PAD src0_sel:BYTE_3 src1_sel:DWORD
	v_cmp_eq_u64_e32 vcc, 0, v[38:39]
	v_cndmask_b32_e32 v24, v2, v24, vcc
; %bb.2582:                             ;   in Loop: Header=BB6_2169 Depth=2
	s_or_b64 exec, exec, s[22:23]
	v_and_b32_e32 v2, 0xff, v35
	v_cmp_ne_u16_e32 vcc, 0, v2
	v_mov_b32_e32 v3, 0
	v_mov_b32_e32 v38, 0
	s_and_saveexec_b64 s[22:23], vcc
	s_cbranch_execz .LBB6_2588
; %bb.2583:                             ;   in Loop: Header=BB6_2169 Depth=2
	v_cmp_ne_u16_e32 vcc, s76, v2
	v_bfrev_b32_e32 v38, 1
	s_and_saveexec_b64 s[58:59], vcc
	s_cbranch_execz .LBB6_2587
; %bb.2584:                             ;   in Loop: Header=BB6_2169 Depth=2
	v_and_b32_e32 v44, 0x7f, v35
	v_cmp_ne_u32_e32 vcc, s75, v44
	v_mov_b32_e32 v38, 0x7f800001
	s_and_saveexec_b64 s[60:61], vcc
	s_cbranch_execz .LBB6_2586
; %bb.2585:                             ;   in Loop: Header=BB6_2169 Depth=2
	v_and_b32_e32 v38, 7, v2
	v_ffbh_u32_e32 v36, v38
	v_min_u32_e32 v53, 32, v36
	v_subrev_u32_e32 v36, 28, v53
	v_lshlrev_b64 v[36:37], v36, v[2:3]
	v_lshrrev_b32_e32 v52, 3, v44
	v_sub_u32_e32 v2, 29, v53
	v_and_b32_e32 v36, 7, v36
	v_cmp_gt_u32_e32 vcc, 8, v44
	v_cndmask_b32_e32 v2, v52, v2, vcc
	v_cndmask_b32_e32 v36, v38, v36, vcc
	v_lshlrev_b32_e32 v35, 24, v35
	v_accvgpr_read_b32 v53, a45
	v_lshlrev_b32_e32 v36, 20, v36
	v_and_b32_e32 v35, 0x80000000, v35
	v_lshl_add_u32 v2, v2, 23, v31
	v_accvgpr_read_b32 v52, a44
	v_or3_b32 v38, v35, v2, v36
.LBB6_2586:                             ;   in Loop: Header=BB6_2169 Depth=2
	s_or_b64 exec, exec, s[60:61]
.LBB6_2587:                             ;   in Loop: Header=BB6_2169 Depth=2
	s_or_b64 exec, exec, s[58:59]
.LBB6_2588:                             ;   in Loop: Header=BB6_2169 Depth=2
	s_or_b64 exec, exec, s[22:23]
	v_and_b32_e32 v2, 0xff, v43
	v_cmp_ne_u16_e32 vcc, 0, v2
	s_and_saveexec_b64 s[22:23], vcc
	s_cbranch_execz .LBB6_2594
; %bb.2589:                             ;   in Loop: Header=BB6_2169 Depth=2
	v_cmp_ne_u16_e32 vcc, s76, v2
	v_bfrev_b32_e32 v3, 1
	s_and_saveexec_b64 s[58:59], vcc
	s_cbranch_execz .LBB6_2593
; %bb.2590:                             ;   in Loop: Header=BB6_2169 Depth=2
	v_and_b32_e32 v35, 0x7f, v43
	v_cmp_ne_u32_e32 vcc, s75, v35
	v_mov_b32_e32 v3, 0x7f800001
	s_and_saveexec_b64 s[60:61], vcc
	s_cbranch_execz .LBB6_2592
; %bb.2591:                             ;   in Loop: Header=BB6_2169 Depth=2
	v_and_b32_e32 v36, 7, v2
	v_ffbh_u32_e32 v3, v36
	v_min_u32_e32 v52, 32, v3
	v_subrev_u32_e32 v3, 28, v52
	v_lshlrev_b64 v[2:3], v3, v[2:3]
	v_lshrrev_b32_e32 v37, 3, v35
	v_sub_u32_e32 v3, 29, v52
	v_and_b32_e32 v2, 7, v2
	v_cmp_gt_u32_e32 vcc, 8, v35
	v_cndmask_b32_e32 v3, v37, v3, vcc
	v_cndmask_b32_e32 v2, v36, v2, vcc
	v_lshlrev_b32_e32 v35, 24, v43
	v_accvgpr_read_b32 v53, a45
	v_lshlrev_b32_e32 v2, 20, v2
	v_and_b32_e32 v35, 0x80000000, v35
	v_lshl_add_u32 v3, v3, 23, v31
	v_accvgpr_read_b32 v52, a44
	v_or3_b32 v3, v35, v3, v2
.LBB6_2592:                             ;   in Loop: Header=BB6_2169 Depth=2
	s_or_b64 exec, exec, s[60:61]
.LBB6_2593:                             ;   in Loop: Header=BB6_2169 Depth=2
	s_or_b64 exec, exec, s[58:59]
.LBB6_2594:                             ;   in Loop: Header=BB6_2169 Depth=2
	s_or_b64 exec, exec, s[22:23]
	v_add_f32_e32 v2, v38, v3
	v_and_b32_sdwa v43, v2, s76 dst_sel:DWORD dst_unused:UNUSED_PAD src0_sel:BYTE_3 src1_sel:DWORD
	v_and_b32_e32 v36, 0x7f800000, v2
	v_mov_b32_e32 v37, v39
	v_and_b32_e32 v38, 0x7fffff, v2
	v_or_b32_e32 v35, 0x7e, v43
	v_cmp_ne_u64_e32 vcc, s[42:43], v[36:37]
	s_and_saveexec_b64 s[22:23], vcc
	s_xor_b64 s[58:59], exec, s[22:23]
	s_cbranch_execz .LBB6_2608
; %bb.2595:                             ;   in Loop: Header=BB6_2169 Depth=2
	v_and_b32_e32 v36, 0x7fffffff, v2
	v_mov_b32_e32 v37, v39
	v_cmp_gt_u64_e32 vcc, s[44:45], v[36:37]
	s_and_saveexec_b64 s[22:23], vcc
	s_xor_b64 s[60:61], exec, s[22:23]
	s_cbranch_execz .LBB6_2607
; %bb.2596:                             ;   in Loop: Header=BB6_2169 Depth=2
	v_cmp_ne_u32_e32 vcc, 0, v2
	v_mov_b32_e32 v35, 0
	s_and_saveexec_b64 s[62:63], vcc
	s_cbranch_execz .LBB6_2606
; %bb.2597:                             ;   in Loop: Header=BB6_2169 Depth=2
	v_bfe_u32 v2, v2, 23, 8
	v_sub_u32_e32 v35, 0x79, v2
	v_cmp_gt_u32_e32 vcc, s77, v2
	v_cndmask_b32_e32 v35, 0, v35, vcc
	v_cmp_eq_u32_e32 vcc, 0, v2
	v_add_u32_e32 v3, 0xffffff81, v2
	v_mov_b32_e32 v2, 0xffffff82
	v_cndmask_b32_e32 v35, v35, v20, vcc
	v_or_b32_e32 v36, 0x800000, v38
	v_cndmask_b32_e32 v44, v3, v2, vcc
	v_add_u32_e32 v2, 20, v35
	v_cndmask_b32_e32 v38, v36, v38, vcc
	v_lshlrev_b64 v[2:3], v2, -1
	v_not_b32_e32 v2, v2
	v_lshrrev_b64 v[52:53], v35, v[38:39]
	v_not_b32_e32 v3, v3
	v_and_b32_e32 v2, v38, v2
	v_add_u32_e32 v36, 19, v35
	v_lshrrev_b32_e32 v38, 23, v52
	v_and_b32_e32 v3, 0, v3
	v_lshlrev_b64 v[36:37], v36, 1
	v_add3_u32 v44, v35, v44, v38
	v_bfe_u32 v38, v52, 20, 1
	v_add_u32_e32 v38, -1, v38
	v_cmp_eq_u64_e32 vcc, v[2:3], v[36:37]
	v_cndmask_b32_e32 v2, 0, v38, vcc
	v_add_u32_e32 v2, v2, v52
	v_and_b32_e32 v2, 0xfffff, v2
	v_add_co_u32_e32 v2, vcc, v2, v52
	v_add_u32_e32 v35, 6, v44
	v_addc_co_u32_e32 v3, vcc, 0, v53, vcc
	v_cmp_ne_u32_e32 vcc, 0, v35
                                        ; implicit-def: $vgpr38
	s_and_saveexec_b64 s[22:23], vcc
	s_xor_b64 s[22:23], exec, s[22:23]
; %bb.2598:                             ;   in Loop: Header=BB6_2169 Depth=2
	v_add_u32_e32 v36, 7, v44
	v_cmp_lt_u64_e32 vcc, s[48:49], v[2:3]
	v_cndmask_b32_e32 v38, v35, v36, vcc
	v_cndmask_b32_e64 v35, 0, 1, vcc
	v_lshrrev_b64 v[2:3], v35, v[2:3]
; %bb.2599:                             ;   in Loop: Header=BB6_2169 Depth=2
	s_andn2_saveexec_b64 s[22:23], s[22:23]
; %bb.2600:                             ;   in Loop: Header=BB6_2169 Depth=2
	v_bfe_u32 v38, v2, 23, 1
; %bb.2601:                             ;   in Loop: Header=BB6_2169 Depth=2
	s_or_b64 exec, exec, s[22:23]
	v_lshrrev_b64 v[2:3], 20, v[2:3]
	v_cmp_gt_i32_e32 vcc, 16, v38
	v_cndmask_b32_e32 v3, 0, v3, vcc
	v_cndmask_b32_e32 v2, 7, v2, vcc
	v_cmp_ne_u32_e32 vcc, 0, v38
	v_cmp_ne_u64_e64 s[22:23], 0, v[2:3]
	s_or_b64 s[22:23], vcc, s[22:23]
                                        ; implicit-def: $vgpr35
	s_mov_b64 vcc, exec
	s_and_b64 s[64:65], vcc, s[22:23]
	v_accvgpr_read_b32 v53, a45
	s_xor_b64 s[22:23], s[64:65], vcc
	v_accvgpr_read_b32 v52, a44
	s_mov_b64 exec, s[64:65]
; %bb.2602:                             ;   in Loop: Header=BB6_2169 Depth=2
	v_min_i32_e32 v3, 15, v38
	v_lshl_or_b32 v3, v3, 3, v43
	v_and_or_b32 v35, v2, 7, v3
                                        ; implicit-def: $vgpr43
; %bb.2603:                             ;   in Loop: Header=BB6_2169 Depth=2
	s_andn2_saveexec_b64 s[22:23], s[22:23]
; %bb.2604:                             ;   in Loop: Header=BB6_2169 Depth=2
	v_mov_b32_e32 v35, v43
; %bb.2605:                             ;   in Loop: Header=BB6_2169 Depth=2
	s_or_b64 exec, exec, s[22:23]
.LBB6_2606:                             ;   in Loop: Header=BB6_2169 Depth=2
	s_or_b64 exec, exec, s[62:63]
.LBB6_2607:                             ;   in Loop: Header=BB6_2169 Depth=2
	s_andn2_saveexec_b64 s[22:23], s[60:61]
	s_or_b64 exec, exec, s[22:23]
                                        ; implicit-def: $vgpr2
.LBB6_2608:                             ;   in Loop: Header=BB6_2169 Depth=2
	s_andn2_saveexec_b64 s[22:23], s[58:59]
; %bb.2609:                             ;   in Loop: Header=BB6_2169 Depth=2
	v_or_b32_sdwa v2, v2, s75 dst_sel:DWORD dst_unused:UNUSED_PAD src0_sel:BYTE_3 src1_sel:DWORD
	v_cmp_eq_u64_e32 vcc, 0, v[38:39]
	v_cndmask_b32_e32 v35, v2, v35, vcc
; %bb.2610:                             ;   in Loop: Header=BB6_2169 Depth=2
	s_or_b64 exec, exec, s[22:23]
	v_and_b32_e32 v2, 0xff, v34
	v_cmp_ne_u16_e32 vcc, 0, v2
	v_mov_b32_e32 v3, 0
	v_mov_b32_e32 v38, 0
	s_and_saveexec_b64 s[22:23], vcc
	s_cbranch_execz .LBB6_2616
; %bb.2611:                             ;   in Loop: Header=BB6_2169 Depth=2
	v_cmp_ne_u16_e32 vcc, s76, v2
	v_bfrev_b32_e32 v38, 1
	s_and_saveexec_b64 s[58:59], vcc
	s_cbranch_execz .LBB6_2615
; %bb.2612:                             ;   in Loop: Header=BB6_2169 Depth=2
	v_and_b32_e32 v43, 0x7f, v34
	v_cmp_ne_u32_e32 vcc, s75, v43
	v_mov_b32_e32 v38, 0x7f800001
	s_and_saveexec_b64 s[60:61], vcc
	s_cbranch_execz .LBB6_2614
; %bb.2613:                             ;   in Loop: Header=BB6_2169 Depth=2
	v_and_b32_e32 v38, 7, v2
	v_ffbh_u32_e32 v36, v38
	v_min_u32_e32 v53, 32, v36
	v_subrev_u32_e32 v36, 28, v53
	v_lshlrev_b64 v[36:37], v36, v[2:3]
	v_lshrrev_b32_e32 v52, 3, v43
	v_sub_u32_e32 v2, 29, v53
	v_and_b32_e32 v36, 7, v36
	v_cmp_gt_u32_e32 vcc, 8, v43
	v_cndmask_b32_e32 v2, v52, v2, vcc
	v_cndmask_b32_e32 v36, v38, v36, vcc
	v_lshlrev_b32_e32 v34, 24, v34
	v_accvgpr_read_b32 v53, a45
	v_lshlrev_b32_e32 v36, 20, v36
	v_and_b32_e32 v34, 0x80000000, v34
	v_lshl_add_u32 v2, v2, 23, v31
	v_accvgpr_read_b32 v52, a44
	v_or3_b32 v38, v34, v2, v36
.LBB6_2614:                             ;   in Loop: Header=BB6_2169 Depth=2
	s_or_b64 exec, exec, s[60:61]
.LBB6_2615:                             ;   in Loop: Header=BB6_2169 Depth=2
	s_or_b64 exec, exec, s[58:59]
.LBB6_2616:                             ;   in Loop: Header=BB6_2169 Depth=2
	s_or_b64 exec, exec, s[22:23]
	v_and_b32_e32 v2, 0xff, v29
	v_cmp_ne_u16_e32 vcc, 0, v2
	s_and_saveexec_b64 s[22:23], vcc
	s_cbranch_execz .LBB6_2622
; %bb.2617:                             ;   in Loop: Header=BB6_2169 Depth=2
	v_cmp_ne_u16_e32 vcc, s76, v2
	v_bfrev_b32_e32 v3, 1
	s_and_saveexec_b64 s[58:59], vcc
	s_cbranch_execz .LBB6_2621
; %bb.2618:                             ;   in Loop: Header=BB6_2169 Depth=2
	v_and_b32_e32 v34, 0x7f, v29
	v_cmp_ne_u32_e32 vcc, s75, v34
	v_mov_b32_e32 v3, 0x7f800001
	s_and_saveexec_b64 s[60:61], vcc
	s_cbranch_execz .LBB6_2620
; %bb.2619:                             ;   in Loop: Header=BB6_2169 Depth=2
	v_and_b32_e32 v36, 7, v2
	v_ffbh_u32_e32 v3, v36
	v_min_u32_e32 v52, 32, v3
	v_subrev_u32_e32 v3, 28, v52
	v_lshlrev_b64 v[2:3], v3, v[2:3]
	v_lshrrev_b32_e32 v37, 3, v34
	v_sub_u32_e32 v3, 29, v52
	v_and_b32_e32 v2, 7, v2
	v_cmp_gt_u32_e32 vcc, 8, v34
	v_cndmask_b32_e32 v3, v37, v3, vcc
	v_cndmask_b32_e32 v2, v36, v2, vcc
	v_lshlrev_b32_e32 v29, 24, v29
	v_accvgpr_read_b32 v53, a45
	v_lshlrev_b32_e32 v2, 20, v2
	v_and_b32_e32 v29, 0x80000000, v29
	v_lshl_add_u32 v3, v3, 23, v31
	v_accvgpr_read_b32 v52, a44
	v_or3_b32 v3, v29, v3, v2
.LBB6_2620:                             ;   in Loop: Header=BB6_2169 Depth=2
	s_or_b64 exec, exec, s[60:61]
.LBB6_2621:                             ;   in Loop: Header=BB6_2169 Depth=2
	s_or_b64 exec, exec, s[58:59]
.LBB6_2622:                             ;   in Loop: Header=BB6_2169 Depth=2
	s_or_b64 exec, exec, s[22:23]
	v_add_f32_e32 v2, v38, v3
	v_and_b32_sdwa v29, v2, s76 dst_sel:DWORD dst_unused:UNUSED_PAD src0_sel:BYTE_3 src1_sel:DWORD
	v_and_b32_e32 v36, 0x7f800000, v2
	v_mov_b32_e32 v37, v39
	v_and_b32_e32 v38, 0x7fffff, v2
	v_or_b32_e32 v34, 0x7e, v29
	v_cmp_ne_u64_e32 vcc, s[42:43], v[36:37]
	s_and_saveexec_b64 s[22:23], vcc
	s_xor_b64 s[58:59], exec, s[22:23]
	s_cbranch_execz .LBB6_2636
; %bb.2623:                             ;   in Loop: Header=BB6_2169 Depth=2
	v_and_b32_e32 v36, 0x7fffffff, v2
	v_mov_b32_e32 v37, v39
	v_cmp_gt_u64_e32 vcc, s[44:45], v[36:37]
	s_and_saveexec_b64 s[22:23], vcc
	s_xor_b64 s[60:61], exec, s[22:23]
	s_cbranch_execz .LBB6_2635
; %bb.2624:                             ;   in Loop: Header=BB6_2169 Depth=2
	v_cmp_ne_u32_e32 vcc, 0, v2
	v_mov_b32_e32 v34, 0
	s_and_saveexec_b64 s[62:63], vcc
	s_cbranch_execz .LBB6_2634
; %bb.2625:                             ;   in Loop: Header=BB6_2169 Depth=2
	v_bfe_u32 v2, v2, 23, 8
	v_sub_u32_e32 v34, 0x79, v2
	v_cmp_gt_u32_e32 vcc, s77, v2
	v_cndmask_b32_e32 v34, 0, v34, vcc
	v_cmp_eq_u32_e32 vcc, 0, v2
	v_add_u32_e32 v3, 0xffffff81, v2
	v_mov_b32_e32 v2, 0xffffff82
	v_cndmask_b32_e32 v34, v34, v20, vcc
	v_or_b32_e32 v36, 0x800000, v38
	v_cndmask_b32_e32 v43, v3, v2, vcc
	v_add_u32_e32 v2, 20, v34
	v_cndmask_b32_e32 v38, v36, v38, vcc
	v_lshlrev_b64 v[2:3], v2, -1
	v_not_b32_e32 v2, v2
	v_lshrrev_b64 v[52:53], v34, v[38:39]
	v_not_b32_e32 v3, v3
	v_and_b32_e32 v2, v38, v2
	v_add_u32_e32 v36, 19, v34
	v_lshrrev_b32_e32 v38, 23, v52
	v_and_b32_e32 v3, 0, v3
	v_lshlrev_b64 v[36:37], v36, 1
	v_add3_u32 v43, v34, v43, v38
	v_bfe_u32 v38, v52, 20, 1
	v_add_u32_e32 v38, -1, v38
	v_cmp_eq_u64_e32 vcc, v[2:3], v[36:37]
	v_cndmask_b32_e32 v2, 0, v38, vcc
	v_add_u32_e32 v2, v2, v52
	v_and_b32_e32 v2, 0xfffff, v2
	v_add_co_u32_e32 v2, vcc, v2, v52
	v_add_u32_e32 v34, 6, v43
	v_addc_co_u32_e32 v3, vcc, 0, v53, vcc
	v_cmp_ne_u32_e32 vcc, 0, v34
                                        ; implicit-def: $vgpr38
	s_and_saveexec_b64 s[22:23], vcc
	s_xor_b64 s[22:23], exec, s[22:23]
; %bb.2626:                             ;   in Loop: Header=BB6_2169 Depth=2
	v_add_u32_e32 v36, 7, v43
	v_cmp_lt_u64_e32 vcc, s[48:49], v[2:3]
	v_cndmask_b32_e32 v38, v34, v36, vcc
	v_cndmask_b32_e64 v34, 0, 1, vcc
	v_lshrrev_b64 v[2:3], v34, v[2:3]
; %bb.2627:                             ;   in Loop: Header=BB6_2169 Depth=2
	s_andn2_saveexec_b64 s[22:23], s[22:23]
; %bb.2628:                             ;   in Loop: Header=BB6_2169 Depth=2
	v_bfe_u32 v38, v2, 23, 1
; %bb.2629:                             ;   in Loop: Header=BB6_2169 Depth=2
	s_or_b64 exec, exec, s[22:23]
	v_lshrrev_b64 v[2:3], 20, v[2:3]
	v_cmp_gt_i32_e32 vcc, 16, v38
	v_cndmask_b32_e32 v3, 0, v3, vcc
	v_cndmask_b32_e32 v2, 7, v2, vcc
	v_cmp_ne_u32_e32 vcc, 0, v38
	v_cmp_ne_u64_e64 s[22:23], 0, v[2:3]
	s_or_b64 s[22:23], vcc, s[22:23]
                                        ; implicit-def: $vgpr34
	s_mov_b64 vcc, exec
	s_and_b64 s[64:65], vcc, s[22:23]
	v_accvgpr_read_b32 v53, a45
	s_xor_b64 s[22:23], s[64:65], vcc
	v_accvgpr_read_b32 v52, a44
	s_mov_b64 exec, s[64:65]
; %bb.2630:                             ;   in Loop: Header=BB6_2169 Depth=2
	v_min_i32_e32 v3, 15, v38
	v_lshl_or_b32 v3, v3, 3, v29
	v_and_or_b32 v34, v2, 7, v3
                                        ; implicit-def: $vgpr29
; %bb.2631:                             ;   in Loop: Header=BB6_2169 Depth=2
	s_andn2_saveexec_b64 s[22:23], s[22:23]
; %bb.2632:                             ;   in Loop: Header=BB6_2169 Depth=2
	v_mov_b32_e32 v34, v29
; %bb.2633:                             ;   in Loop: Header=BB6_2169 Depth=2
	s_or_b64 exec, exec, s[22:23]
.LBB6_2634:                             ;   in Loop: Header=BB6_2169 Depth=2
	s_or_b64 exec, exec, s[62:63]
.LBB6_2635:                             ;   in Loop: Header=BB6_2169 Depth=2
	s_andn2_saveexec_b64 s[22:23], s[60:61]
	s_or_b64 exec, exec, s[22:23]
                                        ; implicit-def: $vgpr2
.LBB6_2636:                             ;   in Loop: Header=BB6_2169 Depth=2
	s_andn2_saveexec_b64 s[22:23], s[58:59]
; %bb.2637:                             ;   in Loop: Header=BB6_2169 Depth=2
	v_or_b32_sdwa v2, v2, s75 dst_sel:DWORD dst_unused:UNUSED_PAD src0_sel:BYTE_3 src1_sel:DWORD
	v_cmp_eq_u64_e32 vcc, 0, v[38:39]
	v_cndmask_b32_e32 v34, v2, v34, vcc
; %bb.2638:                             ;   in Loop: Header=BB6_2169 Depth=2
	s_or_b64 exec, exec, s[22:23]
	v_and_b32_e32 v2, 0xff, v33
	v_cmp_ne_u16_e32 vcc, 0, v2
	v_mov_b32_e32 v3, 0
	v_mov_b32_e32 v29, 0
	s_and_saveexec_b64 s[22:23], vcc
	s_cbranch_execz .LBB6_2644
; %bb.2639:                             ;   in Loop: Header=BB6_2169 Depth=2
	v_cmp_ne_u16_e32 vcc, s76, v2
	v_bfrev_b32_e32 v29, 1
	s_and_saveexec_b64 s[58:59], vcc
	s_cbranch_execz .LBB6_2643
; %bb.2640:                             ;   in Loop: Header=BB6_2169 Depth=2
	v_and_b32_e32 v38, 0x7f, v33
	v_cmp_ne_u32_e32 vcc, s75, v38
	v_mov_b32_e32 v29, 0x7f800001
	s_and_saveexec_b64 s[60:61], vcc
	s_cbranch_execz .LBB6_2642
; %bb.2641:                             ;   in Loop: Header=BB6_2169 Depth=2
	v_and_b32_e32 v29, 7, v2
	v_ffbh_u32_e32 v36, v29
	v_min_u32_e32 v53, 32, v36
	v_subrev_u32_e32 v36, 28, v53
	v_lshlrev_b64 v[36:37], v36, v[2:3]
	v_lshrrev_b32_e32 v52, 3, v38
	v_sub_u32_e32 v2, 29, v53
	v_and_b32_e32 v36, 7, v36
	v_cmp_gt_u32_e32 vcc, 8, v38
	v_cndmask_b32_e32 v2, v52, v2, vcc
	v_cndmask_b32_e32 v29, v29, v36, vcc
	v_lshlrev_b32_e32 v33, 24, v33
	v_accvgpr_read_b32 v53, a45
	v_lshlrev_b32_e32 v29, 20, v29
	v_and_b32_e32 v33, 0x80000000, v33
	v_lshl_add_u32 v2, v2, 23, v31
	v_accvgpr_read_b32 v52, a44
	v_or3_b32 v29, v33, v2, v29
.LBB6_2642:                             ;   in Loop: Header=BB6_2169 Depth=2
	s_or_b64 exec, exec, s[60:61]
.LBB6_2643:                             ;   in Loop: Header=BB6_2169 Depth=2
	s_or_b64 exec, exec, s[58:59]
.LBB6_2644:                             ;   in Loop: Header=BB6_2169 Depth=2
	s_or_b64 exec, exec, s[22:23]
	v_and_b32_e32 v2, 0xff, v28
	v_cmp_ne_u16_e32 vcc, 0, v2
	s_and_saveexec_b64 s[22:23], vcc
	s_cbranch_execz .LBB6_2650
; %bb.2645:                             ;   in Loop: Header=BB6_2169 Depth=2
	v_cmp_ne_u16_e32 vcc, s76, v2
	v_bfrev_b32_e32 v3, 1
	s_and_saveexec_b64 s[58:59], vcc
	s_cbranch_execz .LBB6_2649
; %bb.2646:                             ;   in Loop: Header=BB6_2169 Depth=2
	v_and_b32_e32 v33, 0x7f, v28
	v_cmp_ne_u32_e32 vcc, s75, v33
	v_mov_b32_e32 v3, 0x7f800001
	s_and_saveexec_b64 s[60:61], vcc
	s_cbranch_execz .LBB6_2648
; %bb.2647:                             ;   in Loop: Header=BB6_2169 Depth=2
	v_and_b32_e32 v36, 7, v2
	v_ffbh_u32_e32 v3, v36
	v_min_u32_e32 v38, 32, v3
	v_subrev_u32_e32 v3, 28, v38
	v_lshlrev_b64 v[2:3], v3, v[2:3]
	v_lshrrev_b32_e32 v37, 3, v33
	v_sub_u32_e32 v3, 29, v38
	v_and_b32_e32 v2, 7, v2
	v_cmp_gt_u32_e32 vcc, 8, v33
	v_cndmask_b32_e32 v3, v37, v3, vcc
	v_cndmask_b32_e32 v2, v36, v2, vcc
	v_lshlrev_b32_e32 v28, 24, v28
	v_lshlrev_b32_e32 v2, 20, v2
	v_and_b32_e32 v28, 0x80000000, v28
	v_lshl_add_u32 v3, v3, 23, v31
	v_or3_b32 v3, v28, v3, v2
.LBB6_2648:                             ;   in Loop: Header=BB6_2169 Depth=2
	s_or_b64 exec, exec, s[60:61]
.LBB6_2649:                             ;   in Loop: Header=BB6_2169 Depth=2
	s_or_b64 exec, exec, s[58:59]
.LBB6_2650:                             ;   in Loop: Header=BB6_2169 Depth=2
	s_or_b64 exec, exec, s[22:23]
	v_add_f32_e32 v2, v29, v3
	v_and_b32_sdwa v28, v2, s76 dst_sel:DWORD dst_unused:UNUSED_PAD src0_sel:BYTE_3 src1_sel:DWORD
	v_and_b32_e32 v36, 0x7f800000, v2
	v_mov_b32_e32 v37, v39
	v_and_b32_e32 v38, 0x7fffff, v2
	v_or_b32_e32 v33, 0x7e, v28
	v_cmp_ne_u64_e32 vcc, s[42:43], v[36:37]
	s_and_saveexec_b64 s[22:23], vcc
	s_xor_b64 s[58:59], exec, s[22:23]
	s_cbranch_execz .LBB6_2664
; %bb.2651:                             ;   in Loop: Header=BB6_2169 Depth=2
	v_and_b32_e32 v36, 0x7fffffff, v2
	v_mov_b32_e32 v37, v39
	v_cmp_gt_u64_e32 vcc, s[44:45], v[36:37]
	s_and_saveexec_b64 s[22:23], vcc
	s_xor_b64 s[60:61], exec, s[22:23]
	s_cbranch_execz .LBB6_2663
; %bb.2652:                             ;   in Loop: Header=BB6_2169 Depth=2
	v_cmp_ne_u32_e32 vcc, 0, v2
	v_mov_b32_e32 v33, 0
	s_and_saveexec_b64 s[62:63], vcc
	s_cbranch_execz .LBB6_2662
; %bb.2653:                             ;   in Loop: Header=BB6_2169 Depth=2
	v_bfe_u32 v2, v2, 23, 8
	v_sub_u32_e32 v29, 0x79, v2
	v_cmp_gt_u32_e32 vcc, s77, v2
	v_cndmask_b32_e32 v29, 0, v29, vcc
	v_cmp_eq_u32_e32 vcc, 0, v2
	v_add_u32_e32 v3, 0xffffff81, v2
	v_or_b32_e32 v33, 0x800000, v38
	v_mov_b32_e32 v2, 0xffffff82
	v_cndmask_b32_e32 v29, v29, v20, vcc
	v_cndmask_b32_e32 v43, v3, v2, vcc
	;; [unrolled: 1-line block ×3, first 2 shown]
	v_add_u32_e32 v2, 20, v29
	v_lshlrev_b64 v[2:3], v2, -1
	v_add_u32_e32 v33, 19, v29
	v_lshrrev_b64 v[52:53], v29, v[38:39]
	v_not_b32_e32 v3, v3
	v_not_b32_e32 v2, v2
	v_lshlrev_b64 v[36:37], v33, 1
	v_lshrrev_b32_e32 v33, 23, v52
	v_and_b32_e32 v3, 0, v3
	v_and_b32_e32 v2, v38, v2
	v_add3_u32 v38, v29, v43, v33
	v_bfe_u32 v29, v52, 20, 1
	v_add_u32_e32 v29, -1, v29
	v_cmp_eq_u64_e32 vcc, v[2:3], v[36:37]
	v_cndmask_b32_e32 v2, 0, v29, vcc
	v_add_u32_e32 v2, v2, v52
	v_and_b32_e32 v2, 0xfffff, v2
	v_add_co_u32_e32 v2, vcc, v2, v52
	v_add_u32_e32 v33, 6, v38
	v_addc_co_u32_e32 v3, vcc, 0, v53, vcc
	v_cmp_ne_u32_e32 vcc, 0, v33
                                        ; implicit-def: $vgpr29
	s_and_saveexec_b64 s[22:23], vcc
	s_xor_b64 s[22:23], exec, s[22:23]
; %bb.2654:                             ;   in Loop: Header=BB6_2169 Depth=2
	v_add_u32_e32 v29, 7, v38
	v_cmp_lt_u64_e32 vcc, s[48:49], v[2:3]
	v_cndmask_b32_e32 v29, v33, v29, vcc
	v_cndmask_b32_e64 v33, 0, 1, vcc
	v_lshrrev_b64 v[2:3], v33, v[2:3]
; %bb.2655:                             ;   in Loop: Header=BB6_2169 Depth=2
	s_andn2_saveexec_b64 s[22:23], s[22:23]
; %bb.2656:                             ;   in Loop: Header=BB6_2169 Depth=2
	v_bfe_u32 v29, v2, 23, 1
; %bb.2657:                             ;   in Loop: Header=BB6_2169 Depth=2
	s_or_b64 exec, exec, s[22:23]
	v_lshrrev_b64 v[2:3], 20, v[2:3]
	v_cmp_gt_i32_e32 vcc, 16, v29
	v_cndmask_b32_e32 v3, 0, v3, vcc
	v_cndmask_b32_e32 v2, 7, v2, vcc
	v_cmp_ne_u32_e32 vcc, 0, v29
	v_cmp_ne_u64_e64 s[22:23], 0, v[2:3]
	s_or_b64 s[22:23], vcc, s[22:23]
                                        ; implicit-def: $vgpr33
	s_mov_b64 vcc, exec
	s_and_b64 s[64:65], vcc, s[22:23]
	v_accvgpr_read_b32 v53, a45
	s_xor_b64 s[22:23], s[64:65], vcc
	v_accvgpr_read_b32 v52, a44
	s_mov_b64 exec, s[64:65]
; %bb.2658:                             ;   in Loop: Header=BB6_2169 Depth=2
	v_min_i32_e32 v3, 15, v29
	v_lshl_or_b32 v3, v3, 3, v28
	v_and_or_b32 v33, v2, 7, v3
                                        ; implicit-def: $vgpr28
; %bb.2659:                             ;   in Loop: Header=BB6_2169 Depth=2
	s_andn2_saveexec_b64 s[22:23], s[22:23]
; %bb.2660:                             ;   in Loop: Header=BB6_2169 Depth=2
	v_mov_b32_e32 v33, v28
; %bb.2661:                             ;   in Loop: Header=BB6_2169 Depth=2
	s_or_b64 exec, exec, s[22:23]
.LBB6_2662:                             ;   in Loop: Header=BB6_2169 Depth=2
	s_or_b64 exec, exec, s[62:63]
.LBB6_2663:                             ;   in Loop: Header=BB6_2169 Depth=2
	s_andn2_saveexec_b64 s[22:23], s[60:61]
	s_or_b64 exec, exec, s[22:23]
                                        ; implicit-def: $vgpr2
.LBB6_2664:                             ;   in Loop: Header=BB6_2169 Depth=2
	s_andn2_saveexec_b64 s[22:23], s[58:59]
; %bb.2665:                             ;   in Loop: Header=BB6_2169 Depth=2
	v_or_b32_sdwa v2, v2, s75 dst_sel:DWORD dst_unused:UNUSED_PAD src0_sel:BYTE_3 src1_sel:DWORD
	v_cmp_eq_u64_e32 vcc, 0, v[38:39]
	v_cndmask_b32_e32 v33, v2, v33, vcc
; %bb.2666:                             ;   in Loop: Header=BB6_2169 Depth=2
	s_or_b64 exec, exec, s[22:23]
	v_and_b32_e32 v2, 0xff, v32
	v_cmp_ne_u16_e32 vcc, 0, v2
	v_mov_b32_e32 v3, 0
	v_mov_b32_e32 v28, 0
	s_and_saveexec_b64 s[22:23], vcc
	s_cbranch_execz .LBB6_2672
; %bb.2667:                             ;   in Loop: Header=BB6_2169 Depth=2
	v_cmp_ne_u16_e32 vcc, s76, v2
	v_bfrev_b32_e32 v28, 1
	s_and_saveexec_b64 s[58:59], vcc
	s_cbranch_execz .LBB6_2671
; %bb.2668:                             ;   in Loop: Header=BB6_2169 Depth=2
	v_and_b32_e32 v29, 0x7f, v32
	v_cmp_ne_u32_e32 vcc, s75, v29
	v_mov_b32_e32 v28, 0x7f800001
	s_and_saveexec_b64 s[60:61], vcc
	s_cbranch_execz .LBB6_2670
; %bb.2669:                             ;   in Loop: Header=BB6_2169 Depth=2
	v_and_b32_e32 v28, 7, v2
	v_ffbh_u32_e32 v36, v28
	v_min_u32_e32 v52, 32, v36
	v_subrev_u32_e32 v36, 28, v52
	v_lshlrev_b64 v[36:37], v36, v[2:3]
	v_lshrrev_b32_e32 v38, 3, v29
	v_sub_u32_e32 v2, 29, v52
	v_and_b32_e32 v36, 7, v36
	v_cmp_gt_u32_e32 vcc, 8, v29
	v_cndmask_b32_e32 v2, v38, v2, vcc
	v_cndmask_b32_e32 v28, v28, v36, vcc
	v_lshlrev_b32_e32 v29, 24, v32
	v_accvgpr_read_b32 v53, a45
	v_lshlrev_b32_e32 v28, 20, v28
	v_and_b32_e32 v29, 0x80000000, v29
	v_lshl_add_u32 v2, v2, 23, v31
	v_accvgpr_read_b32 v52, a44
	v_or3_b32 v28, v29, v2, v28
.LBB6_2670:                             ;   in Loop: Header=BB6_2169 Depth=2
	s_or_b64 exec, exec, s[60:61]
.LBB6_2671:                             ;   in Loop: Header=BB6_2169 Depth=2
	s_or_b64 exec, exec, s[58:59]
.LBB6_2672:                             ;   in Loop: Header=BB6_2169 Depth=2
	s_or_b64 exec, exec, s[22:23]
	v_and_b32_e32 v2, 0xff, v42
	v_cmp_ne_u16_e32 vcc, 0, v2
	s_and_saveexec_b64 s[22:23], vcc
	s_cbranch_execz .LBB6_2678
; %bb.2673:                             ;   in Loop: Header=BB6_2169 Depth=2
	v_cmp_ne_u16_e32 vcc, s76, v2
	v_bfrev_b32_e32 v3, 1
	s_and_saveexec_b64 s[58:59], vcc
	s_cbranch_execz .LBB6_2677
; %bb.2674:                             ;   in Loop: Header=BB6_2169 Depth=2
	v_and_b32_e32 v29, 0x7f, v42
	v_cmp_ne_u32_e32 vcc, s75, v29
	v_mov_b32_e32 v3, 0x7f800001
	s_and_saveexec_b64 s[60:61], vcc
	s_cbranch_execz .LBB6_2676
; %bb.2675:                             ;   in Loop: Header=BB6_2169 Depth=2
	v_and_b32_e32 v32, 7, v2
	v_ffbh_u32_e32 v3, v32
	v_min_u32_e32 v37, 32, v3
	v_subrev_u32_e32 v3, 28, v37
	v_lshlrev_b64 v[2:3], v3, v[2:3]
	v_lshrrev_b32_e32 v36, 3, v29
	v_sub_u32_e32 v3, 29, v37
	v_and_b32_e32 v2, 7, v2
	v_cmp_gt_u32_e32 vcc, 8, v29
	v_cndmask_b32_e32 v3, v36, v3, vcc
	v_cndmask_b32_e32 v2, v32, v2, vcc
	v_lshlrev_b32_e32 v29, 24, v42
	v_lshlrev_b32_e32 v2, 20, v2
	v_and_b32_e32 v29, 0x80000000, v29
	v_lshl_add_u32 v3, v3, 23, v31
	v_or3_b32 v3, v29, v3, v2
.LBB6_2676:                             ;   in Loop: Header=BB6_2169 Depth=2
	s_or_b64 exec, exec, s[60:61]
.LBB6_2677:                             ;   in Loop: Header=BB6_2169 Depth=2
	s_or_b64 exec, exec, s[58:59]
.LBB6_2678:                             ;   in Loop: Header=BB6_2169 Depth=2
	s_or_b64 exec, exec, s[22:23]
	v_add_f32_e32 v2, v28, v3
	v_and_b32_sdwa v28, v2, s76 dst_sel:DWORD dst_unused:UNUSED_PAD src0_sel:BYTE_3 src1_sel:DWORD
	v_and_b32_e32 v36, 0x7f800000, v2
	v_mov_b32_e32 v37, v39
	v_and_b32_e32 v38, 0x7fffff, v2
	v_or_b32_e32 v32, 0x7e, v28
	v_cmp_ne_u64_e32 vcc, s[42:43], v[36:37]
	s_and_saveexec_b64 s[22:23], vcc
	s_xor_b64 s[58:59], exec, s[22:23]
	s_cbranch_execz .LBB6_2692
; %bb.2679:                             ;   in Loop: Header=BB6_2169 Depth=2
	v_and_b32_e32 v36, 0x7fffffff, v2
	v_mov_b32_e32 v37, v39
	v_cmp_gt_u64_e32 vcc, s[44:45], v[36:37]
	s_and_saveexec_b64 s[22:23], vcc
	s_xor_b64 s[60:61], exec, s[22:23]
	s_cbranch_execz .LBB6_2691
; %bb.2680:                             ;   in Loop: Header=BB6_2169 Depth=2
	v_cmp_ne_u32_e32 vcc, 0, v2
	v_mov_b32_e32 v32, 0
	s_and_saveexec_b64 s[62:63], vcc
	s_cbranch_execz .LBB6_2690
; %bb.2681:                             ;   in Loop: Header=BB6_2169 Depth=2
	v_bfe_u32 v2, v2, 23, 8
	v_sub_u32_e32 v29, 0x79, v2
	v_cmp_gt_u32_e32 vcc, s77, v2
	v_cndmask_b32_e32 v29, 0, v29, vcc
	v_cmp_eq_u32_e32 vcc, 0, v2
	v_add_u32_e32 v3, 0xffffff81, v2
	v_or_b32_e32 v32, 0x800000, v38
	v_mov_b32_e32 v2, 0xffffff82
	v_cndmask_b32_e32 v29, v29, v20, vcc
	v_cndmask_b32_e32 v42, v3, v2, vcc
	;; [unrolled: 1-line block ×3, first 2 shown]
	v_add_u32_e32 v2, 20, v29
	v_lshlrev_b64 v[2:3], v2, -1
	v_add_u32_e32 v32, 19, v29
	v_lshrrev_b64 v[52:53], v29, v[38:39]
	v_not_b32_e32 v3, v3
	v_not_b32_e32 v2, v2
	v_lshlrev_b64 v[36:37], v32, 1
	v_lshrrev_b32_e32 v32, 23, v52
	v_and_b32_e32 v3, 0, v3
	v_and_b32_e32 v2, v38, v2
	v_add3_u32 v38, v29, v42, v32
	v_bfe_u32 v29, v52, 20, 1
	v_add_u32_e32 v29, -1, v29
	v_cmp_eq_u64_e32 vcc, v[2:3], v[36:37]
	v_cndmask_b32_e32 v2, 0, v29, vcc
	v_add_u32_e32 v2, v2, v52
	v_and_b32_e32 v2, 0xfffff, v2
	v_add_co_u32_e32 v2, vcc, v2, v52
	v_add_u32_e32 v32, 6, v38
	v_addc_co_u32_e32 v3, vcc, 0, v53, vcc
	v_cmp_ne_u32_e32 vcc, 0, v32
                                        ; implicit-def: $vgpr29
	s_and_saveexec_b64 s[22:23], vcc
	s_xor_b64 s[22:23], exec, s[22:23]
; %bb.2682:                             ;   in Loop: Header=BB6_2169 Depth=2
	v_add_u32_e32 v29, 7, v38
	v_cmp_lt_u64_e32 vcc, s[48:49], v[2:3]
	v_cndmask_b32_e32 v29, v32, v29, vcc
	v_cndmask_b32_e64 v32, 0, 1, vcc
	v_lshrrev_b64 v[2:3], v32, v[2:3]
; %bb.2683:                             ;   in Loop: Header=BB6_2169 Depth=2
	s_andn2_saveexec_b64 s[22:23], s[22:23]
; %bb.2684:                             ;   in Loop: Header=BB6_2169 Depth=2
	v_bfe_u32 v29, v2, 23, 1
; %bb.2685:                             ;   in Loop: Header=BB6_2169 Depth=2
	s_or_b64 exec, exec, s[22:23]
	v_lshrrev_b64 v[2:3], 20, v[2:3]
	v_cmp_gt_i32_e32 vcc, 16, v29
	v_cndmask_b32_e32 v3, 0, v3, vcc
	v_cndmask_b32_e32 v2, 7, v2, vcc
	v_cmp_ne_u32_e32 vcc, 0, v29
	v_cmp_ne_u64_e64 s[22:23], 0, v[2:3]
	s_or_b64 s[22:23], vcc, s[22:23]
                                        ; implicit-def: $vgpr32
	s_mov_b64 vcc, exec
	s_and_b64 s[64:65], vcc, s[22:23]
	v_accvgpr_read_b32 v53, a45
	s_xor_b64 s[22:23], s[64:65], vcc
	v_accvgpr_read_b32 v52, a44
	s_mov_b64 exec, s[64:65]
; %bb.2686:                             ;   in Loop: Header=BB6_2169 Depth=2
	v_min_i32_e32 v3, 15, v29
	v_lshl_or_b32 v3, v3, 3, v28
	v_and_or_b32 v32, v2, 7, v3
                                        ; implicit-def: $vgpr28
; %bb.2687:                             ;   in Loop: Header=BB6_2169 Depth=2
	s_andn2_saveexec_b64 s[22:23], s[22:23]
; %bb.2688:                             ;   in Loop: Header=BB6_2169 Depth=2
	v_mov_b32_e32 v32, v28
; %bb.2689:                             ;   in Loop: Header=BB6_2169 Depth=2
	s_or_b64 exec, exec, s[22:23]
.LBB6_2690:                             ;   in Loop: Header=BB6_2169 Depth=2
	s_or_b64 exec, exec, s[62:63]
.LBB6_2691:                             ;   in Loop: Header=BB6_2169 Depth=2
	s_andn2_saveexec_b64 s[22:23], s[60:61]
	s_or_b64 exec, exec, s[22:23]
                                        ; implicit-def: $vgpr2
.LBB6_2692:                             ;   in Loop: Header=BB6_2169 Depth=2
	s_andn2_saveexec_b64 s[22:23], s[58:59]
; %bb.2693:                             ;   in Loop: Header=BB6_2169 Depth=2
	v_or_b32_sdwa v2, v2, s75 dst_sel:DWORD dst_unused:UNUSED_PAD src0_sel:BYTE_3 src1_sel:DWORD
	v_cmp_eq_u64_e32 vcc, 0, v[38:39]
	v_cndmask_b32_e32 v32, v2, v32, vcc
; %bb.2694:                             ;   in Loop: Header=BB6_2169 Depth=2
	s_or_b64 exec, exec, s[22:23]
	v_and_b32_e32 v2, 0xff, v30
	v_cmp_ne_u16_e32 vcc, 0, v2
	v_mov_b32_e32 v3, 0
	v_mov_b32_e32 v28, 0
	s_and_saveexec_b64 s[22:23], vcc
	s_cbranch_execz .LBB6_2700
; %bb.2695:                             ;   in Loop: Header=BB6_2169 Depth=2
	v_cmp_ne_u16_e32 vcc, s76, v2
	v_bfrev_b32_e32 v28, 1
	s_and_saveexec_b64 s[58:59], vcc
	s_cbranch_execz .LBB6_2699
; %bb.2696:                             ;   in Loop: Header=BB6_2169 Depth=2
	v_and_b32_e32 v29, 0x7f, v30
	v_cmp_ne_u32_e32 vcc, s75, v29
	v_mov_b32_e32 v28, 0x7f800001
	s_and_saveexec_b64 s[60:61], vcc
	s_cbranch_execz .LBB6_2698
; %bb.2697:                             ;   in Loop: Header=BB6_2169 Depth=2
	v_and_b32_e32 v28, 7, v2
	v_ffbh_u32_e32 v36, v28
	v_min_u32_e32 v52, 32, v36
	v_subrev_u32_e32 v36, 28, v52
	v_lshlrev_b64 v[36:37], v36, v[2:3]
	v_lshrrev_b32_e32 v38, 3, v29
	v_sub_u32_e32 v2, 29, v52
	v_and_b32_e32 v36, 7, v36
	v_cmp_gt_u32_e32 vcc, 8, v29
	v_cndmask_b32_e32 v2, v38, v2, vcc
	v_cndmask_b32_e32 v28, v28, v36, vcc
	v_lshlrev_b32_e32 v29, 24, v30
	v_accvgpr_read_b32 v53, a45
	v_lshlrev_b32_e32 v28, 20, v28
	v_and_b32_e32 v29, 0x80000000, v29
	v_lshl_add_u32 v2, v2, 23, v31
	v_accvgpr_read_b32 v52, a44
	v_or3_b32 v28, v29, v2, v28
.LBB6_2698:                             ;   in Loop: Header=BB6_2169 Depth=2
	s_or_b64 exec, exec, s[60:61]
.LBB6_2699:                             ;   in Loop: Header=BB6_2169 Depth=2
	s_or_b64 exec, exec, s[58:59]
.LBB6_2700:                             ;   in Loop: Header=BB6_2169 Depth=2
	s_or_b64 exec, exec, s[22:23]
	v_and_b32_e32 v2, 0xff, v41
	v_cmp_ne_u16_e32 vcc, 0, v2
	s_and_saveexec_b64 s[22:23], vcc
	s_cbranch_execz .LBB6_2706
; %bb.2701:                             ;   in Loop: Header=BB6_2169 Depth=2
	v_cmp_ne_u16_e32 vcc, s76, v2
	v_bfrev_b32_e32 v3, 1
	s_and_saveexec_b64 s[58:59], vcc
	s_cbranch_execz .LBB6_2705
; %bb.2702:                             ;   in Loop: Header=BB6_2169 Depth=2
	v_and_b32_e32 v29, 0x7f, v41
	v_cmp_ne_u32_e32 vcc, s75, v29
	v_mov_b32_e32 v3, 0x7f800001
	s_and_saveexec_b64 s[60:61], vcc
	s_cbranch_execz .LBB6_2704
; %bb.2703:                             ;   in Loop: Header=BB6_2169 Depth=2
	v_and_b32_e32 v30, 7, v2
	v_ffbh_u32_e32 v3, v30
	v_min_u32_e32 v37, 32, v3
	v_subrev_u32_e32 v3, 28, v37
	v_lshlrev_b64 v[2:3], v3, v[2:3]
	v_lshrrev_b32_e32 v36, 3, v29
	v_sub_u32_e32 v3, 29, v37
	v_and_b32_e32 v2, 7, v2
	v_cmp_gt_u32_e32 vcc, 8, v29
	v_cndmask_b32_e32 v3, v36, v3, vcc
	v_cndmask_b32_e32 v2, v30, v2, vcc
	v_lshlrev_b32_e32 v29, 24, v41
	v_lshlrev_b32_e32 v2, 20, v2
	v_and_b32_e32 v29, 0x80000000, v29
	v_lshl_add_u32 v3, v3, 23, v31
	v_or3_b32 v3, v29, v3, v2
.LBB6_2704:                             ;   in Loop: Header=BB6_2169 Depth=2
	s_or_b64 exec, exec, s[60:61]
.LBB6_2705:                             ;   in Loop: Header=BB6_2169 Depth=2
	s_or_b64 exec, exec, s[58:59]
.LBB6_2706:                             ;   in Loop: Header=BB6_2169 Depth=2
	s_or_b64 exec, exec, s[22:23]
	v_add_f32_e32 v2, v28, v3
	v_and_b32_sdwa v28, v2, s76 dst_sel:DWORD dst_unused:UNUSED_PAD src0_sel:BYTE_3 src1_sel:DWORD
	v_and_b32_e32 v36, 0x7f800000, v2
	v_mov_b32_e32 v37, v39
	v_and_b32_e32 v38, 0x7fffff, v2
	v_or_b32_e32 v30, 0x7e, v28
	v_cmp_ne_u64_e32 vcc, s[42:43], v[36:37]
	s_and_saveexec_b64 s[22:23], vcc
	s_xor_b64 s[58:59], exec, s[22:23]
	s_cbranch_execz .LBB6_2720
; %bb.2707:                             ;   in Loop: Header=BB6_2169 Depth=2
	v_and_b32_e32 v36, 0x7fffffff, v2
	v_mov_b32_e32 v37, v39
	v_cmp_gt_u64_e32 vcc, s[44:45], v[36:37]
	s_and_saveexec_b64 s[22:23], vcc
	s_xor_b64 s[60:61], exec, s[22:23]
	s_cbranch_execz .LBB6_2719
; %bb.2708:                             ;   in Loop: Header=BB6_2169 Depth=2
	v_cmp_ne_u32_e32 vcc, 0, v2
	v_mov_b32_e32 v30, 0
	s_and_saveexec_b64 s[62:63], vcc
	s_cbranch_execz .LBB6_2718
; %bb.2709:                             ;   in Loop: Header=BB6_2169 Depth=2
	v_bfe_u32 v2, v2, 23, 8
	v_sub_u32_e32 v29, 0x79, v2
	v_cmp_gt_u32_e32 vcc, s77, v2
	v_cndmask_b32_e32 v29, 0, v29, vcc
	v_cmp_eq_u32_e32 vcc, 0, v2
	v_add_u32_e32 v3, 0xffffff81, v2
	v_or_b32_e32 v30, 0x800000, v38
	v_mov_b32_e32 v2, 0xffffff82
	v_cndmask_b32_e32 v29, v29, v20, vcc
	v_cndmask_b32_e32 v41, v3, v2, vcc
	;; [unrolled: 1-line block ×3, first 2 shown]
	v_add_u32_e32 v2, 20, v29
	v_lshlrev_b64 v[2:3], v2, -1
	v_add_u32_e32 v30, 19, v29
	v_lshrrev_b64 v[52:53], v29, v[38:39]
	v_not_b32_e32 v3, v3
	v_not_b32_e32 v2, v2
	v_lshlrev_b64 v[36:37], v30, 1
	v_lshrrev_b32_e32 v30, 23, v52
	v_and_b32_e32 v3, 0, v3
	v_and_b32_e32 v2, v38, v2
	v_add3_u32 v38, v29, v41, v30
	v_bfe_u32 v29, v52, 20, 1
	v_add_u32_e32 v29, -1, v29
	v_cmp_eq_u64_e32 vcc, v[2:3], v[36:37]
	v_cndmask_b32_e32 v2, 0, v29, vcc
	v_add_u32_e32 v2, v2, v52
	v_and_b32_e32 v2, 0xfffff, v2
	v_add_co_u32_e32 v2, vcc, v2, v52
	v_add_u32_e32 v30, 6, v38
	v_addc_co_u32_e32 v3, vcc, 0, v53, vcc
	v_cmp_ne_u32_e32 vcc, 0, v30
                                        ; implicit-def: $vgpr29
	s_and_saveexec_b64 s[22:23], vcc
	s_xor_b64 s[22:23], exec, s[22:23]
; %bb.2710:                             ;   in Loop: Header=BB6_2169 Depth=2
	v_add_u32_e32 v29, 7, v38
	v_cmp_lt_u64_e32 vcc, s[48:49], v[2:3]
	v_cndmask_b32_e32 v29, v30, v29, vcc
	v_cndmask_b32_e64 v30, 0, 1, vcc
	v_lshrrev_b64 v[2:3], v30, v[2:3]
; %bb.2711:                             ;   in Loop: Header=BB6_2169 Depth=2
	s_andn2_saveexec_b64 s[22:23], s[22:23]
; %bb.2712:                             ;   in Loop: Header=BB6_2169 Depth=2
	v_bfe_u32 v29, v2, 23, 1
; %bb.2713:                             ;   in Loop: Header=BB6_2169 Depth=2
	s_or_b64 exec, exec, s[22:23]
	v_lshrrev_b64 v[2:3], 20, v[2:3]
	v_cmp_gt_i32_e32 vcc, 16, v29
	v_cndmask_b32_e32 v3, 0, v3, vcc
	v_cndmask_b32_e32 v2, 7, v2, vcc
	v_cmp_ne_u32_e32 vcc, 0, v29
	v_cmp_ne_u64_e64 s[22:23], 0, v[2:3]
	s_or_b64 s[22:23], vcc, s[22:23]
                                        ; implicit-def: $vgpr30
	s_mov_b64 vcc, exec
	s_and_b64 s[64:65], vcc, s[22:23]
	v_accvgpr_read_b32 v53, a45
	s_xor_b64 s[22:23], s[64:65], vcc
	v_accvgpr_read_b32 v52, a44
	s_mov_b64 exec, s[64:65]
; %bb.2714:                             ;   in Loop: Header=BB6_2169 Depth=2
	v_min_i32_e32 v3, 15, v29
	v_lshl_or_b32 v3, v3, 3, v28
	v_and_or_b32 v30, v2, 7, v3
                                        ; implicit-def: $vgpr28
; %bb.2715:                             ;   in Loop: Header=BB6_2169 Depth=2
	s_andn2_saveexec_b64 s[22:23], s[22:23]
; %bb.2716:                             ;   in Loop: Header=BB6_2169 Depth=2
	v_mov_b32_e32 v30, v28
; %bb.2717:                             ;   in Loop: Header=BB6_2169 Depth=2
	s_or_b64 exec, exec, s[22:23]
.LBB6_2718:                             ;   in Loop: Header=BB6_2169 Depth=2
	s_or_b64 exec, exec, s[62:63]
.LBB6_2719:                             ;   in Loop: Header=BB6_2169 Depth=2
	s_andn2_saveexec_b64 s[22:23], s[60:61]
	s_or_b64 exec, exec, s[22:23]
                                        ; implicit-def: $vgpr2
.LBB6_2720:                             ;   in Loop: Header=BB6_2169 Depth=2
	s_andn2_saveexec_b64 s[22:23], s[58:59]
; %bb.2721:                             ;   in Loop: Header=BB6_2169 Depth=2
	v_or_b32_sdwa v2, v2, s75 dst_sel:DWORD dst_unused:UNUSED_PAD src0_sel:BYTE_3 src1_sel:DWORD
	v_cmp_eq_u64_e32 vcc, 0, v[38:39]
	v_cndmask_b32_e32 v30, v2, v30, vcc
; %bb.2722:                             ;   in Loop: Header=BB6_2169 Depth=2
	s_or_b64 exec, exec, s[22:23]
	v_and_b32_e32 v2, 0xff, v27
	v_cmp_ne_u16_e32 vcc, 0, v2
	v_mov_b32_e32 v3, 0
	v_mov_b32_e32 v28, 0
	s_and_saveexec_b64 s[22:23], vcc
	s_cbranch_execz .LBB6_2728
; %bb.2723:                             ;   in Loop: Header=BB6_2169 Depth=2
	v_cmp_ne_u16_e32 vcc, s76, v2
	v_bfrev_b32_e32 v28, 1
	s_and_saveexec_b64 s[58:59], vcc
	s_cbranch_execz .LBB6_2727
; %bb.2724:                             ;   in Loop: Header=BB6_2169 Depth=2
	v_and_b32_e32 v29, 0x7f, v27
	v_cmp_ne_u32_e32 vcc, s75, v29
	v_mov_b32_e32 v28, 0x7f800001
	s_and_saveexec_b64 s[60:61], vcc
	s_cbranch_execz .LBB6_2726
; %bb.2725:                             ;   in Loop: Header=BB6_2169 Depth=2
	v_and_b32_e32 v28, 7, v2
	v_ffbh_u32_e32 v36, v28
	v_min_u32_e32 v52, 32, v36
	v_subrev_u32_e32 v36, 28, v52
	v_lshlrev_b64 v[36:37], v36, v[2:3]
	v_lshrrev_b32_e32 v38, 3, v29
	v_sub_u32_e32 v2, 29, v52
	v_and_b32_e32 v36, 7, v36
	v_cmp_gt_u32_e32 vcc, 8, v29
	v_cndmask_b32_e32 v2, v38, v2, vcc
	v_cndmask_b32_e32 v28, v28, v36, vcc
	v_lshlrev_b32_e32 v27, 24, v27
	v_accvgpr_read_b32 v53, a45
	v_lshlrev_b32_e32 v28, 20, v28
	v_and_b32_e32 v27, 0x80000000, v27
	v_lshl_add_u32 v2, v2, 23, v31
	v_accvgpr_read_b32 v52, a44
	v_or3_b32 v28, v27, v2, v28
.LBB6_2726:                             ;   in Loop: Header=BB6_2169 Depth=2
	s_or_b64 exec, exec, s[60:61]
.LBB6_2727:                             ;   in Loop: Header=BB6_2169 Depth=2
	s_or_b64 exec, exec, s[58:59]
.LBB6_2728:                             ;   in Loop: Header=BB6_2169 Depth=2
	s_or_b64 exec, exec, s[22:23]
	v_and_b32_e32 v2, 0xff, v40
	v_cmp_ne_u16_e32 vcc, 0, v2
	s_and_saveexec_b64 s[22:23], vcc
	s_cbranch_execz .LBB6_2734
; %bb.2729:                             ;   in Loop: Header=BB6_2169 Depth=2
	v_cmp_ne_u16_e32 vcc, s76, v2
	v_bfrev_b32_e32 v3, 1
	s_and_saveexec_b64 s[58:59], vcc
	s_cbranch_execz .LBB6_2733
; %bb.2730:                             ;   in Loop: Header=BB6_2169 Depth=2
	v_and_b32_e32 v27, 0x7f, v40
	v_cmp_ne_u32_e32 vcc, s75, v27
	v_mov_b32_e32 v3, 0x7f800001
	s_and_saveexec_b64 s[60:61], vcc
	s_cbranch_execz .LBB6_2732
; %bb.2731:                             ;   in Loop: Header=BB6_2169 Depth=2
	v_and_b32_e32 v29, 7, v2
	v_ffbh_u32_e32 v3, v29
	v_min_u32_e32 v37, 32, v3
	v_subrev_u32_e32 v3, 28, v37
	v_lshlrev_b64 v[2:3], v3, v[2:3]
	v_lshrrev_b32_e32 v36, 3, v27
	v_sub_u32_e32 v3, 29, v37
	v_and_b32_e32 v2, 7, v2
	v_cmp_gt_u32_e32 vcc, 8, v27
	v_cndmask_b32_e32 v3, v36, v3, vcc
	v_cndmask_b32_e32 v2, v29, v2, vcc
	v_lshlrev_b32_e32 v27, 24, v40
	v_lshlrev_b32_e32 v2, 20, v2
	v_and_b32_e32 v27, 0x80000000, v27
	v_lshl_add_u32 v3, v3, 23, v31
	v_or3_b32 v3, v27, v3, v2
.LBB6_2732:                             ;   in Loop: Header=BB6_2169 Depth=2
	s_or_b64 exec, exec, s[60:61]
.LBB6_2733:                             ;   in Loop: Header=BB6_2169 Depth=2
	s_or_b64 exec, exec, s[58:59]
.LBB6_2734:                             ;   in Loop: Header=BB6_2169 Depth=2
	s_or_b64 exec, exec, s[22:23]
	v_add_f32_e32 v2, v28, v3
	v_and_b32_sdwa v28, v2, s76 dst_sel:DWORD dst_unused:UNUSED_PAD src0_sel:BYTE_3 src1_sel:DWORD
	v_and_b32_e32 v36, 0x7f800000, v2
	v_mov_b32_e32 v37, v39
	v_and_b32_e32 v38, 0x7fffff, v2
	v_or_b32_e32 v27, 0x7e, v28
	v_cmp_ne_u64_e32 vcc, s[42:43], v[36:37]
	s_and_saveexec_b64 s[22:23], vcc
	s_xor_b64 s[58:59], exec, s[22:23]
	s_cbranch_execz .LBB6_2748
; %bb.2735:                             ;   in Loop: Header=BB6_2169 Depth=2
	v_and_b32_e32 v36, 0x7fffffff, v2
	v_mov_b32_e32 v37, v39
	v_cmp_gt_u64_e32 vcc, s[44:45], v[36:37]
	s_and_saveexec_b64 s[22:23], vcc
	s_xor_b64 s[60:61], exec, s[22:23]
	s_cbranch_execz .LBB6_2747
; %bb.2736:                             ;   in Loop: Header=BB6_2169 Depth=2
	v_cmp_ne_u32_e32 vcc, 0, v2
	v_mov_b32_e32 v27, 0
	s_and_saveexec_b64 s[62:63], vcc
	s_cbranch_execz .LBB6_2746
; %bb.2737:                             ;   in Loop: Header=BB6_2169 Depth=2
	v_bfe_u32 v2, v2, 23, 8
	v_sub_u32_e32 v27, 0x79, v2
	v_cmp_gt_u32_e32 vcc, s77, v2
	v_cndmask_b32_e32 v27, 0, v27, vcc
	v_cmp_eq_u32_e32 vcc, 0, v2
	v_add_u32_e32 v3, 0xffffff81, v2
	v_or_b32_e32 v29, 0x800000, v38
	v_mov_b32_e32 v2, 0xffffff82
	v_cndmask_b32_e32 v27, v27, v20, vcc
	v_cndmask_b32_e32 v40, v3, v2, vcc
	;; [unrolled: 1-line block ×3, first 2 shown]
	v_add_u32_e32 v2, 20, v27
	v_lshlrev_b64 v[2:3], v2, -1
	v_add_u32_e32 v29, 19, v27
	v_lshrrev_b64 v[52:53], v27, v[38:39]
	v_not_b32_e32 v3, v3
	v_not_b32_e32 v2, v2
	v_lshlrev_b64 v[36:37], v29, 1
	v_lshrrev_b32_e32 v29, 23, v52
	v_and_b32_e32 v3, 0, v3
	v_and_b32_e32 v2, v38, v2
	v_add3_u32 v38, v27, v40, v29
	v_bfe_u32 v29, v52, 20, 1
	v_add_u32_e32 v29, -1, v29
	v_cmp_eq_u64_e32 vcc, v[2:3], v[36:37]
	v_cndmask_b32_e32 v2, 0, v29, vcc
	v_add_u32_e32 v2, v2, v52
	v_and_b32_e32 v2, 0xfffff, v2
	v_add_co_u32_e32 v2, vcc, v2, v52
	v_add_u32_e32 v27, 6, v38
	v_addc_co_u32_e32 v3, vcc, 0, v53, vcc
	v_cmp_ne_u32_e32 vcc, 0, v27
                                        ; implicit-def: $vgpr29
	s_and_saveexec_b64 s[22:23], vcc
	s_xor_b64 s[22:23], exec, s[22:23]
; %bb.2738:                             ;   in Loop: Header=BB6_2169 Depth=2
	v_add_u32_e32 v29, 7, v38
	v_cmp_lt_u64_e32 vcc, s[48:49], v[2:3]
	v_cndmask_b32_e32 v29, v27, v29, vcc
	v_cndmask_b32_e64 v27, 0, 1, vcc
	v_lshrrev_b64 v[2:3], v27, v[2:3]
; %bb.2739:                             ;   in Loop: Header=BB6_2169 Depth=2
	s_andn2_saveexec_b64 s[22:23], s[22:23]
; %bb.2740:                             ;   in Loop: Header=BB6_2169 Depth=2
	v_bfe_u32 v29, v2, 23, 1
; %bb.2741:                             ;   in Loop: Header=BB6_2169 Depth=2
	s_or_b64 exec, exec, s[22:23]
	v_lshrrev_b64 v[2:3], 20, v[2:3]
	v_cmp_gt_i32_e32 vcc, 16, v29
	v_cndmask_b32_e32 v3, 0, v3, vcc
	v_cndmask_b32_e32 v2, 7, v2, vcc
	v_cmp_ne_u32_e32 vcc, 0, v29
	v_cmp_ne_u64_e64 s[22:23], 0, v[2:3]
	s_or_b64 s[22:23], vcc, s[22:23]
                                        ; implicit-def: $vgpr27
	s_mov_b64 vcc, exec
	s_and_b64 s[64:65], vcc, s[22:23]
	v_accvgpr_read_b32 v53, a45
	s_xor_b64 s[22:23], s[64:65], vcc
	v_accvgpr_read_b32 v52, a44
	s_mov_b64 exec, s[64:65]
; %bb.2742:                             ;   in Loop: Header=BB6_2169 Depth=2
	v_min_i32_e32 v3, 15, v29
	v_lshl_or_b32 v3, v3, 3, v28
	v_and_or_b32 v27, v2, 7, v3
                                        ; implicit-def: $vgpr28
; %bb.2743:                             ;   in Loop: Header=BB6_2169 Depth=2
	s_andn2_saveexec_b64 s[22:23], s[22:23]
; %bb.2744:                             ;   in Loop: Header=BB6_2169 Depth=2
	v_mov_b32_e32 v27, v28
; %bb.2745:                             ;   in Loop: Header=BB6_2169 Depth=2
	s_or_b64 exec, exec, s[22:23]
.LBB6_2746:                             ;   in Loop: Header=BB6_2169 Depth=2
	s_or_b64 exec, exec, s[62:63]
.LBB6_2747:                             ;   in Loop: Header=BB6_2169 Depth=2
	s_andn2_saveexec_b64 s[22:23], s[60:61]
	s_or_b64 exec, exec, s[22:23]
                                        ; implicit-def: $vgpr2
.LBB6_2748:                             ;   in Loop: Header=BB6_2169 Depth=2
	s_andn2_saveexec_b64 s[22:23], s[58:59]
; %bb.2749:                             ;   in Loop: Header=BB6_2169 Depth=2
	v_or_b32_sdwa v2, v2, s75 dst_sel:DWORD dst_unused:UNUSED_PAD src0_sel:BYTE_3 src1_sel:DWORD
	v_cmp_eq_u64_e32 vcc, 0, v[38:39]
	v_cndmask_b32_e32 v27, v2, v27, vcc
; %bb.2750:                             ;   in Loop: Header=BB6_2169 Depth=2
	s_or_b64 exec, exec, s[22:23]
	v_and_b32_e32 v2, 0xff, v26
	v_cmp_ne_u16_e32 vcc, 0, v2
	v_mov_b32_e32 v3, 0
	v_mov_b32_e32 v28, 0
	s_and_saveexec_b64 s[22:23], vcc
	s_cbranch_execz .LBB6_2756
; %bb.2751:                             ;   in Loop: Header=BB6_2169 Depth=2
	v_cmp_ne_u16_e32 vcc, s76, v2
	v_bfrev_b32_e32 v28, 1
	s_and_saveexec_b64 s[58:59], vcc
	s_cbranch_execz .LBB6_2755
; %bb.2752:                             ;   in Loop: Header=BB6_2169 Depth=2
	v_and_b32_e32 v29, 0x7f, v26
	v_cmp_ne_u32_e32 vcc, s75, v29
	v_mov_b32_e32 v28, 0x7f800001
	s_and_saveexec_b64 s[60:61], vcc
	s_cbranch_execz .LBB6_2754
; %bb.2753:                             ;   in Loop: Header=BB6_2169 Depth=2
	v_and_b32_e32 v28, 7, v2
	v_ffbh_u32_e32 v36, v28
	v_min_u32_e32 v52, 32, v36
	v_subrev_u32_e32 v36, 28, v52
	v_lshlrev_b64 v[36:37], v36, v[2:3]
	v_lshrrev_b32_e32 v38, 3, v29
	v_sub_u32_e32 v2, 29, v52
	v_and_b32_e32 v36, 7, v36
	v_cmp_gt_u32_e32 vcc, 8, v29
	v_cndmask_b32_e32 v2, v38, v2, vcc
	v_cndmask_b32_e32 v28, v28, v36, vcc
	v_lshlrev_b32_e32 v26, 24, v26
	v_accvgpr_read_b32 v53, a45
	v_lshlrev_b32_e32 v28, 20, v28
	v_and_b32_e32 v26, 0x80000000, v26
	v_lshl_add_u32 v2, v2, 23, v31
	v_accvgpr_read_b32 v52, a44
	v_or3_b32 v28, v26, v2, v28
.LBB6_2754:                             ;   in Loop: Header=BB6_2169 Depth=2
	s_or_b64 exec, exec, s[60:61]
.LBB6_2755:                             ;   in Loop: Header=BB6_2169 Depth=2
	s_or_b64 exec, exec, s[58:59]
.LBB6_2756:                             ;   in Loop: Header=BB6_2169 Depth=2
	s_or_b64 exec, exec, s[22:23]
	v_and_b32_e32 v2, 0xff, v55
	v_cmp_ne_u16_e32 vcc, 0, v2
	s_and_saveexec_b64 s[22:23], vcc
	s_cbranch_execz .LBB6_2762
; %bb.2757:                             ;   in Loop: Header=BB6_2169 Depth=2
	v_cmp_ne_u16_e32 vcc, s76, v2
	v_bfrev_b32_e32 v3, 1
	s_and_saveexec_b64 s[58:59], vcc
	s_cbranch_execz .LBB6_2761
; %bb.2758:                             ;   in Loop: Header=BB6_2169 Depth=2
	v_and_b32_e32 v26, 0x7f, v55
	v_cmp_ne_u32_e32 vcc, s75, v26
	v_mov_b32_e32 v3, 0x7f800001
	s_and_saveexec_b64 s[60:61], vcc
	s_cbranch_execz .LBB6_2760
; %bb.2759:                             ;   in Loop: Header=BB6_2169 Depth=2
	v_and_b32_e32 v29, 7, v2
	v_ffbh_u32_e32 v3, v29
	v_min_u32_e32 v37, 32, v3
	v_subrev_u32_e32 v3, 28, v37
	v_lshlrev_b64 v[2:3], v3, v[2:3]
	v_lshrrev_b32_e32 v36, 3, v26
	v_sub_u32_e32 v3, 29, v37
	v_and_b32_e32 v2, 7, v2
	v_cmp_gt_u32_e32 vcc, 8, v26
	v_cndmask_b32_e32 v3, v36, v3, vcc
	v_cndmask_b32_e32 v2, v29, v2, vcc
	v_lshlrev_b32_e32 v26, 24, v55
	v_lshlrev_b32_e32 v2, 20, v2
	v_and_b32_e32 v26, 0x80000000, v26
	v_lshl_add_u32 v3, v3, 23, v31
	v_or3_b32 v3, v26, v3, v2
.LBB6_2760:                             ;   in Loop: Header=BB6_2169 Depth=2
	s_or_b64 exec, exec, s[60:61]
.LBB6_2761:                             ;   in Loop: Header=BB6_2169 Depth=2
	s_or_b64 exec, exec, s[58:59]
.LBB6_2762:                             ;   in Loop: Header=BB6_2169 Depth=2
	s_or_b64 exec, exec, s[22:23]
	v_add_f32_e32 v2, v28, v3
	v_and_b32_sdwa v28, v2, s76 dst_sel:DWORD dst_unused:UNUSED_PAD src0_sel:BYTE_3 src1_sel:DWORD
	v_and_b32_e32 v36, 0x7f800000, v2
	v_mov_b32_e32 v37, v39
	v_and_b32_e32 v38, 0x7fffff, v2
	v_or_b32_e32 v26, 0x7e, v28
	v_cmp_ne_u64_e32 vcc, s[42:43], v[36:37]
	s_and_saveexec_b64 s[22:23], vcc
	s_xor_b64 s[58:59], exec, s[22:23]
	s_cbranch_execz .LBB6_2776
; %bb.2763:                             ;   in Loop: Header=BB6_2169 Depth=2
	v_and_b32_e32 v36, 0x7fffffff, v2
	v_mov_b32_e32 v37, v39
	v_cmp_gt_u64_e32 vcc, s[44:45], v[36:37]
	s_and_saveexec_b64 s[22:23], vcc
	s_xor_b64 s[60:61], exec, s[22:23]
	s_cbranch_execz .LBB6_2775
; %bb.2764:                             ;   in Loop: Header=BB6_2169 Depth=2
	v_cmp_ne_u32_e32 vcc, 0, v2
	v_mov_b32_e32 v26, 0
	s_and_saveexec_b64 s[62:63], vcc
	s_cbranch_execz .LBB6_2774
; %bb.2765:                             ;   in Loop: Header=BB6_2169 Depth=2
	v_bfe_u32 v2, v2, 23, 8
	v_sub_u32_e32 v26, 0x79, v2
	v_cmp_gt_u32_e32 vcc, s77, v2
	v_cndmask_b32_e32 v26, 0, v26, vcc
	v_cmp_eq_u32_e32 vcc, 0, v2
	v_add_u32_e32 v3, 0xffffff81, v2
	v_or_b32_e32 v29, 0x800000, v38
	v_mov_b32_e32 v2, 0xffffff82
	v_cndmask_b32_e32 v26, v26, v20, vcc
	v_cndmask_b32_e32 v55, v3, v2, vcc
	v_cndmask_b32_e32 v38, v29, v38, vcc
	v_add_u32_e32 v2, 20, v26
	v_lshlrev_b64 v[2:3], v2, -1
	v_add_u32_e32 v29, 19, v26
	v_lshrrev_b64 v[52:53], v26, v[38:39]
	v_not_b32_e32 v3, v3
	v_not_b32_e32 v2, v2
	v_lshlrev_b64 v[36:37], v29, 1
	v_lshrrev_b32_e32 v29, 23, v52
	v_and_b32_e32 v3, 0, v3
	v_and_b32_e32 v2, v38, v2
	v_add3_u32 v38, v26, v55, v29
	v_bfe_u32 v29, v52, 20, 1
	v_add_u32_e32 v29, -1, v29
	v_cmp_eq_u64_e32 vcc, v[2:3], v[36:37]
	v_cndmask_b32_e32 v2, 0, v29, vcc
	v_add_u32_e32 v2, v2, v52
	v_and_b32_e32 v2, 0xfffff, v2
	v_add_co_u32_e32 v2, vcc, v2, v52
	v_add_u32_e32 v26, 6, v38
	v_addc_co_u32_e32 v3, vcc, 0, v53, vcc
	v_cmp_ne_u32_e32 vcc, 0, v26
                                        ; implicit-def: $vgpr29
	s_and_saveexec_b64 s[22:23], vcc
	s_xor_b64 s[22:23], exec, s[22:23]
; %bb.2766:                             ;   in Loop: Header=BB6_2169 Depth=2
	v_add_u32_e32 v29, 7, v38
	v_cmp_lt_u64_e32 vcc, s[48:49], v[2:3]
	v_cndmask_b32_e32 v29, v26, v29, vcc
	v_cndmask_b32_e64 v26, 0, 1, vcc
	v_lshrrev_b64 v[2:3], v26, v[2:3]
; %bb.2767:                             ;   in Loop: Header=BB6_2169 Depth=2
	s_andn2_saveexec_b64 s[22:23], s[22:23]
; %bb.2768:                             ;   in Loop: Header=BB6_2169 Depth=2
	v_bfe_u32 v29, v2, 23, 1
; %bb.2769:                             ;   in Loop: Header=BB6_2169 Depth=2
	s_or_b64 exec, exec, s[22:23]
	v_lshrrev_b64 v[2:3], 20, v[2:3]
	v_cmp_gt_i32_e32 vcc, 16, v29
	v_cndmask_b32_e32 v3, 0, v3, vcc
	v_cndmask_b32_e32 v2, 7, v2, vcc
	v_cmp_ne_u32_e32 vcc, 0, v29
	v_cmp_ne_u64_e64 s[22:23], 0, v[2:3]
	s_or_b64 s[22:23], vcc, s[22:23]
                                        ; implicit-def: $vgpr26
	s_mov_b64 vcc, exec
	s_and_b64 s[64:65], vcc, s[22:23]
	v_accvgpr_read_b32 v53, a45
	s_xor_b64 s[22:23], s[64:65], vcc
	v_accvgpr_read_b32 v52, a44
	s_mov_b64 exec, s[64:65]
; %bb.2770:                             ;   in Loop: Header=BB6_2169 Depth=2
	v_min_i32_e32 v3, 15, v29
	v_lshl_or_b32 v3, v3, 3, v28
	v_and_or_b32 v26, v2, 7, v3
                                        ; implicit-def: $vgpr28
; %bb.2771:                             ;   in Loop: Header=BB6_2169 Depth=2
	s_andn2_saveexec_b64 s[22:23], s[22:23]
; %bb.2772:                             ;   in Loop: Header=BB6_2169 Depth=2
	v_mov_b32_e32 v26, v28
; %bb.2773:                             ;   in Loop: Header=BB6_2169 Depth=2
	s_or_b64 exec, exec, s[22:23]
.LBB6_2774:                             ;   in Loop: Header=BB6_2169 Depth=2
	s_or_b64 exec, exec, s[62:63]
.LBB6_2775:                             ;   in Loop: Header=BB6_2169 Depth=2
	s_andn2_saveexec_b64 s[22:23], s[60:61]
	s_or_b64 exec, exec, s[22:23]
                                        ; implicit-def: $vgpr2
.LBB6_2776:                             ;   in Loop: Header=BB6_2169 Depth=2
	s_andn2_saveexec_b64 s[22:23], s[58:59]
; %bb.2777:                             ;   in Loop: Header=BB6_2169 Depth=2
	v_or_b32_sdwa v2, v2, s75 dst_sel:DWORD dst_unused:UNUSED_PAD src0_sel:BYTE_3 src1_sel:DWORD
	v_cmp_eq_u64_e32 vcc, 0, v[38:39]
	v_cndmask_b32_e32 v26, v2, v26, vcc
; %bb.2778:                             ;   in Loop: Header=BB6_2169 Depth=2
	s_or_b64 exec, exec, s[22:23]
	v_and_b32_e32 v2, 0xff, v23
	v_cmp_ne_u16_e32 vcc, 0, v2
	v_mov_b32_e32 v3, 0
	v_mov_b32_e32 v28, 0
	s_and_saveexec_b64 s[22:23], vcc
	s_cbranch_execz .LBB6_2784
; %bb.2779:                             ;   in Loop: Header=BB6_2169 Depth=2
	v_cmp_ne_u16_e32 vcc, s76, v2
	v_bfrev_b32_e32 v28, 1
	s_and_saveexec_b64 s[58:59], vcc
	s_cbranch_execz .LBB6_2783
; %bb.2780:                             ;   in Loop: Header=BB6_2169 Depth=2
	v_and_b32_e32 v29, 0x7f, v23
	v_cmp_ne_u32_e32 vcc, s75, v29
	v_mov_b32_e32 v28, 0x7f800001
	s_and_saveexec_b64 s[60:61], vcc
	s_cbranch_execz .LBB6_2782
; %bb.2781:                             ;   in Loop: Header=BB6_2169 Depth=2
	v_and_b32_e32 v28, 7, v2
	v_ffbh_u32_e32 v36, v28
	v_min_u32_e32 v52, 32, v36
	v_subrev_u32_e32 v36, 28, v52
	v_lshlrev_b64 v[36:37], v36, v[2:3]
	v_lshrrev_b32_e32 v38, 3, v29
	v_sub_u32_e32 v2, 29, v52
	v_and_b32_e32 v36, 7, v36
	v_cmp_gt_u32_e32 vcc, 8, v29
	v_cndmask_b32_e32 v2, v38, v2, vcc
	v_cndmask_b32_e32 v28, v28, v36, vcc
	v_lshlrev_b32_e32 v23, 24, v23
	v_accvgpr_read_b32 v53, a45
	v_lshlrev_b32_e32 v28, 20, v28
	v_and_b32_e32 v23, 0x80000000, v23
	v_lshl_add_u32 v2, v2, 23, v31
	v_accvgpr_read_b32 v52, a44
	v_or3_b32 v28, v23, v2, v28
.LBB6_2782:                             ;   in Loop: Header=BB6_2169 Depth=2
	s_or_b64 exec, exec, s[60:61]
.LBB6_2783:                             ;   in Loop: Header=BB6_2169 Depth=2
	s_or_b64 exec, exec, s[58:59]
.LBB6_2784:                             ;   in Loop: Header=BB6_2169 Depth=2
	s_or_b64 exec, exec, s[22:23]
	v_and_b32_e32 v2, 0xff, v54
	v_cmp_ne_u16_e32 vcc, 0, v2
	s_and_saveexec_b64 s[22:23], vcc
	s_cbranch_execz .LBB6_2790
; %bb.2785:                             ;   in Loop: Header=BB6_2169 Depth=2
	v_cmp_ne_u16_e32 vcc, s76, v2
	v_bfrev_b32_e32 v3, 1
	s_and_saveexec_b64 s[58:59], vcc
	s_cbranch_execz .LBB6_2789
; %bb.2786:                             ;   in Loop: Header=BB6_2169 Depth=2
	v_and_b32_e32 v23, 0x7f, v54
	v_cmp_ne_u32_e32 vcc, s75, v23
	v_mov_b32_e32 v3, 0x7f800001
	s_and_saveexec_b64 s[60:61], vcc
	s_cbranch_execz .LBB6_2788
; %bb.2787:                             ;   in Loop: Header=BB6_2169 Depth=2
	v_and_b32_e32 v29, 7, v2
	v_ffbh_u32_e32 v3, v29
	v_min_u32_e32 v37, 32, v3
	v_subrev_u32_e32 v3, 28, v37
	v_lshlrev_b64 v[2:3], v3, v[2:3]
	v_lshrrev_b32_e32 v36, 3, v23
	v_sub_u32_e32 v3, 29, v37
	v_and_b32_e32 v2, 7, v2
	v_cmp_gt_u32_e32 vcc, 8, v23
	v_cndmask_b32_e32 v3, v36, v3, vcc
	v_cndmask_b32_e32 v2, v29, v2, vcc
	v_lshlrev_b32_e32 v23, 24, v54
	v_lshlrev_b32_e32 v2, 20, v2
	v_and_b32_e32 v23, 0x80000000, v23
	v_lshl_add_u32 v3, v3, 23, v31
	v_or3_b32 v3, v23, v3, v2
.LBB6_2788:                             ;   in Loop: Header=BB6_2169 Depth=2
	s_or_b64 exec, exec, s[60:61]
.LBB6_2789:                             ;   in Loop: Header=BB6_2169 Depth=2
	s_or_b64 exec, exec, s[58:59]
.LBB6_2790:                             ;   in Loop: Header=BB6_2169 Depth=2
	s_or_b64 exec, exec, s[22:23]
	v_add_f32_e32 v2, v28, v3
	v_and_b32_sdwa v28, v2, s76 dst_sel:DWORD dst_unused:UNUSED_PAD src0_sel:BYTE_3 src1_sel:DWORD
	v_and_b32_e32 v36, 0x7f800000, v2
	v_mov_b32_e32 v37, v39
	v_and_b32_e32 v38, 0x7fffff, v2
	v_or_b32_e32 v23, 0x7e, v28
	v_cmp_ne_u64_e32 vcc, s[42:43], v[36:37]
	s_and_saveexec_b64 s[22:23], vcc
	s_xor_b64 s[58:59], exec, s[22:23]
	s_cbranch_execz .LBB6_2804
; %bb.2791:                             ;   in Loop: Header=BB6_2169 Depth=2
	v_and_b32_e32 v36, 0x7fffffff, v2
	v_mov_b32_e32 v37, v39
	v_cmp_gt_u64_e32 vcc, s[44:45], v[36:37]
	s_and_saveexec_b64 s[22:23], vcc
	s_xor_b64 s[60:61], exec, s[22:23]
	s_cbranch_execz .LBB6_2803
; %bb.2792:                             ;   in Loop: Header=BB6_2169 Depth=2
	v_cmp_ne_u32_e32 vcc, 0, v2
	v_mov_b32_e32 v23, 0
	s_and_saveexec_b64 s[62:63], vcc
	s_cbranch_execz .LBB6_2802
; %bb.2793:                             ;   in Loop: Header=BB6_2169 Depth=2
	v_bfe_u32 v2, v2, 23, 8
	v_sub_u32_e32 v23, 0x79, v2
	v_cmp_gt_u32_e32 vcc, s77, v2
	v_cndmask_b32_e32 v23, 0, v23, vcc
	v_cmp_eq_u32_e32 vcc, 0, v2
	v_add_u32_e32 v3, 0xffffff81, v2
	v_or_b32_e32 v29, 0x800000, v38
	v_mov_b32_e32 v2, 0xffffff82
	v_cndmask_b32_e32 v23, v23, v20, vcc
	v_cndmask_b32_e32 v54, v3, v2, vcc
	;; [unrolled: 1-line block ×3, first 2 shown]
	v_add_u32_e32 v2, 20, v23
	v_lshlrev_b64 v[2:3], v2, -1
	v_add_u32_e32 v29, 19, v23
	v_lshrrev_b64 v[52:53], v23, v[38:39]
	v_not_b32_e32 v3, v3
	v_not_b32_e32 v2, v2
	v_lshlrev_b64 v[36:37], v29, 1
	v_lshrrev_b32_e32 v29, 23, v52
	v_and_b32_e32 v3, 0, v3
	v_and_b32_e32 v2, v38, v2
	v_add3_u32 v38, v23, v54, v29
	v_bfe_u32 v29, v52, 20, 1
	v_add_u32_e32 v29, -1, v29
	v_cmp_eq_u64_e32 vcc, v[2:3], v[36:37]
	v_cndmask_b32_e32 v2, 0, v29, vcc
	v_add_u32_e32 v2, v2, v52
	v_and_b32_e32 v2, 0xfffff, v2
	v_add_co_u32_e32 v2, vcc, v2, v52
	v_add_u32_e32 v23, 6, v38
	v_addc_co_u32_e32 v3, vcc, 0, v53, vcc
	v_cmp_ne_u32_e32 vcc, 0, v23
                                        ; implicit-def: $vgpr29
	s_and_saveexec_b64 s[22:23], vcc
	s_xor_b64 s[22:23], exec, s[22:23]
; %bb.2794:                             ;   in Loop: Header=BB6_2169 Depth=2
	v_add_u32_e32 v29, 7, v38
	v_cmp_lt_u64_e32 vcc, s[48:49], v[2:3]
	v_cndmask_b32_e32 v29, v23, v29, vcc
	v_cndmask_b32_e64 v23, 0, 1, vcc
	v_lshrrev_b64 v[2:3], v23, v[2:3]
; %bb.2795:                             ;   in Loop: Header=BB6_2169 Depth=2
	s_andn2_saveexec_b64 s[22:23], s[22:23]
; %bb.2796:                             ;   in Loop: Header=BB6_2169 Depth=2
	v_bfe_u32 v29, v2, 23, 1
; %bb.2797:                             ;   in Loop: Header=BB6_2169 Depth=2
	s_or_b64 exec, exec, s[22:23]
	v_lshrrev_b64 v[2:3], 20, v[2:3]
	v_cmp_gt_i32_e32 vcc, 16, v29
	v_cndmask_b32_e32 v3, 0, v3, vcc
	v_cndmask_b32_e32 v2, 7, v2, vcc
	v_cmp_ne_u32_e32 vcc, 0, v29
	v_cmp_ne_u64_e64 s[22:23], 0, v[2:3]
	s_or_b64 s[22:23], vcc, s[22:23]
                                        ; implicit-def: $vgpr23
	s_mov_b64 vcc, exec
	s_and_b64 s[64:65], vcc, s[22:23]
	v_accvgpr_read_b32 v53, a45
	s_xor_b64 s[22:23], s[64:65], vcc
	v_accvgpr_read_b32 v52, a44
	s_mov_b64 exec, s[64:65]
; %bb.2798:                             ;   in Loop: Header=BB6_2169 Depth=2
	v_min_i32_e32 v3, 15, v29
	v_lshl_or_b32 v3, v3, 3, v28
	v_and_or_b32 v23, v2, 7, v3
                                        ; implicit-def: $vgpr28
; %bb.2799:                             ;   in Loop: Header=BB6_2169 Depth=2
	s_andn2_saveexec_b64 s[22:23], s[22:23]
; %bb.2800:                             ;   in Loop: Header=BB6_2169 Depth=2
	v_mov_b32_e32 v23, v28
; %bb.2801:                             ;   in Loop: Header=BB6_2169 Depth=2
	s_or_b64 exec, exec, s[22:23]
.LBB6_2802:                             ;   in Loop: Header=BB6_2169 Depth=2
	s_or_b64 exec, exec, s[62:63]
.LBB6_2803:                             ;   in Loop: Header=BB6_2169 Depth=2
	s_andn2_saveexec_b64 s[22:23], s[60:61]
	s_or_b64 exec, exec, s[22:23]
                                        ; implicit-def: $vgpr2
.LBB6_2804:                             ;   in Loop: Header=BB6_2169 Depth=2
	s_andn2_saveexec_b64 s[22:23], s[58:59]
; %bb.2805:                             ;   in Loop: Header=BB6_2169 Depth=2
	v_or_b32_sdwa v2, v2, s75 dst_sel:DWORD dst_unused:UNUSED_PAD src0_sel:BYTE_3 src1_sel:DWORD
	v_cmp_eq_u64_e32 vcc, 0, v[38:39]
	v_cndmask_b32_e32 v23, v2, v23, vcc
; %bb.2806:                             ;   in Loop: Header=BB6_2169 Depth=2
	s_or_b64 exec, exec, s[22:23]
	v_and_b32_e32 v2, 0xff, v22
	v_cmp_ne_u16_e32 vcc, 0, v2
	v_mov_b32_e32 v3, 0
	v_mov_b32_e32 v28, 0
	s_and_saveexec_b64 s[22:23], vcc
	s_cbranch_execz .LBB6_2812
; %bb.2807:                             ;   in Loop: Header=BB6_2169 Depth=2
	v_cmp_ne_u16_e32 vcc, s76, v2
	v_bfrev_b32_e32 v28, 1
	s_and_saveexec_b64 s[58:59], vcc
	s_cbranch_execz .LBB6_2811
; %bb.2808:                             ;   in Loop: Header=BB6_2169 Depth=2
	v_and_b32_e32 v29, 0x7f, v22
	v_cmp_ne_u32_e32 vcc, s75, v29
	v_mov_b32_e32 v28, 0x7f800001
	s_and_saveexec_b64 s[60:61], vcc
	s_cbranch_execz .LBB6_2810
; %bb.2809:                             ;   in Loop: Header=BB6_2169 Depth=2
	v_and_b32_e32 v28, 7, v2
	v_ffbh_u32_e32 v36, v28
	v_min_u32_e32 v52, 32, v36
	v_subrev_u32_e32 v36, 28, v52
	v_lshlrev_b64 v[36:37], v36, v[2:3]
	v_lshrrev_b32_e32 v38, 3, v29
	v_sub_u32_e32 v2, 29, v52
	v_and_b32_e32 v36, 7, v36
	v_cmp_gt_u32_e32 vcc, 8, v29
	v_cndmask_b32_e32 v2, v38, v2, vcc
	v_cndmask_b32_e32 v28, v28, v36, vcc
	v_lshlrev_b32_e32 v22, 24, v22
	v_accvgpr_read_b32 v53, a45
	v_lshlrev_b32_e32 v28, 20, v28
	v_and_b32_e32 v22, 0x80000000, v22
	v_lshl_add_u32 v2, v2, 23, v31
	v_accvgpr_read_b32 v52, a44
	v_or3_b32 v28, v22, v2, v28
.LBB6_2810:                             ;   in Loop: Header=BB6_2169 Depth=2
	s_or_b64 exec, exec, s[60:61]
.LBB6_2811:                             ;   in Loop: Header=BB6_2169 Depth=2
	s_or_b64 exec, exec, s[58:59]
.LBB6_2812:                             ;   in Loop: Header=BB6_2169 Depth=2
	s_or_b64 exec, exec, s[22:23]
	v_and_b32_e32 v2, 0xff, v51
	v_cmp_ne_u16_e32 vcc, 0, v2
	s_and_saveexec_b64 s[22:23], vcc
	s_cbranch_execz .LBB6_2818
; %bb.2813:                             ;   in Loop: Header=BB6_2169 Depth=2
	v_cmp_ne_u16_e32 vcc, s76, v2
	v_bfrev_b32_e32 v3, 1
	s_and_saveexec_b64 s[58:59], vcc
	s_cbranch_execz .LBB6_2817
; %bb.2814:                             ;   in Loop: Header=BB6_2169 Depth=2
	v_and_b32_e32 v22, 0x7f, v51
	v_cmp_ne_u32_e32 vcc, s75, v22
	v_mov_b32_e32 v3, 0x7f800001
	s_and_saveexec_b64 s[60:61], vcc
	s_cbranch_execz .LBB6_2816
; %bb.2815:                             ;   in Loop: Header=BB6_2169 Depth=2
	v_and_b32_e32 v29, 7, v2
	v_ffbh_u32_e32 v3, v29
	v_min_u32_e32 v37, 32, v3
	v_subrev_u32_e32 v3, 28, v37
	v_lshlrev_b64 v[2:3], v3, v[2:3]
	v_lshrrev_b32_e32 v36, 3, v22
	v_sub_u32_e32 v3, 29, v37
	v_and_b32_e32 v2, 7, v2
	v_cmp_gt_u32_e32 vcc, 8, v22
	v_cndmask_b32_e32 v3, v36, v3, vcc
	v_cndmask_b32_e32 v2, v29, v2, vcc
	v_lshlrev_b32_e32 v22, 24, v51
	v_lshlrev_b32_e32 v2, 20, v2
	v_and_b32_e32 v22, 0x80000000, v22
	v_lshl_add_u32 v3, v3, 23, v31
	v_or3_b32 v3, v22, v3, v2
.LBB6_2816:                             ;   in Loop: Header=BB6_2169 Depth=2
	s_or_b64 exec, exec, s[60:61]
.LBB6_2817:                             ;   in Loop: Header=BB6_2169 Depth=2
	s_or_b64 exec, exec, s[58:59]
.LBB6_2818:                             ;   in Loop: Header=BB6_2169 Depth=2
	s_or_b64 exec, exec, s[22:23]
	v_add_f32_e32 v2, v28, v3
	v_and_b32_sdwa v28, v2, s76 dst_sel:DWORD dst_unused:UNUSED_PAD src0_sel:BYTE_3 src1_sel:DWORD
	v_and_b32_e32 v36, 0x7f800000, v2
	v_mov_b32_e32 v37, v39
	v_and_b32_e32 v38, 0x7fffff, v2
	v_or_b32_e32 v22, 0x7e, v28
	v_cmp_ne_u64_e32 vcc, s[42:43], v[36:37]
	s_and_saveexec_b64 s[22:23], vcc
	s_xor_b64 s[58:59], exec, s[22:23]
	s_cbranch_execz .LBB6_2832
; %bb.2819:                             ;   in Loop: Header=BB6_2169 Depth=2
	v_and_b32_e32 v36, 0x7fffffff, v2
	v_mov_b32_e32 v37, v39
	v_cmp_gt_u64_e32 vcc, s[44:45], v[36:37]
	s_and_saveexec_b64 s[22:23], vcc
	s_xor_b64 s[60:61], exec, s[22:23]
	s_cbranch_execz .LBB6_2831
; %bb.2820:                             ;   in Loop: Header=BB6_2169 Depth=2
	v_cmp_ne_u32_e32 vcc, 0, v2
	v_mov_b32_e32 v22, 0
	s_and_saveexec_b64 s[62:63], vcc
	s_cbranch_execz .LBB6_2830
; %bb.2821:                             ;   in Loop: Header=BB6_2169 Depth=2
	v_bfe_u32 v2, v2, 23, 8
	v_sub_u32_e32 v22, 0x79, v2
	v_cmp_gt_u32_e32 vcc, s77, v2
	v_cndmask_b32_e32 v22, 0, v22, vcc
	v_cmp_eq_u32_e32 vcc, 0, v2
	v_add_u32_e32 v3, 0xffffff81, v2
	v_or_b32_e32 v29, 0x800000, v38
	v_mov_b32_e32 v2, 0xffffff82
	v_cndmask_b32_e32 v22, v22, v20, vcc
	v_cndmask_b32_e32 v51, v3, v2, vcc
	;; [unrolled: 1-line block ×3, first 2 shown]
	v_add_u32_e32 v2, 20, v22
	v_lshlrev_b64 v[2:3], v2, -1
	v_add_u32_e32 v29, 19, v22
	v_lshrrev_b64 v[52:53], v22, v[38:39]
	v_not_b32_e32 v3, v3
	v_not_b32_e32 v2, v2
	v_lshlrev_b64 v[36:37], v29, 1
	v_lshrrev_b32_e32 v29, 23, v52
	v_and_b32_e32 v3, 0, v3
	v_and_b32_e32 v2, v38, v2
	v_add3_u32 v38, v22, v51, v29
	v_bfe_u32 v29, v52, 20, 1
	v_add_u32_e32 v29, -1, v29
	v_cmp_eq_u64_e32 vcc, v[2:3], v[36:37]
	v_cndmask_b32_e32 v2, 0, v29, vcc
	v_add_u32_e32 v2, v2, v52
	v_and_b32_e32 v2, 0xfffff, v2
	v_add_co_u32_e32 v2, vcc, v2, v52
	v_add_u32_e32 v22, 6, v38
	v_addc_co_u32_e32 v3, vcc, 0, v53, vcc
	v_cmp_ne_u32_e32 vcc, 0, v22
                                        ; implicit-def: $vgpr29
	s_and_saveexec_b64 s[22:23], vcc
	s_xor_b64 s[22:23], exec, s[22:23]
; %bb.2822:                             ;   in Loop: Header=BB6_2169 Depth=2
	v_add_u32_e32 v29, 7, v38
	v_cmp_lt_u64_e32 vcc, s[48:49], v[2:3]
	v_cndmask_b32_e32 v29, v22, v29, vcc
	v_cndmask_b32_e64 v22, 0, 1, vcc
	v_lshrrev_b64 v[2:3], v22, v[2:3]
; %bb.2823:                             ;   in Loop: Header=BB6_2169 Depth=2
	s_andn2_saveexec_b64 s[22:23], s[22:23]
; %bb.2824:                             ;   in Loop: Header=BB6_2169 Depth=2
	v_bfe_u32 v29, v2, 23, 1
; %bb.2825:                             ;   in Loop: Header=BB6_2169 Depth=2
	s_or_b64 exec, exec, s[22:23]
	v_lshrrev_b64 v[2:3], 20, v[2:3]
	v_cmp_gt_i32_e32 vcc, 16, v29
	v_cndmask_b32_e32 v3, 0, v3, vcc
	v_cndmask_b32_e32 v2, 7, v2, vcc
	v_cmp_ne_u32_e32 vcc, 0, v29
	v_cmp_ne_u64_e64 s[22:23], 0, v[2:3]
	s_or_b64 s[22:23], vcc, s[22:23]
                                        ; implicit-def: $vgpr22
	s_mov_b64 vcc, exec
	s_and_b64 s[64:65], vcc, s[22:23]
	v_accvgpr_read_b32 v53, a45
	s_xor_b64 s[22:23], s[64:65], vcc
	v_accvgpr_read_b32 v52, a44
	s_mov_b64 exec, s[64:65]
; %bb.2826:                             ;   in Loop: Header=BB6_2169 Depth=2
	v_min_i32_e32 v3, 15, v29
	v_lshl_or_b32 v3, v3, 3, v28
	v_and_or_b32 v22, v2, 7, v3
                                        ; implicit-def: $vgpr28
; %bb.2827:                             ;   in Loop: Header=BB6_2169 Depth=2
	s_andn2_saveexec_b64 s[22:23], s[22:23]
; %bb.2828:                             ;   in Loop: Header=BB6_2169 Depth=2
	v_mov_b32_e32 v22, v28
; %bb.2829:                             ;   in Loop: Header=BB6_2169 Depth=2
	s_or_b64 exec, exec, s[22:23]
.LBB6_2830:                             ;   in Loop: Header=BB6_2169 Depth=2
	s_or_b64 exec, exec, s[62:63]
.LBB6_2831:                             ;   in Loop: Header=BB6_2169 Depth=2
	s_andn2_saveexec_b64 s[22:23], s[60:61]
	s_or_b64 exec, exec, s[22:23]
                                        ; implicit-def: $vgpr2
.LBB6_2832:                             ;   in Loop: Header=BB6_2169 Depth=2
	s_andn2_saveexec_b64 s[22:23], s[58:59]
; %bb.2833:                             ;   in Loop: Header=BB6_2169 Depth=2
	v_or_b32_sdwa v2, v2, s75 dst_sel:DWORD dst_unused:UNUSED_PAD src0_sel:BYTE_3 src1_sel:DWORD
	v_cmp_eq_u64_e32 vcc, 0, v[38:39]
	v_cndmask_b32_e32 v22, v2, v22, vcc
; %bb.2834:                             ;   in Loop: Header=BB6_2169 Depth=2
	s_or_b64 exec, exec, s[22:23]
	v_and_b32_e32 v2, 0xff, v21
	v_cmp_ne_u16_e32 vcc, 0, v2
	v_mov_b32_e32 v3, 0
	v_mov_b32_e32 v28, 0
	s_and_saveexec_b64 s[22:23], vcc
	s_cbranch_execz .LBB6_2840
; %bb.2835:                             ;   in Loop: Header=BB6_2169 Depth=2
	v_cmp_ne_u16_e32 vcc, s76, v2
	v_bfrev_b32_e32 v28, 1
	s_and_saveexec_b64 s[58:59], vcc
	s_cbranch_execz .LBB6_2839
; %bb.2836:                             ;   in Loop: Header=BB6_2169 Depth=2
	v_and_b32_e32 v29, 0x7f, v21
	v_cmp_ne_u32_e32 vcc, s75, v29
	v_mov_b32_e32 v28, 0x7f800001
	s_and_saveexec_b64 s[60:61], vcc
	s_cbranch_execz .LBB6_2838
; %bb.2837:                             ;   in Loop: Header=BB6_2169 Depth=2
	v_and_b32_e32 v28, 7, v2
	v_ffbh_u32_e32 v36, v28
	v_min_u32_e32 v51, 32, v36
	v_subrev_u32_e32 v36, 28, v51
	v_lshlrev_b64 v[36:37], v36, v[2:3]
	v_lshrrev_b32_e32 v38, 3, v29
	v_sub_u32_e32 v2, 29, v51
	v_and_b32_e32 v36, 7, v36
	v_cmp_gt_u32_e32 vcc, 8, v29
	v_cndmask_b32_e32 v2, v38, v2, vcc
	v_cndmask_b32_e32 v28, v28, v36, vcc
	v_lshlrev_b32_e32 v21, 24, v21
	v_lshlrev_b32_e32 v28, 20, v28
	v_and_b32_e32 v21, 0x80000000, v21
	v_lshl_add_u32 v2, v2, 23, v31
	v_or3_b32 v28, v21, v2, v28
.LBB6_2838:                             ;   in Loop: Header=BB6_2169 Depth=2
	s_or_b64 exec, exec, s[60:61]
.LBB6_2839:                             ;   in Loop: Header=BB6_2169 Depth=2
	s_or_b64 exec, exec, s[58:59]
.LBB6_2840:                             ;   in Loop: Header=BB6_2169 Depth=2
	s_or_b64 exec, exec, s[22:23]
	v_and_b32_e32 v2, 0xff, v50
	v_cmp_ne_u16_e32 vcc, 0, v2
	s_and_saveexec_b64 s[22:23], vcc
	s_cbranch_execz .LBB6_2846
; %bb.2841:                             ;   in Loop: Header=BB6_2169 Depth=2
	v_cmp_ne_u16_e32 vcc, s76, v2
	v_bfrev_b32_e32 v3, 1
	s_and_saveexec_b64 s[58:59], vcc
	s_cbranch_execz .LBB6_2845
; %bb.2842:                             ;   in Loop: Header=BB6_2169 Depth=2
	v_and_b32_e32 v21, 0x7f, v50
	v_cmp_ne_u32_e32 vcc, s75, v21
	v_mov_b32_e32 v3, 0x7f800001
	s_and_saveexec_b64 s[60:61], vcc
	s_cbranch_execz .LBB6_2844
; %bb.2843:                             ;   in Loop: Header=BB6_2169 Depth=2
	v_and_b32_e32 v29, 7, v2
	v_ffbh_u32_e32 v3, v29
	v_min_u32_e32 v37, 32, v3
	v_subrev_u32_e32 v3, 28, v37
	v_lshlrev_b64 v[2:3], v3, v[2:3]
	v_lshrrev_b32_e32 v36, 3, v21
	v_sub_u32_e32 v3, 29, v37
	v_and_b32_e32 v2, 7, v2
	v_cmp_gt_u32_e32 vcc, 8, v21
	v_cndmask_b32_e32 v3, v36, v3, vcc
	v_cndmask_b32_e32 v2, v29, v2, vcc
	v_lshlrev_b32_e32 v21, 24, v50
	v_lshlrev_b32_e32 v2, 20, v2
	v_and_b32_e32 v21, 0x80000000, v21
	v_lshl_add_u32 v3, v3, 23, v31
	v_or3_b32 v3, v21, v3, v2
.LBB6_2844:                             ;   in Loop: Header=BB6_2169 Depth=2
	s_or_b64 exec, exec, s[60:61]
.LBB6_2845:                             ;   in Loop: Header=BB6_2169 Depth=2
	s_or_b64 exec, exec, s[58:59]
.LBB6_2846:                             ;   in Loop: Header=BB6_2169 Depth=2
	s_or_b64 exec, exec, s[22:23]
	v_add_f32_e32 v2, v28, v3
	v_and_b32_sdwa v28, v2, s76 dst_sel:DWORD dst_unused:UNUSED_PAD src0_sel:BYTE_3 src1_sel:DWORD
	v_and_b32_e32 v36, 0x7f800000, v2
	v_mov_b32_e32 v37, v39
	v_and_b32_e32 v38, 0x7fffff, v2
	v_or_b32_e32 v21, 0x7e, v28
	v_cmp_ne_u64_e32 vcc, s[42:43], v[36:37]
	s_and_saveexec_b64 s[22:23], vcc
	s_xor_b64 s[58:59], exec, s[22:23]
	s_cbranch_execz .LBB6_2860
; %bb.2847:                             ;   in Loop: Header=BB6_2169 Depth=2
	v_and_b32_e32 v36, 0x7fffffff, v2
	v_mov_b32_e32 v37, v39
	v_cmp_gt_u64_e32 vcc, s[44:45], v[36:37]
	s_and_saveexec_b64 s[22:23], vcc
	s_xor_b64 s[60:61], exec, s[22:23]
	s_cbranch_execz .LBB6_2859
; %bb.2848:                             ;   in Loop: Header=BB6_2169 Depth=2
	v_cmp_ne_u32_e32 vcc, 0, v2
	v_mov_b32_e32 v21, 0
	s_and_saveexec_b64 s[62:63], vcc
	s_cbranch_execz .LBB6_2858
; %bb.2849:                             ;   in Loop: Header=BB6_2169 Depth=2
	v_bfe_u32 v2, v2, 23, 8
	v_sub_u32_e32 v21, 0x79, v2
	v_cmp_gt_u32_e32 vcc, s77, v2
	v_cndmask_b32_e32 v21, 0, v21, vcc
	v_cmp_eq_u32_e32 vcc, 0, v2
	v_add_u32_e32 v3, 0xffffff81, v2
	v_or_b32_e32 v29, 0x800000, v38
	v_mov_b32_e32 v2, 0xffffff82
	v_cndmask_b32_e32 v21, v21, v20, vcc
	v_cndmask_b32_e32 v52, v3, v2, vcc
	v_cndmask_b32_e32 v38, v29, v38, vcc
	v_add_u32_e32 v2, 20, v21
	v_lshlrev_b64 v[2:3], v2, -1
	v_add_u32_e32 v29, 19, v21
	v_lshrrev_b64 v[50:51], v21, v[38:39]
	v_not_b32_e32 v3, v3
	v_not_b32_e32 v2, v2
	v_lshlrev_b64 v[36:37], v29, 1
	v_lshrrev_b32_e32 v29, 23, v50
	v_and_b32_e32 v3, 0, v3
	v_and_b32_e32 v2, v38, v2
	v_add3_u32 v38, v21, v52, v29
	v_bfe_u32 v29, v50, 20, 1
	v_add_u32_e32 v29, -1, v29
	v_cmp_eq_u64_e32 vcc, v[2:3], v[36:37]
	v_cndmask_b32_e32 v2, 0, v29, vcc
	v_add_u32_e32 v2, v2, v50
	v_and_b32_e32 v2, 0xfffff, v2
	v_add_co_u32_e32 v2, vcc, v2, v50
	v_add_u32_e32 v21, 6, v38
	v_addc_co_u32_e32 v3, vcc, 0, v51, vcc
	v_cmp_ne_u32_e32 vcc, 0, v21
                                        ; implicit-def: $vgpr29
	s_and_saveexec_b64 s[22:23], vcc
	s_xor_b64 s[22:23], exec, s[22:23]
; %bb.2850:                             ;   in Loop: Header=BB6_2169 Depth=2
	v_add_u32_e32 v29, 7, v38
	v_cmp_lt_u64_e32 vcc, s[48:49], v[2:3]
	v_cndmask_b32_e32 v29, v21, v29, vcc
	v_cndmask_b32_e64 v21, 0, 1, vcc
	v_lshrrev_b64 v[2:3], v21, v[2:3]
; %bb.2851:                             ;   in Loop: Header=BB6_2169 Depth=2
	s_andn2_saveexec_b64 s[22:23], s[22:23]
; %bb.2852:                             ;   in Loop: Header=BB6_2169 Depth=2
	v_bfe_u32 v29, v2, 23, 1
; %bb.2853:                             ;   in Loop: Header=BB6_2169 Depth=2
	s_or_b64 exec, exec, s[22:23]
	v_lshrrev_b64 v[2:3], 20, v[2:3]
	v_cmp_gt_i32_e32 vcc, 16, v29
	v_cndmask_b32_e32 v3, 0, v3, vcc
	v_cndmask_b32_e32 v2, 7, v2, vcc
	v_cmp_ne_u32_e32 vcc, 0, v29
	v_cmp_ne_u64_e64 s[22:23], 0, v[2:3]
	s_or_b64 s[22:23], vcc, s[22:23]
                                        ; implicit-def: $vgpr21
	s_mov_b64 vcc, exec
	s_and_b64 s[64:65], vcc, s[22:23]
	v_accvgpr_read_b32 v53, a45
	s_xor_b64 s[22:23], s[64:65], vcc
	v_accvgpr_read_b32 v52, a44
	s_mov_b64 exec, s[64:65]
; %bb.2854:                             ;   in Loop: Header=BB6_2169 Depth=2
	v_min_i32_e32 v3, 15, v29
	v_lshl_or_b32 v3, v3, 3, v28
	v_and_or_b32 v21, v2, 7, v3
                                        ; implicit-def: $vgpr28
; %bb.2855:                             ;   in Loop: Header=BB6_2169 Depth=2
	s_andn2_saveexec_b64 s[22:23], s[22:23]
; %bb.2856:                             ;   in Loop: Header=BB6_2169 Depth=2
	v_mov_b32_e32 v21, v28
; %bb.2857:                             ;   in Loop: Header=BB6_2169 Depth=2
	s_or_b64 exec, exec, s[22:23]
.LBB6_2858:                             ;   in Loop: Header=BB6_2169 Depth=2
	s_or_b64 exec, exec, s[62:63]
.LBB6_2859:                             ;   in Loop: Header=BB6_2169 Depth=2
	s_andn2_saveexec_b64 s[22:23], s[60:61]
	s_or_b64 exec, exec, s[22:23]
                                        ; implicit-def: $vgpr2
.LBB6_2860:                             ;   in Loop: Header=BB6_2169 Depth=2
	s_andn2_saveexec_b64 s[22:23], s[58:59]
; %bb.2861:                             ;   in Loop: Header=BB6_2169 Depth=2
	v_or_b32_sdwa v2, v2, s75 dst_sel:DWORD dst_unused:UNUSED_PAD src0_sel:BYTE_3 src1_sel:DWORD
	v_cmp_eq_u64_e32 vcc, 0, v[38:39]
	v_cndmask_b32_e32 v21, v2, v21, vcc
; %bb.2862:                             ;   in Loop: Header=BB6_2169 Depth=2
	s_or_b64 exec, exec, s[22:23]
	v_and_b32_e32 v2, 0xff, v19
	v_cmp_ne_u16_e32 vcc, 0, v2
	v_mov_b32_e32 v3, 0
	v_mov_b32_e32 v28, 0
	s_and_saveexec_b64 s[22:23], vcc
	s_cbranch_execz .LBB6_2868
; %bb.2863:                             ;   in Loop: Header=BB6_2169 Depth=2
	v_cmp_ne_u16_e32 vcc, s76, v2
	v_bfrev_b32_e32 v28, 1
	s_and_saveexec_b64 s[58:59], vcc
	s_cbranch_execz .LBB6_2867
; %bb.2864:                             ;   in Loop: Header=BB6_2169 Depth=2
	v_and_b32_e32 v29, 0x7f, v19
	v_cmp_ne_u32_e32 vcc, s75, v29
	v_mov_b32_e32 v28, 0x7f800001
	s_and_saveexec_b64 s[60:61], vcc
	s_cbranch_execz .LBB6_2866
; %bb.2865:                             ;   in Loop: Header=BB6_2169 Depth=2
	v_and_b32_e32 v28, 7, v2
	v_ffbh_u32_e32 v36, v28
	v_min_u32_e32 v50, 32, v36
	v_subrev_u32_e32 v36, 28, v50
	v_lshlrev_b64 v[36:37], v36, v[2:3]
	v_lshrrev_b32_e32 v38, 3, v29
	v_sub_u32_e32 v2, 29, v50
	v_and_b32_e32 v36, 7, v36
	v_cmp_gt_u32_e32 vcc, 8, v29
	v_cndmask_b32_e32 v2, v38, v2, vcc
	v_cndmask_b32_e32 v28, v28, v36, vcc
	v_lshlrev_b32_e32 v19, 24, v19
	v_lshlrev_b32_e32 v28, 20, v28
	v_and_b32_e32 v19, 0x80000000, v19
	v_lshl_add_u32 v2, v2, 23, v31
	v_or3_b32 v28, v19, v2, v28
.LBB6_2866:                             ;   in Loop: Header=BB6_2169 Depth=2
	s_or_b64 exec, exec, s[60:61]
.LBB6_2867:                             ;   in Loop: Header=BB6_2169 Depth=2
	s_or_b64 exec, exec, s[58:59]
.LBB6_2868:                             ;   in Loop: Header=BB6_2169 Depth=2
	s_or_b64 exec, exec, s[22:23]
	v_and_b32_e32 v2, 0xff, v49
	v_cmp_ne_u16_e32 vcc, 0, v2
	s_and_saveexec_b64 s[22:23], vcc
	s_cbranch_execz .LBB6_2874
; %bb.2869:                             ;   in Loop: Header=BB6_2169 Depth=2
	v_cmp_ne_u16_e32 vcc, s76, v2
	v_bfrev_b32_e32 v3, 1
	s_and_saveexec_b64 s[58:59], vcc
	s_cbranch_execz .LBB6_2873
; %bb.2870:                             ;   in Loop: Header=BB6_2169 Depth=2
	v_and_b32_e32 v19, 0x7f, v49
	v_cmp_ne_u32_e32 vcc, s75, v19
	v_mov_b32_e32 v3, 0x7f800001
	s_and_saveexec_b64 s[60:61], vcc
	s_cbranch_execz .LBB6_2872
; %bb.2871:                             ;   in Loop: Header=BB6_2169 Depth=2
	v_and_b32_e32 v29, 7, v2
	v_ffbh_u32_e32 v3, v29
	v_min_u32_e32 v37, 32, v3
	v_subrev_u32_e32 v3, 28, v37
	v_lshlrev_b64 v[2:3], v3, v[2:3]
	v_lshrrev_b32_e32 v36, 3, v19
	v_sub_u32_e32 v3, 29, v37
	v_and_b32_e32 v2, 7, v2
	v_cmp_gt_u32_e32 vcc, 8, v19
	v_cndmask_b32_e32 v3, v36, v3, vcc
	v_cndmask_b32_e32 v2, v29, v2, vcc
	v_lshlrev_b32_e32 v19, 24, v49
	v_lshlrev_b32_e32 v2, 20, v2
	v_and_b32_e32 v19, 0x80000000, v19
	v_lshl_add_u32 v3, v3, 23, v31
	v_or3_b32 v3, v19, v3, v2
.LBB6_2872:                             ;   in Loop: Header=BB6_2169 Depth=2
	s_or_b64 exec, exec, s[60:61]
.LBB6_2873:                             ;   in Loop: Header=BB6_2169 Depth=2
	s_or_b64 exec, exec, s[58:59]
.LBB6_2874:                             ;   in Loop: Header=BB6_2169 Depth=2
	s_or_b64 exec, exec, s[22:23]
	v_add_f32_e32 v2, v28, v3
	v_and_b32_sdwa v28, v2, s76 dst_sel:DWORD dst_unused:UNUSED_PAD src0_sel:BYTE_3 src1_sel:DWORD
	v_and_b32_e32 v36, 0x7f800000, v2
	v_mov_b32_e32 v37, v39
	v_and_b32_e32 v38, 0x7fffff, v2
	v_or_b32_e32 v19, 0x7e, v28
	v_cmp_ne_u64_e32 vcc, s[42:43], v[36:37]
	s_and_saveexec_b64 s[22:23], vcc
	s_xor_b64 s[58:59], exec, s[22:23]
	s_cbranch_execz .LBB6_2888
; %bb.2875:                             ;   in Loop: Header=BB6_2169 Depth=2
	v_and_b32_e32 v36, 0x7fffffff, v2
	v_mov_b32_e32 v37, v39
	v_cmp_gt_u64_e32 vcc, s[44:45], v[36:37]
	s_and_saveexec_b64 s[22:23], vcc
	s_xor_b64 s[60:61], exec, s[22:23]
	s_cbranch_execz .LBB6_2887
; %bb.2876:                             ;   in Loop: Header=BB6_2169 Depth=2
	v_cmp_ne_u32_e32 vcc, 0, v2
	v_mov_b32_e32 v19, 0
	s_and_saveexec_b64 s[62:63], vcc
	s_cbranch_execz .LBB6_2886
; %bb.2877:                             ;   in Loop: Header=BB6_2169 Depth=2
	v_bfe_u32 v2, v2, 23, 8
	v_sub_u32_e32 v19, 0x79, v2
	v_cmp_gt_u32_e32 vcc, s77, v2
	v_cndmask_b32_e32 v19, 0, v19, vcc
	v_cmp_eq_u32_e32 vcc, 0, v2
	v_add_u32_e32 v3, 0xffffff81, v2
	v_or_b32_e32 v29, 0x800000, v38
	v_mov_b32_e32 v2, 0xffffff82
	v_cndmask_b32_e32 v19, v19, v20, vcc
	v_cndmask_b32_e32 v49, v3, v2, vcc
	v_cndmask_b32_e32 v38, v29, v38, vcc
	v_add_u32_e32 v2, 20, v19
	v_lshlrev_b64 v[2:3], v2, -1
	v_add_u32_e32 v29, 19, v19
	v_lshrrev_b64 v[50:51], v19, v[38:39]
	v_not_b32_e32 v3, v3
	v_not_b32_e32 v2, v2
	v_lshlrev_b64 v[36:37], v29, 1
	v_lshrrev_b32_e32 v29, 23, v50
	v_and_b32_e32 v3, 0, v3
	v_and_b32_e32 v2, v38, v2
	v_add3_u32 v38, v19, v49, v29
	v_bfe_u32 v29, v50, 20, 1
	v_add_u32_e32 v29, -1, v29
	v_cmp_eq_u64_e32 vcc, v[2:3], v[36:37]
	v_cndmask_b32_e32 v2, 0, v29, vcc
	v_add_u32_e32 v2, v2, v50
	v_and_b32_e32 v2, 0xfffff, v2
	v_add_co_u32_e32 v2, vcc, v2, v50
	v_add_u32_e32 v19, 6, v38
	v_addc_co_u32_e32 v3, vcc, 0, v51, vcc
	v_cmp_ne_u32_e32 vcc, 0, v19
                                        ; implicit-def: $vgpr29
	s_and_saveexec_b64 s[22:23], vcc
	s_xor_b64 s[22:23], exec, s[22:23]
; %bb.2878:                             ;   in Loop: Header=BB6_2169 Depth=2
	v_add_u32_e32 v29, 7, v38
	v_cmp_lt_u64_e32 vcc, s[48:49], v[2:3]
	v_cndmask_b32_e32 v29, v19, v29, vcc
	v_cndmask_b32_e64 v19, 0, 1, vcc
	v_lshrrev_b64 v[2:3], v19, v[2:3]
; %bb.2879:                             ;   in Loop: Header=BB6_2169 Depth=2
	s_andn2_saveexec_b64 s[22:23], s[22:23]
; %bb.2880:                             ;   in Loop: Header=BB6_2169 Depth=2
	v_bfe_u32 v29, v2, 23, 1
; %bb.2881:                             ;   in Loop: Header=BB6_2169 Depth=2
	s_or_b64 exec, exec, s[22:23]
	v_lshrrev_b64 v[2:3], 20, v[2:3]
	v_cmp_gt_i32_e32 vcc, 16, v29
	v_cndmask_b32_e32 v3, 0, v3, vcc
	v_cndmask_b32_e32 v2, 7, v2, vcc
	v_cmp_ne_u32_e32 vcc, 0, v29
	v_cmp_ne_u64_e64 s[22:23], 0, v[2:3]
	s_or_b64 s[22:23], vcc, s[22:23]
                                        ; implicit-def: $vgpr19
	s_and_saveexec_b64 vcc, s[22:23]
	s_xor_b64 s[22:23], exec, vcc
; %bb.2882:                             ;   in Loop: Header=BB6_2169 Depth=2
	v_min_i32_e32 v3, 15, v29
	v_lshl_or_b32 v3, v3, 3, v28
	v_and_or_b32 v19, v2, 7, v3
                                        ; implicit-def: $vgpr28
; %bb.2883:                             ;   in Loop: Header=BB6_2169 Depth=2
	s_andn2_saveexec_b64 s[22:23], s[22:23]
; %bb.2884:                             ;   in Loop: Header=BB6_2169 Depth=2
	v_mov_b32_e32 v19, v28
; %bb.2885:                             ;   in Loop: Header=BB6_2169 Depth=2
	s_or_b64 exec, exec, s[22:23]
.LBB6_2886:                             ;   in Loop: Header=BB6_2169 Depth=2
	s_or_b64 exec, exec, s[62:63]
.LBB6_2887:                             ;   in Loop: Header=BB6_2169 Depth=2
	s_andn2_saveexec_b64 s[22:23], s[60:61]
	s_or_b64 exec, exec, s[22:23]
                                        ; implicit-def: $vgpr2
.LBB6_2888:                             ;   in Loop: Header=BB6_2169 Depth=2
	s_andn2_saveexec_b64 s[22:23], s[58:59]
; %bb.2889:                             ;   in Loop: Header=BB6_2169 Depth=2
	v_or_b32_sdwa v2, v2, s75 dst_sel:DWORD dst_unused:UNUSED_PAD src0_sel:BYTE_3 src1_sel:DWORD
	v_cmp_eq_u64_e32 vcc, 0, v[38:39]
	v_cndmask_b32_e32 v19, v2, v19, vcc
; %bb.2890:                             ;   in Loop: Header=BB6_2169 Depth=2
	s_or_b64 exec, exec, s[22:23]
	v_and_b32_e32 v2, 0xff, v18
	v_cmp_ne_u16_e32 vcc, 0, v2
	v_mov_b32_e32 v3, 0
	v_mov_b32_e32 v28, 0
	s_and_saveexec_b64 s[22:23], vcc
	s_cbranch_execz .LBB6_2896
; %bb.2891:                             ;   in Loop: Header=BB6_2169 Depth=2
	v_cmp_ne_u16_e32 vcc, s76, v2
	v_bfrev_b32_e32 v28, 1
	s_and_saveexec_b64 s[58:59], vcc
	s_cbranch_execz .LBB6_2895
; %bb.2892:                             ;   in Loop: Header=BB6_2169 Depth=2
	v_and_b32_e32 v29, 0x7f, v18
	v_cmp_ne_u32_e32 vcc, s75, v29
	v_mov_b32_e32 v28, 0x7f800001
	s_and_saveexec_b64 s[60:61], vcc
	s_cbranch_execz .LBB6_2894
; %bb.2893:                             ;   in Loop: Header=BB6_2169 Depth=2
	v_and_b32_e32 v28, 7, v2
	v_ffbh_u32_e32 v36, v28
	v_min_u32_e32 v49, 32, v36
	v_subrev_u32_e32 v36, 28, v49
	v_lshlrev_b64 v[36:37], v36, v[2:3]
	v_lshrrev_b32_e32 v38, 3, v29
	v_sub_u32_e32 v2, 29, v49
	v_and_b32_e32 v36, 7, v36
	v_cmp_gt_u32_e32 vcc, 8, v29
	v_cndmask_b32_e32 v2, v38, v2, vcc
	v_cndmask_b32_e32 v28, v28, v36, vcc
	v_lshlrev_b32_e32 v18, 24, v18
	v_lshlrev_b32_e32 v28, 20, v28
	v_and_b32_e32 v18, 0x80000000, v18
	v_lshl_add_u32 v2, v2, 23, v31
	v_or3_b32 v28, v18, v2, v28
.LBB6_2894:                             ;   in Loop: Header=BB6_2169 Depth=2
	s_or_b64 exec, exec, s[60:61]
.LBB6_2895:                             ;   in Loop: Header=BB6_2169 Depth=2
	s_or_b64 exec, exec, s[58:59]
.LBB6_2896:                             ;   in Loop: Header=BB6_2169 Depth=2
	s_or_b64 exec, exec, s[22:23]
	v_and_b32_e32 v2, 0xff, v48
	v_cmp_ne_u16_e32 vcc, 0, v2
	s_and_saveexec_b64 s[22:23], vcc
	s_cbranch_execz .LBB6_2902
; %bb.2897:                             ;   in Loop: Header=BB6_2169 Depth=2
	v_cmp_ne_u16_e32 vcc, s76, v2
	v_bfrev_b32_e32 v3, 1
	s_and_saveexec_b64 s[58:59], vcc
	s_cbranch_execz .LBB6_2901
; %bb.2898:                             ;   in Loop: Header=BB6_2169 Depth=2
	v_and_b32_e32 v18, 0x7f, v48
	v_cmp_ne_u32_e32 vcc, s75, v18
	v_mov_b32_e32 v3, 0x7f800001
	s_and_saveexec_b64 s[60:61], vcc
	s_cbranch_execz .LBB6_2900
; %bb.2899:                             ;   in Loop: Header=BB6_2169 Depth=2
	v_and_b32_e32 v29, 7, v2
	v_ffbh_u32_e32 v3, v29
	v_min_u32_e32 v37, 32, v3
	v_subrev_u32_e32 v3, 28, v37
	v_lshlrev_b64 v[2:3], v3, v[2:3]
	v_lshrrev_b32_e32 v36, 3, v18
	v_sub_u32_e32 v3, 29, v37
	v_and_b32_e32 v2, 7, v2
	v_cmp_gt_u32_e32 vcc, 8, v18
	v_cndmask_b32_e32 v3, v36, v3, vcc
	v_cndmask_b32_e32 v2, v29, v2, vcc
	v_lshlrev_b32_e32 v18, 24, v48
	v_lshlrev_b32_e32 v2, 20, v2
	v_and_b32_e32 v18, 0x80000000, v18
	v_lshl_add_u32 v3, v3, 23, v31
	v_or3_b32 v3, v18, v3, v2
.LBB6_2900:                             ;   in Loop: Header=BB6_2169 Depth=2
	s_or_b64 exec, exec, s[60:61]
.LBB6_2901:                             ;   in Loop: Header=BB6_2169 Depth=2
	s_or_b64 exec, exec, s[58:59]
.LBB6_2902:                             ;   in Loop: Header=BB6_2169 Depth=2
	s_or_b64 exec, exec, s[22:23]
	v_add_f32_e32 v2, v28, v3
	v_and_b32_sdwa v28, v2, s76 dst_sel:DWORD dst_unused:UNUSED_PAD src0_sel:BYTE_3 src1_sel:DWORD
	v_and_b32_e32 v36, 0x7f800000, v2
	v_mov_b32_e32 v37, v39
	v_and_b32_e32 v38, 0x7fffff, v2
	v_or_b32_e32 v18, 0x7e, v28
	v_cmp_ne_u64_e32 vcc, s[42:43], v[36:37]
	s_and_saveexec_b64 s[22:23], vcc
	s_xor_b64 s[58:59], exec, s[22:23]
	s_cbranch_execz .LBB6_2916
; %bb.2903:                             ;   in Loop: Header=BB6_2169 Depth=2
	v_and_b32_e32 v36, 0x7fffffff, v2
	v_mov_b32_e32 v37, v39
	v_cmp_gt_u64_e32 vcc, s[44:45], v[36:37]
	s_and_saveexec_b64 s[22:23], vcc
	s_xor_b64 s[60:61], exec, s[22:23]
	s_cbranch_execz .LBB6_2915
; %bb.2904:                             ;   in Loop: Header=BB6_2169 Depth=2
	v_cmp_ne_u32_e32 vcc, 0, v2
	v_mov_b32_e32 v18, 0
	s_and_saveexec_b64 s[62:63], vcc
	s_cbranch_execz .LBB6_2914
; %bb.2905:                             ;   in Loop: Header=BB6_2169 Depth=2
	v_bfe_u32 v2, v2, 23, 8
	v_sub_u32_e32 v18, 0x79, v2
	v_cmp_gt_u32_e32 vcc, s77, v2
	v_cndmask_b32_e32 v18, 0, v18, vcc
	v_cmp_eq_u32_e32 vcc, 0, v2
	v_add_u32_e32 v3, 0xffffff81, v2
	v_or_b32_e32 v29, 0x800000, v38
	v_mov_b32_e32 v2, 0xffffff82
	v_cndmask_b32_e32 v18, v18, v20, vcc
	v_cndmask_b32_e32 v50, v3, v2, vcc
	;; [unrolled: 1-line block ×3, first 2 shown]
	v_add_u32_e32 v2, 20, v18
	v_lshlrev_b64 v[2:3], v2, -1
	v_add_u32_e32 v29, 19, v18
	v_lshrrev_b64 v[48:49], v18, v[38:39]
	v_not_b32_e32 v3, v3
	v_not_b32_e32 v2, v2
	v_lshlrev_b64 v[36:37], v29, 1
	v_lshrrev_b32_e32 v29, 23, v48
	v_and_b32_e32 v3, 0, v3
	v_and_b32_e32 v2, v38, v2
	v_add3_u32 v38, v18, v50, v29
	v_bfe_u32 v29, v48, 20, 1
	v_add_u32_e32 v29, -1, v29
	v_cmp_eq_u64_e32 vcc, v[2:3], v[36:37]
	v_cndmask_b32_e32 v2, 0, v29, vcc
	v_add_u32_e32 v2, v2, v48
	v_and_b32_e32 v2, 0xfffff, v2
	v_add_co_u32_e32 v2, vcc, v2, v48
	v_add_u32_e32 v18, 6, v38
	v_addc_co_u32_e32 v3, vcc, 0, v49, vcc
	v_cmp_ne_u32_e32 vcc, 0, v18
                                        ; implicit-def: $vgpr29
	s_and_saveexec_b64 s[22:23], vcc
	s_xor_b64 s[22:23], exec, s[22:23]
; %bb.2906:                             ;   in Loop: Header=BB6_2169 Depth=2
	v_add_u32_e32 v29, 7, v38
	v_cmp_lt_u64_e32 vcc, s[48:49], v[2:3]
	v_cndmask_b32_e32 v29, v18, v29, vcc
	v_cndmask_b32_e64 v18, 0, 1, vcc
	v_lshrrev_b64 v[2:3], v18, v[2:3]
; %bb.2907:                             ;   in Loop: Header=BB6_2169 Depth=2
	s_andn2_saveexec_b64 s[22:23], s[22:23]
; %bb.2908:                             ;   in Loop: Header=BB6_2169 Depth=2
	v_bfe_u32 v29, v2, 23, 1
; %bb.2909:                             ;   in Loop: Header=BB6_2169 Depth=2
	s_or_b64 exec, exec, s[22:23]
	v_lshrrev_b64 v[2:3], 20, v[2:3]
	v_cmp_gt_i32_e32 vcc, 16, v29
	v_cndmask_b32_e32 v3, 0, v3, vcc
	v_cndmask_b32_e32 v2, 7, v2, vcc
	v_cmp_ne_u32_e32 vcc, 0, v29
	v_cmp_ne_u64_e64 s[22:23], 0, v[2:3]
	s_or_b64 s[22:23], vcc, s[22:23]
                                        ; implicit-def: $vgpr18
	s_and_saveexec_b64 vcc, s[22:23]
	s_xor_b64 s[22:23], exec, vcc
; %bb.2910:                             ;   in Loop: Header=BB6_2169 Depth=2
	v_min_i32_e32 v3, 15, v29
	v_lshl_or_b32 v3, v3, 3, v28
	v_and_or_b32 v18, v2, 7, v3
                                        ; implicit-def: $vgpr28
; %bb.2911:                             ;   in Loop: Header=BB6_2169 Depth=2
	s_andn2_saveexec_b64 s[22:23], s[22:23]
; %bb.2912:                             ;   in Loop: Header=BB6_2169 Depth=2
	v_mov_b32_e32 v18, v28
; %bb.2913:                             ;   in Loop: Header=BB6_2169 Depth=2
	s_or_b64 exec, exec, s[22:23]
.LBB6_2914:                             ;   in Loop: Header=BB6_2169 Depth=2
	s_or_b64 exec, exec, s[62:63]
.LBB6_2915:                             ;   in Loop: Header=BB6_2169 Depth=2
	s_andn2_saveexec_b64 s[22:23], s[60:61]
	s_or_b64 exec, exec, s[22:23]
                                        ; implicit-def: $vgpr2
.LBB6_2916:                             ;   in Loop: Header=BB6_2169 Depth=2
	s_andn2_saveexec_b64 s[22:23], s[58:59]
; %bb.2917:                             ;   in Loop: Header=BB6_2169 Depth=2
	v_or_b32_sdwa v2, v2, s75 dst_sel:DWORD dst_unused:UNUSED_PAD src0_sel:BYTE_3 src1_sel:DWORD
	v_cmp_eq_u64_e32 vcc, 0, v[38:39]
	v_cndmask_b32_e32 v18, v2, v18, vcc
; %bb.2918:                             ;   in Loop: Header=BB6_2169 Depth=2
	s_or_b64 exec, exec, s[22:23]
	v_and_b32_e32 v2, 0xff, v8
	v_cmp_ne_u16_e32 vcc, 0, v2
	v_mov_b32_e32 v3, 0
	v_mov_b32_e32 v28, 0
	s_and_saveexec_b64 s[22:23], vcc
	s_cbranch_execz .LBB6_2924
; %bb.2919:                             ;   in Loop: Header=BB6_2169 Depth=2
	v_cmp_ne_u16_e32 vcc, s76, v2
	v_bfrev_b32_e32 v28, 1
	s_and_saveexec_b64 s[58:59], vcc
	s_cbranch_execz .LBB6_2923
; %bb.2920:                             ;   in Loop: Header=BB6_2169 Depth=2
	v_and_b32_e32 v29, 0x7f, v8
	v_cmp_ne_u32_e32 vcc, s75, v29
	v_mov_b32_e32 v28, 0x7f800001
	s_and_saveexec_b64 s[60:61], vcc
	s_cbranch_execz .LBB6_2922
; %bb.2921:                             ;   in Loop: Header=BB6_2169 Depth=2
	v_and_b32_e32 v28, 7, v2
	v_ffbh_u32_e32 v36, v28
	v_min_u32_e32 v48, 32, v36
	v_subrev_u32_e32 v36, 28, v48
	v_lshlrev_b64 v[36:37], v36, v[2:3]
	v_lshrrev_b32_e32 v38, 3, v29
	v_sub_u32_e32 v2, 29, v48
	v_and_b32_e32 v36, 7, v36
	v_cmp_gt_u32_e32 vcc, 8, v29
	v_cndmask_b32_e32 v2, v38, v2, vcc
	v_cndmask_b32_e32 v28, v28, v36, vcc
	v_lshlrev_b32_e32 v8, 24, v8
	v_lshlrev_b32_e32 v28, 20, v28
	v_and_b32_e32 v8, 0x80000000, v8
	v_lshl_add_u32 v2, v2, 23, v31
	v_or3_b32 v28, v8, v2, v28
.LBB6_2922:                             ;   in Loop: Header=BB6_2169 Depth=2
	s_or_b64 exec, exec, s[60:61]
.LBB6_2923:                             ;   in Loop: Header=BB6_2169 Depth=2
	s_or_b64 exec, exec, s[58:59]
.LBB6_2924:                             ;   in Loop: Header=BB6_2169 Depth=2
	s_or_b64 exec, exec, s[22:23]
	v_and_b32_e32 v2, 0xff, v25
	v_cmp_ne_u16_e32 vcc, 0, v2
	s_and_saveexec_b64 s[22:23], vcc
	s_cbranch_execz .LBB6_2930
; %bb.2925:                             ;   in Loop: Header=BB6_2169 Depth=2
	v_cmp_ne_u16_e32 vcc, s76, v2
	v_bfrev_b32_e32 v3, 1
	s_and_saveexec_b64 s[58:59], vcc
	s_cbranch_execz .LBB6_2929
; %bb.2926:                             ;   in Loop: Header=BB6_2169 Depth=2
	v_and_b32_e32 v8, 0x7f, v25
	v_cmp_ne_u32_e32 vcc, s75, v8
	v_mov_b32_e32 v3, 0x7f800001
	s_and_saveexec_b64 s[60:61], vcc
	s_cbranch_execz .LBB6_2928
; %bb.2927:                             ;   in Loop: Header=BB6_2169 Depth=2
	v_and_b32_e32 v29, 7, v2
	v_ffbh_u32_e32 v3, v29
	v_min_u32_e32 v37, 32, v3
	v_subrev_u32_e32 v3, 28, v37
	v_lshlrev_b64 v[2:3], v3, v[2:3]
	v_lshrrev_b32_e32 v36, 3, v8
	v_sub_u32_e32 v3, 29, v37
	v_and_b32_e32 v2, 7, v2
	v_cmp_gt_u32_e32 vcc, 8, v8
	v_cndmask_b32_e32 v3, v36, v3, vcc
	v_cndmask_b32_e32 v2, v29, v2, vcc
	v_lshlrev_b32_e32 v8, 24, v25
	v_lshlrev_b32_e32 v2, 20, v2
	v_and_b32_e32 v8, 0x80000000, v8
	v_lshl_add_u32 v3, v3, 23, v31
	v_or3_b32 v3, v8, v3, v2
.LBB6_2928:                             ;   in Loop: Header=BB6_2169 Depth=2
	s_or_b64 exec, exec, s[60:61]
.LBB6_2929:                             ;   in Loop: Header=BB6_2169 Depth=2
	s_or_b64 exec, exec, s[58:59]
.LBB6_2930:                             ;   in Loop: Header=BB6_2169 Depth=2
	s_or_b64 exec, exec, s[22:23]
	v_add_f32_e32 v2, v28, v3
	v_and_b32_sdwa v25, v2, s76 dst_sel:DWORD dst_unused:UNUSED_PAD src0_sel:BYTE_3 src1_sel:DWORD
	v_and_b32_e32 v28, 0x7f800000, v2
	v_mov_b32_e32 v29, v39
	v_and_b32_e32 v38, 0x7fffff, v2
	v_or_b32_e32 v8, 0x7e, v25
	v_cmp_ne_u64_e32 vcc, s[42:43], v[28:29]
	s_and_saveexec_b64 s[22:23], vcc
	s_xor_b64 s[58:59], exec, s[22:23]
	s_cbranch_execz .LBB6_2944
; %bb.2931:                             ;   in Loop: Header=BB6_2169 Depth=2
	v_and_b32_e32 v28, 0x7fffffff, v2
	v_mov_b32_e32 v29, v39
	v_cmp_gt_u64_e32 vcc, s[44:45], v[28:29]
	s_and_saveexec_b64 s[22:23], vcc
	s_xor_b64 s[60:61], exec, s[22:23]
	s_cbranch_execz .LBB6_2943
; %bb.2932:                             ;   in Loop: Header=BB6_2169 Depth=2
	v_cmp_ne_u32_e32 vcc, 0, v2
	v_mov_b32_e32 v8, 0
	s_and_saveexec_b64 s[62:63], vcc
	s_cbranch_execz .LBB6_2942
; %bb.2933:                             ;   in Loop: Header=BB6_2169 Depth=2
	v_bfe_u32 v2, v2, 23, 8
	v_sub_u32_e32 v8, 0x79, v2
	v_cmp_gt_u32_e32 vcc, s77, v2
	v_cndmask_b32_e32 v8, 0, v8, vcc
	v_cmp_eq_u32_e32 vcc, 0, v2
	v_add_u32_e32 v3, 0xffffff81, v2
	v_or_b32_e32 v28, 0x800000, v38
	v_mov_b32_e32 v2, 0xffffff82
	v_cndmask_b32_e32 v8, v8, v20, vcc
	v_cndmask_b32_e32 v29, v3, v2, vcc
	;; [unrolled: 1-line block ×3, first 2 shown]
	v_add_u32_e32 v2, 20, v8
	v_lshlrev_b64 v[2:3], v2, -1
	v_add_u32_e32 v28, 19, v8
	v_lshrrev_b64 v[48:49], v8, v[38:39]
	v_not_b32_e32 v3, v3
	v_not_b32_e32 v2, v2
	v_lshlrev_b64 v[36:37], v28, 1
	v_lshrrev_b32_e32 v28, 23, v48
	v_and_b32_e32 v3, 0, v3
	v_and_b32_e32 v2, v38, v2
	v_add3_u32 v29, v8, v29, v28
	v_bfe_u32 v28, v48, 20, 1
	v_add_u32_e32 v28, -1, v28
	v_cmp_eq_u64_e32 vcc, v[2:3], v[36:37]
	v_cndmask_b32_e32 v2, 0, v28, vcc
	v_add_u32_e32 v2, v2, v48
	v_and_b32_e32 v2, 0xfffff, v2
	v_add_co_u32_e32 v2, vcc, v2, v48
	v_add_u32_e32 v8, 6, v29
	v_addc_co_u32_e32 v3, vcc, 0, v49, vcc
	v_cmp_ne_u32_e32 vcc, 0, v8
                                        ; implicit-def: $vgpr28
	s_and_saveexec_b64 s[22:23], vcc
	s_xor_b64 s[22:23], exec, s[22:23]
; %bb.2934:                             ;   in Loop: Header=BB6_2169 Depth=2
	v_add_u32_e32 v28, 7, v29
	v_cmp_lt_u64_e32 vcc, s[48:49], v[2:3]
	v_cndmask_b32_e32 v28, v8, v28, vcc
	v_cndmask_b32_e64 v8, 0, 1, vcc
	v_lshrrev_b64 v[2:3], v8, v[2:3]
; %bb.2935:                             ;   in Loop: Header=BB6_2169 Depth=2
	s_andn2_saveexec_b64 s[22:23], s[22:23]
; %bb.2936:                             ;   in Loop: Header=BB6_2169 Depth=2
	v_bfe_u32 v28, v2, 23, 1
; %bb.2937:                             ;   in Loop: Header=BB6_2169 Depth=2
	s_or_b64 exec, exec, s[22:23]
	v_lshrrev_b64 v[2:3], 20, v[2:3]
	v_cmp_gt_i32_e32 vcc, 16, v28
	v_cndmask_b32_e32 v3, 0, v3, vcc
	v_cndmask_b32_e32 v2, 7, v2, vcc
	v_cmp_ne_u32_e32 vcc, 0, v28
	v_cmp_ne_u64_e64 s[22:23], 0, v[2:3]
	s_or_b64 s[22:23], vcc, s[22:23]
                                        ; implicit-def: $vgpr8
	s_and_saveexec_b64 vcc, s[22:23]
	s_xor_b64 s[22:23], exec, vcc
; %bb.2938:                             ;   in Loop: Header=BB6_2169 Depth=2
	v_min_i32_e32 v3, 15, v28
	v_lshl_or_b32 v3, v3, 3, v25
	v_and_or_b32 v8, v2, 7, v3
                                        ; implicit-def: $vgpr25
; %bb.2939:                             ;   in Loop: Header=BB6_2169 Depth=2
	s_andn2_saveexec_b64 s[22:23], s[22:23]
; %bb.2940:                             ;   in Loop: Header=BB6_2169 Depth=2
	v_mov_b32_e32 v8, v25
; %bb.2941:                             ;   in Loop: Header=BB6_2169 Depth=2
	s_or_b64 exec, exec, s[22:23]
.LBB6_2942:                             ;   in Loop: Header=BB6_2169 Depth=2
	s_or_b64 exec, exec, s[62:63]
.LBB6_2943:                             ;   in Loop: Header=BB6_2169 Depth=2
	s_andn2_saveexec_b64 s[22:23], s[60:61]
	s_or_b64 exec, exec, s[22:23]
                                        ; implicit-def: $vgpr2
.LBB6_2944:                             ;   in Loop: Header=BB6_2169 Depth=2
	s_andn2_saveexec_b64 s[22:23], s[58:59]
; %bb.2945:                             ;   in Loop: Header=BB6_2169 Depth=2
	v_or_b32_sdwa v2, v2, s75 dst_sel:DWORD dst_unused:UNUSED_PAD src0_sel:BYTE_3 src1_sel:DWORD
	v_cmp_eq_u64_e32 vcc, 0, v[38:39]
	v_cndmask_b32_e32 v8, v2, v8, vcc
; %bb.2946:                             ;   in Loop: Header=BB6_2169 Depth=2
	s_or_b64 exec, exec, s[22:23]
	v_and_b32_e32 v2, 0xff, v6
	v_cmp_ne_u16_e32 vcc, 0, v2
	v_mov_b32_e32 v3, 0
	v_mov_b32_e32 v25, 0
	s_and_saveexec_b64 s[22:23], vcc
	s_cbranch_execz .LBB6_2952
; %bb.2947:                             ;   in Loop: Header=BB6_2169 Depth=2
	v_cmp_ne_u16_e32 vcc, s76, v2
	v_bfrev_b32_e32 v25, 1
	s_and_saveexec_b64 s[58:59], vcc
	s_cbranch_execz .LBB6_2951
; %bb.2948:                             ;   in Loop: Header=BB6_2169 Depth=2
	v_and_b32_e32 v28, 0x7f, v6
	v_cmp_ne_u32_e32 vcc, s75, v28
	v_mov_b32_e32 v25, 0x7f800001
	s_and_saveexec_b64 s[60:61], vcc
	s_cbranch_execz .LBB6_2950
; %bb.2949:                             ;   in Loop: Header=BB6_2169 Depth=2
	v_and_b32_e32 v25, 7, v2
	v_ffbh_u32_e32 v36, v25
	v_min_u32_e32 v38, 32, v36
	v_subrev_u32_e32 v36, 28, v38
	v_lshlrev_b64 v[36:37], v36, v[2:3]
	v_lshrrev_b32_e32 v29, 3, v28
	v_sub_u32_e32 v2, 29, v38
	v_and_b32_e32 v36, 7, v36
	v_cmp_gt_u32_e32 vcc, 8, v28
	v_cndmask_b32_e32 v2, v29, v2, vcc
	v_cndmask_b32_e32 v25, v25, v36, vcc
	v_lshlrev_b32_e32 v6, 24, v6
	v_lshlrev_b32_e32 v25, 20, v25
	v_and_b32_e32 v6, 0x80000000, v6
	v_lshl_add_u32 v2, v2, 23, v31
	v_or3_b32 v25, v6, v2, v25
.LBB6_2950:                             ;   in Loop: Header=BB6_2169 Depth=2
	s_or_b64 exec, exec, s[60:61]
.LBB6_2951:                             ;   in Loop: Header=BB6_2169 Depth=2
	s_or_b64 exec, exec, s[58:59]
.LBB6_2952:                             ;   in Loop: Header=BB6_2169 Depth=2
	s_or_b64 exec, exec, s[22:23]
	v_and_b32_e32 v2, 0xff, v9
	v_cmp_ne_u16_e32 vcc, 0, v2
	s_and_saveexec_b64 s[22:23], vcc
	s_cbranch_execz .LBB6_2958
; %bb.2953:                             ;   in Loop: Header=BB6_2169 Depth=2
	v_cmp_ne_u16_e32 vcc, s76, v2
	v_bfrev_b32_e32 v3, 1
	s_and_saveexec_b64 s[58:59], vcc
	s_cbranch_execz .LBB6_2957
; %bb.2954:                             ;   in Loop: Header=BB6_2169 Depth=2
	v_and_b32_e32 v6, 0x7f, v9
	v_cmp_ne_u32_e32 vcc, s75, v6
	v_mov_b32_e32 v3, 0x7f800001
	s_and_saveexec_b64 s[60:61], vcc
	s_cbranch_execz .LBB6_2956
; %bb.2955:                             ;   in Loop: Header=BB6_2169 Depth=2
	v_and_b32_e32 v28, 7, v2
	v_ffbh_u32_e32 v3, v28
	v_min_u32_e32 v36, 32, v3
	v_subrev_u32_e32 v3, 28, v36
	v_lshlrev_b64 v[2:3], v3, v[2:3]
	v_lshrrev_b32_e32 v29, 3, v6
	v_sub_u32_e32 v3, 29, v36
	v_and_b32_e32 v2, 7, v2
	v_cmp_gt_u32_e32 vcc, 8, v6
	v_cndmask_b32_e32 v3, v29, v3, vcc
	v_cndmask_b32_e32 v2, v28, v2, vcc
	v_lshlrev_b32_e32 v6, 24, v9
	v_lshlrev_b32_e32 v2, 20, v2
	v_and_b32_e32 v6, 0x80000000, v6
	v_lshl_add_u32 v3, v3, 23, v31
	v_or3_b32 v3, v6, v3, v2
.LBB6_2956:                             ;   in Loop: Header=BB6_2169 Depth=2
	s_or_b64 exec, exec, s[60:61]
.LBB6_2957:                             ;   in Loop: Header=BB6_2169 Depth=2
	s_or_b64 exec, exec, s[58:59]
.LBB6_2958:                             ;   in Loop: Header=BB6_2169 Depth=2
	s_or_b64 exec, exec, s[22:23]
	v_add_f32_e32 v2, v25, v3
	v_and_b32_sdwa v6, v2, s76 dst_sel:DWORD dst_unused:UNUSED_PAD src0_sel:BYTE_3 src1_sel:DWORD
	v_and_b32_e32 v28, 0x7f800000, v2
	v_mov_b32_e32 v29, v39
	v_and_b32_e32 v38, 0x7fffff, v2
	v_or_b32_e32 v3, 0x7e, v6
	v_cmp_ne_u64_e32 vcc, s[42:43], v[28:29]
	s_and_saveexec_b64 s[22:23], vcc
	s_xor_b64 s[58:59], exec, s[22:23]
	s_cbranch_execz .LBB6_2972
; %bb.2959:                             ;   in Loop: Header=BB6_2169 Depth=2
	v_and_b32_e32 v28, 0x7fffffff, v2
	v_mov_b32_e32 v29, v39
	v_cmp_gt_u64_e32 vcc, s[44:45], v[28:29]
	s_and_saveexec_b64 s[22:23], vcc
	s_xor_b64 s[60:61], exec, s[22:23]
	s_cbranch_execz .LBB6_2971
; %bb.2960:                             ;   in Loop: Header=BB6_2169 Depth=2
	v_cmp_ne_u32_e32 vcc, 0, v2
	v_mov_b32_e32 v3, 0
	s_and_saveexec_b64 s[62:63], vcc
	s_cbranch_execz .LBB6_2970
; %bb.2961:                             ;   in Loop: Header=BB6_2169 Depth=2
	v_bfe_u32 v2, v2, 23, 8
	v_sub_u32_e32 v9, 0x79, v2
	v_cmp_gt_u32_e32 vcc, s77, v2
	v_cndmask_b32_e32 v9, 0, v9, vcc
	v_cmp_eq_u32_e32 vcc, 0, v2
	v_add_u32_e32 v3, 0xffffff81, v2
	v_or_b32_e32 v25, 0x800000, v38
	v_mov_b32_e32 v2, 0xffffff82
	v_cndmask_b32_e32 v9, v9, v20, vcc
	v_cndmask_b32_e32 v28, v3, v2, vcc
	;; [unrolled: 1-line block ×3, first 2 shown]
	v_add_u32_e32 v2, 20, v9
	v_lshlrev_b64 v[2:3], v2, -1
	v_add_u32_e32 v25, 19, v9
	v_lshrrev_b64 v[48:49], v9, v[38:39]
	v_not_b32_e32 v3, v3
	v_not_b32_e32 v2, v2
	v_lshlrev_b64 v[36:37], v25, 1
	v_lshrrev_b32_e32 v25, 23, v48
	v_and_b32_e32 v3, 0, v3
	v_and_b32_e32 v2, v38, v2
	v_add3_u32 v28, v9, v28, v25
	v_bfe_u32 v9, v48, 20, 1
	v_add_u32_e32 v9, -1, v9
	v_cmp_eq_u64_e32 vcc, v[2:3], v[36:37]
	v_cndmask_b32_e32 v2, 0, v9, vcc
	v_add_u32_e32 v2, v2, v48
	v_and_b32_e32 v2, 0xfffff, v2
	v_add_co_u32_e32 v2, vcc, v2, v48
	v_add_u32_e32 v25, 6, v28
	v_addc_co_u32_e32 v3, vcc, 0, v49, vcc
	v_cmp_ne_u32_e32 vcc, 0, v25
                                        ; implicit-def: $vgpr9
	s_and_saveexec_b64 s[22:23], vcc
	s_xor_b64 s[22:23], exec, s[22:23]
; %bb.2962:                             ;   in Loop: Header=BB6_2169 Depth=2
	v_add_u32_e32 v9, 7, v28
	v_cmp_lt_u64_e32 vcc, s[48:49], v[2:3]
	v_cndmask_b32_e32 v9, v25, v9, vcc
	v_cndmask_b32_e64 v25, 0, 1, vcc
	v_lshrrev_b64 v[2:3], v25, v[2:3]
; %bb.2963:                             ;   in Loop: Header=BB6_2169 Depth=2
	s_andn2_saveexec_b64 s[22:23], s[22:23]
; %bb.2964:                             ;   in Loop: Header=BB6_2169 Depth=2
	v_bfe_u32 v9, v2, 23, 1
; %bb.2965:                             ;   in Loop: Header=BB6_2169 Depth=2
	s_or_b64 exec, exec, s[22:23]
	v_lshrrev_b64 v[2:3], 20, v[2:3]
	v_cmp_gt_i32_e32 vcc, 16, v9
	v_cndmask_b32_e32 v3, 0, v3, vcc
	v_cndmask_b32_e32 v2, 7, v2, vcc
	v_cmp_ne_u32_e32 vcc, 0, v9
	v_cmp_ne_u64_e64 s[22:23], 0, v[2:3]
	s_or_b64 s[22:23], vcc, s[22:23]
                                        ; implicit-def: $vgpr3
	s_and_saveexec_b64 vcc, s[22:23]
	s_xor_b64 s[22:23], exec, vcc
; %bb.2966:                             ;   in Loop: Header=BB6_2169 Depth=2
	v_min_i32_e32 v3, 15, v9
	v_lshl_or_b32 v3, v3, 3, v6
	v_and_or_b32 v3, v2, 7, v3
                                        ; implicit-def: $vgpr6
; %bb.2967:                             ;   in Loop: Header=BB6_2169 Depth=2
	s_andn2_saveexec_b64 s[22:23], s[22:23]
; %bb.2968:                             ;   in Loop: Header=BB6_2169 Depth=2
	v_mov_b32_e32 v3, v6
; %bb.2969:                             ;   in Loop: Header=BB6_2169 Depth=2
	s_or_b64 exec, exec, s[22:23]
.LBB6_2970:                             ;   in Loop: Header=BB6_2169 Depth=2
	s_or_b64 exec, exec, s[62:63]
.LBB6_2971:                             ;   in Loop: Header=BB6_2169 Depth=2
	s_andn2_saveexec_b64 s[22:23], s[60:61]
	s_or_b64 exec, exec, s[22:23]
                                        ; implicit-def: $vgpr2
.LBB6_2972:                             ;   in Loop: Header=BB6_2169 Depth=2
	s_andn2_saveexec_b64 s[22:23], s[58:59]
	s_cbranch_execz .LBB6_2168
; %bb.2973:                             ;   in Loop: Header=BB6_2169 Depth=2
	v_or_b32_sdwa v2, v2, s75 dst_sel:DWORD dst_unused:UNUSED_PAD src0_sel:BYTE_3 src1_sel:DWORD
	v_cmp_eq_u64_e32 vcc, 0, v[38:39]
	v_cndmask_b32_e32 v3, v2, v3, vcc
	s_branch .LBB6_2168
.LBB6_2974:                             ;   in Loop: Header=BB6_49 Depth=1
	s_or_b64 exec, exec, s[56:57]
.LBB6_2975:                             ;   in Loop: Header=BB6_49 Depth=1
	s_or_b64 exec, exec, s[54:55]
	v_lshlrev_b32_e32 v2, 10, v17
	v_cmp_ne_u32_e32 vcc, v1, v2
	s_and_b64 exec, exec, vcc
	s_cbranch_execz .LBB6_3034
; %bb.2976:                             ;   in Loop: Header=BB6_49 Depth=1
	v_add_u32_e32 v3, v16, v5
	v_and_b32_e32 v3, 0xffffffc0, v3
	v_sub_u32_e32 v3, v16, v3
	v_lshlrev_b32_e32 v4, 6, v4
	v_sub_u32_e32 v3, v3, v4
	v_add_u32_e32 v2, v2, v3
	v_sub_u32_e32 v1, v1, v2
	v_cmp_lt_i32_e32 vcc, 0, v1
	s_and_b64 exec, exec, vcc
	s_cbranch_execz .LBB6_3034
; %bb.2977:                             ;   in Loop: Header=BB6_49 Depth=1
	s_trap 2
	ds_read_b128 v[4:7], v0
	v_add_u32_e32 v0, v2, v0
	ds_read_b64 v[8:9], v0
	v_ashrrev_i32_e32 v13, 31, v0
	s_mov_b64 s[54:55], 0
	s_waitcnt lgkmcnt(0)
	v_add_co_u32_e32 v2, vcc, v4, v0
	v_addc_co_u32_e32 v3, vcc, v5, v13, vcc
	v_add_co_u32_e32 v10, vcc, v6, v0
	v_addc_co_u32_e32 v11, vcc, v7, v13, vcc
	;; [unrolled: 2-line block ×3, first 2 shown]
	s_branch .LBB6_2979
.LBB6_2978:                             ;   in Loop: Header=BB6_2979 Depth=2
	s_or_b64 exec, exec, s[22:23]
	v_accvgpr_read_b32 v0, a42
	v_add_co_u32_e32 v2, vcc, v2, v0
	v_accvgpr_read_b32 v5, a41
	v_addc_co_u32_e32 v3, vcc, v3, v5, vcc
	v_add_co_u32_e32 v10, vcc, v10, v0
	v_addc_co_u32_e32 v11, vcc, v11, v5, vcc
	v_sub_u32_e32 v1, v1, v0
	v_cmp_gt_i32_e32 vcc, 1, v1
	flat_store_byte v[12:13], v4 glc slc
	s_or_b64 s[54:55], vcc, s[54:55]
	v_add_co_u32_e32 v12, vcc, v12, v0
	v_addc_co_u32_e32 v13, vcc, v13, v5, vcc
	s_andn2_b64 exec, exec, s[54:55]
	s_cbranch_execz .LBB6_3034
.LBB6_2979:                             ;   Parent Loop BB6_49 Depth=1
                                        ; =>  This Inner Loop Header: Depth=2
	s_trap 2
	ds_read_b64 v[14:15], v0
	s_waitcnt lgkmcnt(0)
	v_cmp_eq_u16_sdwa vcc, v14, v39 src0_sel:BYTE_0 src1_sel:DWORD
	v_readfirstlane_b32 s22, v14
	v_readfirstlane_b32 s23, v15
	s_and_b64 vcc, exec, vcc
	s_cbranch_vccnz .LBB6_2983
; %bb.2980:                             ;   in Loop: Header=BB6_2979 Depth=2
	v_cmp_eq_u32_sdwa vcc, v14, s76 src0_sel:BYTE_0 src1_sel:DWORD
	s_and_b64 vcc, exec, vcc
	s_brev_b32 s60, 1
	s_cbranch_vccnz .LBB6_2984
; %bb.2981:                             ;   in Loop: Header=BB6_2979 Depth=2
	s_and_b32 vcc_lo, s22, 0x7f
	s_cmpk_eq_i32 vcc_lo, 0x7f
	s_mov_b32 s60, 0x7f800001
	s_cbranch_scc1 .LBB6_2984
; %bb.2982:                             ;   in Loop: Header=BB6_2979 Depth=2
	s_and_b32 vcc_hi, s22, 7
	s_flbit_i32_b32 vcc_hi, vcc_hi
	s_min_u32 vcc_hi, vcc_hi, 32
	s_lshr_b32 s56, vcc_lo, 3
	s_sub_i32 s57, vcc_hi, 28
	s_sub_i32 vcc_hi, 29, vcc_hi
	s_cmp_lt_u32 vcc_lo, 8
	s_cselect_b32 vcc_lo, s57, 0
	s_cselect_b32 s56, vcc_hi, s56
	s_lshl_b64 vcc, s[22:23], vcc_lo
	s_lshl_b32 s23, vcc_lo, 20
	s_lshl_b32 s22, s22, 24
	s_lshl_b32 vcc_lo, s56, 23
	s_and_b32 s22, s22, 0x80000000
	s_add_i32 vcc_lo, vcc_lo, 0x3c000000
	s_and_b32 s23, s23, 0x700000
	s_or_b32 s22, s22, vcc_lo
	s_or_b32 s60, s22, s23
	s_branch .LBB6_2984
.LBB6_2983:                             ;   in Loop: Header=BB6_2979 Depth=2
	s_mov_b32 s60, 0
.LBB6_2984:                             ;   in Loop: Header=BB6_2979 Depth=2
	flat_load_ubyte v0, v[2:3] glc slc
	v_mov_b32_e32 v4, 0
	s_waitcnt vmcnt(0) lgkmcnt(0)
	v_cmp_ne_u16_e32 vcc, 0, v0
	s_and_saveexec_b64 s[22:23], vcc
	s_cbranch_execz .LBB6_2990
; %bb.2985:                             ;   in Loop: Header=BB6_2979 Depth=2
	v_cmp_ne_u16_e32 vcc, s76, v0
	v_bfrev_b32_e32 v4, 1
	s_and_saveexec_b64 s[56:57], vcc
	s_cbranch_execz .LBB6_2989
; %bb.2986:                             ;   in Loop: Header=BB6_2979 Depth=2
	v_and_b32_e32 v14, 0xffff, v0
	v_and_b32_e32 v5, 0x7f, v14
	v_cmp_ne_u32_e32 vcc, s75, v5
	v_mov_b32_e32 v4, 0x7f800001
	s_and_saveexec_b64 s[58:59], vcc
	s_cbranch_execz .LBB6_2988
; %bb.2987:                             ;   in Loop: Header=BB6_2979 Depth=2
	v_and_b32_e32 v4, 7, v14
	v_ffbh_u32_e32 v6, v4
	v_min_u32_e32 v9, 32, v6
	v_subrev_u32_e32 v6, 28, v9
	v_lshlrev_b64 v[6:7], v6, v[14:15]
	v_lshrrev_b32_e32 v8, 3, v5
	v_sub_u32_e32 v7, 29, v9
	v_and_b32_e32 v6, 7, v6
	v_cmp_gt_u32_e32 vcc, 8, v5
	v_cndmask_b32_e32 v5, v8, v7, vcc
	v_cndmask_b32_e32 v4, v4, v6, vcc
	v_lshlrev_b32_e32 v0, 24, v0
	v_lshlrev_b32_e32 v4, 20, v4
	v_and_b32_e32 v0, 0x80000000, v0
	v_lshl_add_u32 v5, v5, 23, v31
	v_or3_b32 v4, v0, v5, v4
.LBB6_2988:                             ;   in Loop: Header=BB6_2979 Depth=2
	s_or_b64 exec, exec, s[58:59]
.LBB6_2989:                             ;   in Loop: Header=BB6_2979 Depth=2
	s_or_b64 exec, exec, s[56:57]
.LBB6_2990:                             ;   in Loop: Header=BB6_2979 Depth=2
	s_or_b64 exec, exec, s[22:23]
	v_mul_f32_e32 v5, s60, v4
	v_and_b32_sdwa v4, v5, s76 dst_sel:DWORD dst_unused:UNUSED_PAD src0_sel:BYTE_3 src1_sel:DWORD
	v_and_b32_e32 v6, 0x7f800000, v5
	v_mov_b32_e32 v7, v39
	v_and_b32_e32 v38, 0x7fffff, v5
	v_or_b32_e32 v0, 0x7e, v4
	v_cmp_ne_u64_e32 vcc, s[42:43], v[6:7]
	s_and_saveexec_b64 s[22:23], vcc
	s_xor_b64 s[56:57], exec, s[22:23]
	s_cbranch_execz .LBB6_3004
; %bb.2991:                             ;   in Loop: Header=BB6_2979 Depth=2
	v_and_b32_e32 v6, 0x7fffffff, v5
	v_mov_b32_e32 v7, v39
	v_cmp_gt_u64_e32 vcc, s[44:45], v[6:7]
	s_and_saveexec_b64 s[22:23], vcc
	s_xor_b64 s[58:59], exec, s[22:23]
	s_cbranch_execz .LBB6_3003
; %bb.2992:                             ;   in Loop: Header=BB6_2979 Depth=2
	v_cmp_ne_u32_e32 vcc, 0, v5
	v_mov_b32_e32 v0, 0
	s_and_saveexec_b64 s[60:61], vcc
	s_cbranch_execz .LBB6_3002
; %bb.2993:                             ;   in Loop: Header=BB6_2979 Depth=2
	v_bfe_u32 v0, v5, 23, 8
	v_sub_u32_e32 v6, 0x79, v0
	v_cmp_gt_u32_e32 vcc, s77, v0
	v_add_u32_e32 v5, 0xffffff81, v0
	v_cndmask_b32_e32 v6, 0, v6, vcc
	v_cmp_eq_u32_e32 vcc, 0, v0
	v_mov_b32_e32 v0, 0xffffff82
	v_cndmask_b32_e32 v0, v5, v0, vcc
	v_cndmask_b32_e32 v5, v6, v20, vcc
	v_or_b32_e32 v7, 0x800000, v38
	v_add_u32_e32 v6, 20, v5
	v_cndmask_b32_e32 v38, v7, v38, vcc
	v_lshlrev_b64 v[6:7], v6, -1
	v_not_b32_e32 v6, v6
	v_and_b32_e32 v8, v38, v6
	v_add_u32_e32 v6, 19, v5
	v_lshrrev_b64 v[16:17], v5, v[38:39]
	v_not_b32_e32 v7, v7
	v_lshlrev_b64 v[14:15], v6, 1
	v_lshrrev_b32_e32 v6, 23, v16
	v_and_b32_e32 v9, 0, v7
	v_add3_u32 v6, v5, v0, v6
	v_bfe_u32 v5, v16, 20, 1
	v_add_u32_e32 v5, -1, v5
	v_cmp_eq_u64_e32 vcc, v[8:9], v[14:15]
	v_cndmask_b32_e32 v5, 0, v5, vcc
	v_add_u32_e32 v5, v5, v16
	v_and_b32_e32 v5, 0xfffff, v5
	v_add_co_u32_e32 v14, vcc, v5, v16
	v_add_u32_e32 v0, 6, v6
	v_addc_co_u32_e32 v15, vcc, 0, v17, vcc
	v_cmp_ne_u32_e32 vcc, 0, v0
                                        ; implicit-def: $vgpr5
	s_and_saveexec_b64 s[22:23], vcc
	s_xor_b64 s[22:23], exec, s[22:23]
; %bb.2994:                             ;   in Loop: Header=BB6_2979 Depth=2
	v_add_u32_e32 v5, 7, v6
	v_cmp_lt_u64_e32 vcc, s[48:49], v[14:15]
	v_cndmask_b32_e32 v5, v0, v5, vcc
	v_cndmask_b32_e64 v0, 0, 1, vcc
	v_lshrrev_b64 v[14:15], v0, v[14:15]
; %bb.2995:                             ;   in Loop: Header=BB6_2979 Depth=2
	s_andn2_saveexec_b64 s[22:23], s[22:23]
; %bb.2996:                             ;   in Loop: Header=BB6_2979 Depth=2
	v_bfe_u32 v5, v14, 23, 1
; %bb.2997:                             ;   in Loop: Header=BB6_2979 Depth=2
	s_or_b64 exec, exec, s[22:23]
	v_lshrrev_b64 v[6:7], 20, v[14:15]
	v_cmp_gt_i32_e32 vcc, 16, v5
	v_cndmask_b32_e32 v15, 0, v7, vcc
	v_cndmask_b32_e32 v14, 7, v6, vcc
	v_cmp_ne_u32_e32 vcc, 0, v5
	v_cmp_ne_u64_e64 s[22:23], 0, v[14:15]
	s_or_b64 s[22:23], vcc, s[22:23]
                                        ; implicit-def: $vgpr0
	s_and_saveexec_b64 vcc, s[22:23]
	s_xor_b64 s[22:23], exec, vcc
; %bb.2998:                             ;   in Loop: Header=BB6_2979 Depth=2
	v_min_i32_e32 v0, 15, v5
	v_lshl_or_b32 v0, v0, 3, v4
	v_and_or_b32 v0, v14, 7, v0
                                        ; implicit-def: $vgpr4
; %bb.2999:                             ;   in Loop: Header=BB6_2979 Depth=2
	s_andn2_saveexec_b64 s[22:23], s[22:23]
; %bb.3000:                             ;   in Loop: Header=BB6_2979 Depth=2
	v_mov_b32_e32 v0, v4
; %bb.3001:                             ;   in Loop: Header=BB6_2979 Depth=2
	s_or_b64 exec, exec, s[22:23]
.LBB6_3002:                             ;   in Loop: Header=BB6_2979 Depth=2
	s_or_b64 exec, exec, s[60:61]
.LBB6_3003:                             ;   in Loop: Header=BB6_2979 Depth=2
	s_andn2_saveexec_b64 s[22:23], s[58:59]
	s_or_b64 exec, exec, s[22:23]
                                        ; implicit-def: $vgpr5
.LBB6_3004:                             ;   in Loop: Header=BB6_2979 Depth=2
	s_andn2_saveexec_b64 s[22:23], s[56:57]
; %bb.3005:                             ;   in Loop: Header=BB6_2979 Depth=2
	v_or_b32_sdwa v4, v5, s75 dst_sel:DWORD dst_unused:UNUSED_PAD src0_sel:BYTE_3 src1_sel:DWORD
	v_cmp_eq_u64_e32 vcc, 0, v[38:39]
	v_cndmask_b32_e32 v0, v4, v0, vcc
; %bb.3006:                             ;   in Loop: Header=BB6_2979 Depth=2
	s_or_b64 exec, exec, s[22:23]
	flat_load_ubyte v5, v[10:11] glc slc
	v_and_b32_e32 v14, 0xff, v0
	v_cmp_ne_u16_e32 vcc, 0, v14
	v_mov_b32_e32 v4, 0
	v_mov_b32_e32 v6, 0
	s_and_saveexec_b64 s[22:23], vcc
	s_cbranch_execz .LBB6_3012
; %bb.3007:                             ;   in Loop: Header=BB6_2979 Depth=2
	v_cmp_ne_u16_e32 vcc, s76, v14
	v_bfrev_b32_e32 v6, 1
	s_and_saveexec_b64 s[56:57], vcc
	s_cbranch_execz .LBB6_3011
; %bb.3008:                             ;   in Loop: Header=BB6_2979 Depth=2
	v_and_b32_e32 v7, 0x7f, v0
	v_cmp_ne_u32_e32 vcc, s75, v7
	v_mov_b32_e32 v6, 0x7f800001
	s_and_saveexec_b64 s[58:59], vcc
	s_cbranch_execz .LBB6_3010
; %bb.3009:                             ;   in Loop: Header=BB6_2979 Depth=2
	v_and_b32_e32 v6, 7, v14
	v_ffbh_u32_e32 v8, v6
	v_min_u32_e32 v16, 32, v8
	v_lshrrev_b32_e32 v15, 3, v7
	v_subrev_u32_e32 v8, 28, v16
	v_lshlrev_b64 v[8:9], v8, v[14:15]
	v_sub_u32_e32 v9, 29, v16
	v_and_b32_e32 v8, 7, v8
	v_cmp_gt_u32_e32 vcc, 8, v7
	v_cndmask_b32_e32 v7, v15, v9, vcc
	v_cndmask_b32_e32 v6, v6, v8, vcc
	v_lshlrev_b32_e32 v0, 24, v0
	v_lshlrev_b32_e32 v6, 20, v6
	v_and_b32_e32 v0, 0x80000000, v0
	v_lshl_add_u32 v7, v7, 23, v31
	v_or3_b32 v6, v0, v7, v6
.LBB6_3010:                             ;   in Loop: Header=BB6_2979 Depth=2
	s_or_b64 exec, exec, s[58:59]
.LBB6_3011:                             ;   in Loop: Header=BB6_2979 Depth=2
	s_or_b64 exec, exec, s[56:57]
.LBB6_3012:                             ;   in Loop: Header=BB6_2979 Depth=2
	s_or_b64 exec, exec, s[22:23]
	s_waitcnt vmcnt(0) lgkmcnt(0)
	v_and_b32_e32 v14, 0xff, v5
	v_cmp_ne_u16_e32 vcc, 0, v14
	s_and_saveexec_b64 s[22:23], vcc
	s_cbranch_execz .LBB6_3018
; %bb.3013:                             ;   in Loop: Header=BB6_2979 Depth=2
	v_cmp_ne_u16_e32 vcc, s76, v14
	v_bfrev_b32_e32 v4, 1
	s_and_saveexec_b64 s[56:57], vcc
	s_cbranch_execz .LBB6_3017
; %bb.3014:                             ;   in Loop: Header=BB6_2979 Depth=2
	v_and_b32_e32 v0, 0x7f, v5
	v_cmp_ne_u32_e32 vcc, s75, v0
	v_mov_b32_e32 v4, 0x7f800001
	s_and_saveexec_b64 s[58:59], vcc
	s_cbranch_execz .LBB6_3016
; %bb.3015:                             ;   in Loop: Header=BB6_2979 Depth=2
	v_and_b32_e32 v7, 7, v14
	v_lshlrev_b32_e32 v4, 24, v5
	v_and_b32_e32 v9, 0x80000000, v4
	v_ffbh_u32_e32 v4, v7
	v_min_u32_e32 v15, 32, v4
	v_subrev_u32_e32 v4, 28, v15
	v_lshlrev_b64 v[4:5], v4, v[14:15]
	v_lshrrev_b32_e32 v8, 3, v0
	v_sub_u32_e32 v5, 29, v15
	v_and_b32_e32 v4, 7, v4
	v_cmp_gt_u32_e32 vcc, 8, v0
	v_cndmask_b32_e32 v0, v8, v5, vcc
	v_cndmask_b32_e32 v4, v7, v4, vcc
	v_lshlrev_b32_e32 v4, 20, v4
	v_lshl_add_u32 v0, v0, 23, v31
	v_or3_b32 v4, v9, v0, v4
.LBB6_3016:                             ;   in Loop: Header=BB6_2979 Depth=2
	s_or_b64 exec, exec, s[58:59]
.LBB6_3017:                             ;   in Loop: Header=BB6_2979 Depth=2
	s_or_b64 exec, exec, s[56:57]
.LBB6_3018:                             ;   in Loop: Header=BB6_2979 Depth=2
	s_or_b64 exec, exec, s[22:23]
	v_add_f32_e32 v5, v6, v4
	v_and_b32_sdwa v0, v5, s76 dst_sel:DWORD dst_unused:UNUSED_PAD src0_sel:BYTE_3 src1_sel:DWORD
	v_and_b32_e32 v6, 0x7f800000, v5
	v_mov_b32_e32 v7, v39
	v_and_b32_e32 v38, 0x7fffff, v5
	v_or_b32_e32 v4, 0x7e, v0
	v_cmp_ne_u64_e32 vcc, s[42:43], v[6:7]
	s_and_saveexec_b64 s[22:23], vcc
	s_xor_b64 s[56:57], exec, s[22:23]
	s_cbranch_execz .LBB6_3032
; %bb.3019:                             ;   in Loop: Header=BB6_2979 Depth=2
	v_and_b32_e32 v6, 0x7fffffff, v5
	v_mov_b32_e32 v7, v39
	v_cmp_gt_u64_e32 vcc, s[44:45], v[6:7]
	s_and_saveexec_b64 s[22:23], vcc
	s_xor_b64 s[58:59], exec, s[22:23]
	s_cbranch_execz .LBB6_3031
; %bb.3020:                             ;   in Loop: Header=BB6_2979 Depth=2
	v_cmp_ne_u32_e32 vcc, 0, v5
	v_mov_b32_e32 v4, 0
	s_and_saveexec_b64 s[60:61], vcc
	s_cbranch_execz .LBB6_3030
; %bb.3021:                             ;   in Loop: Header=BB6_2979 Depth=2
	v_bfe_u32 v4, v5, 23, 8
	v_sub_u32_e32 v6, 0x79, v4
	v_cmp_gt_u32_e32 vcc, s77, v4
	v_cndmask_b32_e32 v6, 0, v6, vcc
	v_cmp_eq_u32_e32 vcc, 0, v4
	v_add_u32_e32 v5, 0xffffff81, v4
	v_mov_b32_e32 v4, 0xffffff82
	v_cndmask_b32_e32 v6, v6, v20, vcc
	v_cndmask_b32_e32 v18, v5, v4, vcc
	v_add_u32_e32 v4, 20, v6
	v_or_b32_e32 v7, 0x800000, v38
	v_lshlrev_b64 v[4:5], v4, -1
	v_cndmask_b32_e32 v38, v7, v38, vcc
	v_not_b32_e32 v4, v4
	v_not_b32_e32 v5, v5
	v_and_b32_e32 v8, v38, v4
	v_add_u32_e32 v4, 19, v6
	v_lshrrev_b64 v[16:17], v6, v[38:39]
	v_and_b32_e32 v9, 0, v5
	v_lshlrev_b64 v[14:15], v4, 1
	v_bfe_u32 v5, v16, 20, 1
	v_add_u32_e32 v5, -1, v5
	v_cmp_eq_u64_e32 vcc, v[8:9], v[14:15]
	v_cndmask_b32_e32 v5, 0, v5, vcc
	v_add_u32_e32 v5, v5, v16
	v_lshrrev_b32_e32 v4, 23, v16
	v_and_b32_e32 v5, 0xfffff, v5
	v_add3_u32 v6, v6, v18, v4
	v_add_co_u32_e32 v14, vcc, v5, v16
	v_add_u32_e32 v4, 6, v6
	v_addc_co_u32_e32 v15, vcc, 0, v17, vcc
	v_cmp_ne_u32_e32 vcc, 0, v4
                                        ; implicit-def: $vgpr5
	s_and_saveexec_b64 s[22:23], vcc
	s_xor_b64 s[22:23], exec, s[22:23]
; %bb.3022:                             ;   in Loop: Header=BB6_2979 Depth=2
	v_add_u32_e32 v5, 7, v6
	v_cmp_lt_u64_e32 vcc, s[48:49], v[14:15]
	v_cndmask_b32_e32 v5, v4, v5, vcc
	v_cndmask_b32_e64 v4, 0, 1, vcc
	v_lshrrev_b64 v[14:15], v4, v[14:15]
; %bb.3023:                             ;   in Loop: Header=BB6_2979 Depth=2
	s_andn2_saveexec_b64 s[22:23], s[22:23]
; %bb.3024:                             ;   in Loop: Header=BB6_2979 Depth=2
	v_bfe_u32 v5, v14, 23, 1
; %bb.3025:                             ;   in Loop: Header=BB6_2979 Depth=2
	s_or_b64 exec, exec, s[22:23]
	v_lshrrev_b64 v[6:7], 20, v[14:15]
	v_cmp_gt_i32_e32 vcc, 16, v5
	v_cndmask_b32_e32 v15, 0, v7, vcc
	v_cndmask_b32_e32 v14, 7, v6, vcc
	v_cmp_ne_u32_e32 vcc, 0, v5
	v_cmp_ne_u64_e64 s[22:23], 0, v[14:15]
	s_or_b64 s[22:23], vcc, s[22:23]
                                        ; implicit-def: $vgpr4
	s_and_saveexec_b64 vcc, s[22:23]
	s_xor_b64 s[22:23], exec, vcc
; %bb.3026:                             ;   in Loop: Header=BB6_2979 Depth=2
	v_min_i32_e32 v4, 15, v5
	v_lshl_or_b32 v0, v4, 3, v0
	v_and_or_b32 v4, v14, 7, v0
                                        ; implicit-def: $vgpr0
; %bb.3027:                             ;   in Loop: Header=BB6_2979 Depth=2
	s_andn2_saveexec_b64 s[22:23], s[22:23]
; %bb.3028:                             ;   in Loop: Header=BB6_2979 Depth=2
	v_mov_b32_e32 v4, v0
; %bb.3029:                             ;   in Loop: Header=BB6_2979 Depth=2
	s_or_b64 exec, exec, s[22:23]
.LBB6_3030:                             ;   in Loop: Header=BB6_2979 Depth=2
	s_or_b64 exec, exec, s[60:61]
.LBB6_3031:                             ;   in Loop: Header=BB6_2979 Depth=2
	s_andn2_saveexec_b64 s[22:23], s[58:59]
	s_or_b64 exec, exec, s[22:23]
                                        ; implicit-def: $vgpr5
.LBB6_3032:                             ;   in Loop: Header=BB6_2979 Depth=2
	s_andn2_saveexec_b64 s[22:23], s[56:57]
	s_cbranch_execz .LBB6_2978
; %bb.3033:                             ;   in Loop: Header=BB6_2979 Depth=2
	v_or_b32_sdwa v0, v5, s75 dst_sel:DWORD dst_unused:UNUSED_PAD src0_sel:BYTE_3 src1_sel:DWORD
	v_cmp_eq_u64_e32 vcc, 0, v[38:39]
	v_cndmask_b32_e32 v4, v0, v4, vcc
	s_branch .LBB6_2978
.LBB6_3034:                             ;   in Loop: Header=BB6_49 Depth=1
	s_or_b64 exec, exec, s[24:25]
	v_accvgpr_read_b32 v0, a43
	v_cmp_ne_u32_e64 s[22:23], 0, v0
	v_accvgpr_read_b32 v14, a48
.LBB6_3035:                             ;   in Loop: Header=BB6_49 Depth=1
	s_and_saveexec_b64 s[24:25], s[12:13]
	s_cbranch_execz .LBB6_3054
; %bb.3036:                             ;   in Loop: Header=BB6_49 Depth=1
	s_and_saveexec_b64 vcc, s[36:37]
	s_xor_b64 s[54:55], exec, vcc
	s_cbranch_execz .LBB6_3051
; %bb.3037:                             ;   in Loop: Header=BB6_49 Depth=1
	s_and_saveexec_b64 s[56:57], s[14:15]
	s_cbranch_execz .LBB6_3050
; %bb.3038:                             ;   in Loop: Header=BB6_49 Depth=1
	s_mov_b64 s[60:61], exec
	v_mbcnt_lo_u32_b32 v0, s60, 0
	v_mbcnt_hi_u32_b32 v0, s61, v0
	v_cmp_eq_u32_e32 vcc, 0, v0
	s_waitcnt vmcnt(0) lgkmcnt(0)
	buffer_wbinvl1_vol
	s_and_saveexec_b64 s[58:59], vcc
	s_cbranch_execz .LBB6_3040
; %bb.3039:                             ;   in Loop: Header=BB6_49 Depth=1
	s_bcnt1_i32_b64 vcc_lo, s[60:61]
	v_mov_b32_e32 v38, vcc_lo
	ds_add_u64 v0, v[38:39]
	s_trap 2
.LBB6_3040:                             ;   in Loop: Header=BB6_49 Depth=1
	s_or_b64 exec, exec, s[58:59]
	s_trap 2
	ds_read_b64 v[0:1], v0
	v_accvgpr_read_b32 v2, a26
	v_accvgpr_read_b32 v4, a32
	;; [unrolled: 1-line block ×3, first 2 shown]
	v_add_co_u32_e32 v2, vcc, v2, v4
	v_addc_co_u32_e32 v3, vcc, 0, v3, vcc
	v_accvgpr_write_b32 a27, v3
	v_accvgpr_write_b32 a26, v2
	s_waitcnt lgkmcnt(0)
	v_cmp_lt_u64_e32 vcc, v[0:1], v[2:3]
	s_and_saveexec_b64 s[58:59], vcc
	s_cbranch_execz .LBB6_3049
; %bb.3041:                             ;   in Loop: Header=BB6_49 Depth=1
	s_mov_b32 s81, 0
	s_mov_b64 s[60:61], 0
                                        ; implicit-def: $sgpr62_sgpr63
                                        ; implicit-def: $sgpr64_sgpr65
	s_branch .LBB6_3043
.LBB6_3042:                             ;   in Loop: Header=BB6_3043 Depth=2
	s_or_b64 exec, exec, s[68:69]
	s_and_b64 vcc, exec, vcc
	s_or_b64 s[60:61], vcc, s[60:61]
	s_andn2_b64 vcc, s[62:63], exec
	s_and_b64 s[62:63], s[64:65], exec
	s_or_b64 s[62:63], vcc, s[62:63]
	s_andn2_b64 exec, exec, s[60:61]
	s_cbranch_execz .LBB6_3047
.LBB6_3043:                             ;   Parent Loop BB6_49 Depth=1
                                        ; =>  This Inner Loop Header: Depth=2
	s_add_i32 s81, s81, 1
	s_cmpk_lg_i32 s81, 0x2710
	s_cselect_b64 s[66:67], -1, 0
	s_and_b64 vcc, exec, s[66:67]
                                        ; implicit-def: $sgpr68_sgpr69
	s_cbranch_vccnz .LBB6_3045
; %bb.3044:                             ;   in Loop: Header=BB6_3043 Depth=2
	s_trap 2
	ds_read_b64 v[0:1], v0
	s_andn2_b64 s[66:67], s[66:67], exec
	s_mov_b32 s81, 0
	s_mov_b64 s[68:69], -1
	s_waitcnt lgkmcnt(0)
	flat_load_dword v0, v[0:1] glc
	s_waitcnt vmcnt(0) lgkmcnt(0)
	buffer_invl2
	buffer_wbinvl1_vol
	v_cmp_eq_u32_e32 vcc, 0, v0
	s_and_b64 vcc, vcc, exec
	s_or_b64 s[66:67], s[66:67], vcc
.LBB6_3045:                             ;   in Loop: Header=BB6_3043 Depth=2
	s_andn2_b64 s[64:65], s[64:65], exec
	s_and_b64 s[68:69], s[68:69], exec
	s_mov_b64 vcc, -1
	s_or_b64 s[64:65], s[64:65], s[68:69]
	s_and_saveexec_b64 s[68:69], s[66:67]
	s_cbranch_execz .LBB6_3042
; %bb.3046:                             ;   in Loop: Header=BB6_3043 Depth=2
	s_sleep 1
	s_trap 2
	ds_read_b64 v[0:1], v0
	v_accvgpr_read_b32 v2, a26
	v_accvgpr_read_b32 v3, a27
	s_andn2_b64 s[64:65], s[64:65], exec
	s_waitcnt lgkmcnt(0)
	v_cmp_ge_u64_e32 vcc, v[0:1], v[2:3]
	s_orn2_b64 vcc, vcc, exec
	s_branch .LBB6_3042
.LBB6_3047:                             ;   in Loop: Header=BB6_49 Depth=1
	s_or_b64 exec, exec, s[60:61]
	s_and_saveexec_b64 vcc, s[62:63]
	s_xor_b64 vcc, exec, vcc
	s_cbranch_execz .LBB6_3049
; %bb.3048:                             ;   in Loop: Header=BB6_49 Depth=1
	v_mov_b32_e32 v0, 1
	ds_write_b32 v0, v0
	s_trap 2
.LBB6_3049:                             ;   in Loop: Header=BB6_49 Depth=1
	s_or_b64 exec, exec, s[58:59]
	;;#ASMSTART
	s_wakeup
	;;#ASMEND
.LBB6_3050:                             ;   in Loop: Header=BB6_49 Depth=1
	s_or_b64 exec, exec, s[56:57]
.LBB6_3051:                             ;   in Loop: Header=BB6_49 Depth=1
	s_andn2_saveexec_b64 vcc, s[54:55]
	s_cbranch_execz .LBB6_3053
; %bb.3052:                             ;   in Loop: Header=BB6_49 Depth=1
	s_waitcnt vmcnt(0) lgkmcnt(0)
	buffer_wbinvl1_vol
	s_barrier
.LBB6_3053:                             ;   in Loop: Header=BB6_49 Depth=1
	s_or_b64 exec, exec, vcc
.LBB6_3054:                             ;   in Loop: Header=BB6_49 Depth=1
	s_or_b64 exec, exec, s[24:25]
	v_accvgpr_read_b32 v0, a4
	v_and_b32_e32 v0, 16, v0
	v_cmp_ne_u32_e32 vcc, 0, v0
	s_and_b64 s[24:25], vcc, s[22:23]
	s_and_saveexec_b64 s[22:23], s[24:25]
	s_cbranch_execz .LBB6_3056
; %bb.3055:                             ;   in Loop: Header=BB6_49 Depth=1
	s_waitcnt vmcnt(0) lgkmcnt(0)
	buffer_wbinvl1_vol
.LBB6_3056:                             ;   in Loop: Header=BB6_49 Depth=1
	s_or_b64 exec, exec, s[22:23]
	v_cmp_ne_u32_e32 vcc, 0, v0
	s_xor_b64 s[22:23], s[20:21], -1
	s_and_b64 s[24:25], vcc, s[22:23]
	s_and_saveexec_b64 s[22:23], s[24:25]
	s_cbranch_execz .LBB6_3058
; %bb.3057:                             ;   in Loop: Header=BB6_49 Depth=1
	v_accvgpr_read_b32 v0, a30
	v_accvgpr_read_b32 v1, a31
	v_mov_b32_e32 v2, 1
	flat_store_dword v[0:1], v2
.LBB6_3058:                             ;   in Loop: Header=BB6_49 Depth=1
	s_or_b64 exec, exec, s[22:23]
	v_accvgpr_read_b32 v0, a4
	v_and_b32_e32 v0, 48, v0
	v_cmp_ne_u32_e32 vcc, 0, v0
	s_and_saveexec_b64 s[22:23], vcc
	s_cbranch_execz .LBB6_3060
; %bb.3059:                             ;   in Loop: Header=BB6_49 Depth=1
	v_accvgpr_read_b32 v0, a14
	v_accvgpr_read_b32 v2, a16
	;; [unrolled: 1-line block ×3, first 2 shown]
	v_add_co_u32_e32 v2, vcc, 1, v2
	v_addc_co_u32_e32 v3, vcc, 0, v3, vcc
	v_accvgpr_read_b32 v1, a15
	v_accvgpr_write_b32 a17, v3
	v_accvgpr_write_b32 a16, v2
	;; [unrolled: 1-line block ×4, first 2 shown]
	v_accvgpr_read_b32 v0, a18
	v_accvgpr_read_b32 v1, a19
	flat_store_dwordx2 v[0:1], v[2:3]
.LBB6_3060:                             ;   in Loop: Header=BB6_49 Depth=1
	s_or_b64 exec, exec, s[22:23]
	v_mov_b32_e32 v0, v14
.LBB6_3061:                             ;   in Loop: Header=BB6_49 Depth=1
	s_or_b64 exec, exec, s[52:53]
	s_and_saveexec_b64 s[24:25], s[50:51]
	s_cbranch_execz .LBB6_48
; %bb.3062:                             ;   in Loop: Header=BB6_49 Depth=1
	v_accvgpr_read_b32 v1, a4
	v_and_b32_e32 v1, 12, v1
	v_cmp_ne_u32_e32 vcc, 0, v1
	s_mov_b64 s[50:51], -1
	s_and_saveexec_b64 s[22:23], vcc
	s_cbranch_execz .LBB6_3074
; %bb.3063:                             ;   in Loop: Header=BB6_49 Depth=1
	v_accvgpr_read_b32 v1, a4
	v_and_b32_e32 v2, 8, v1
	v_accvgpr_read_b32 v4, a24
	v_accvgpr_read_b32 v5, a25
	v_add_co_u32_e32 v4, vcc, v4, v2
	v_accvgpr_read_b32 v6, a14
	v_addc_co_u32_e32 v5, vcc, 0, v5, vcc
	v_accvgpr_read_b32 v8, a16
	v_accvgpr_read_b32 v9, a17
	v_add_co_u32_e32 v10, vcc, 1, v8
	v_addc_co_u32_e32 v11, vcc, 0, v9, vcc
	v_cmp_lt_u64_e32 vcc, v[4:5], v[10:11]
	v_mov_b32_e32 v1, 1
	v_accvgpr_read_b32 v7, a15
	s_and_saveexec_b64 s[50:51], vcc
	s_cbranch_execz .LBB6_3073
; %bb.3064:                             ;   in Loop: Header=BB6_49 Depth=1
	s_mov_b64 s[52:53], 0
	v_mov_b32_e32 v1, 0
                                        ; implicit-def: $sgpr54_sgpr55
	s_branch .LBB6_3068
.LBB6_3065:                             ;   in Loop: Header=BB6_3068 Depth=2
	s_or_b64 exec, exec, s[62:63]
	v_mov_b32_e32 v3, 0
	s_orn2_b64 s[60:61], s[60:61], exec
.LBB6_3066:                             ;   in Loop: Header=BB6_3068 Depth=2
	s_or_b64 exec, exec, s[58:59]
	s_andn2_b64 vcc, s[54:55], exec
	s_and_b64 s[54:55], s[60:61], exec
	s_or_b64 s[54:55], vcc, s[54:55]
	v_mov_b32_e32 v1, v3
.LBB6_3067:                             ;   in Loop: Header=BB6_3068 Depth=2
	s_or_b64 exec, exec, s[56:57]
	s_waitcnt vmcnt(0) lgkmcnt(0)
	v_accvgpr_read_b32 v4, a24
	v_accvgpr_read_b32 v5, a25
	v_add_co_u32_e32 v4, vcc, v4, v2
	v_addc_co_u32_e32 v5, vcc, 0, v5, vcc
	v_cmp_ge_u64_e32 vcc, v[4:5], v[10:11]
	s_xor_b64 s[56:57], s[54:55], -1
	s_or_b64 vcc, s[56:57], vcc
	s_and_b64 vcc, exec, vcc
	s_or_b64 s[52:53], vcc, s[52:53]
	s_andn2_b64 exec, exec, s[52:53]
	s_cbranch_execz .LBB6_3072
.LBB6_3068:                             ;   Parent Loop BB6_49 Depth=1
                                        ; =>  This Inner Loop Header: Depth=2
	v_accvgpr_read_b32 v4, a18
	v_accvgpr_read_b32 v5, a19
	s_sleep 1
	flat_load_dwordx2 a[24:25], v[4:5] glc
	v_accvgpr_read_b32 v3, a4
	v_and_b32_e32 v3, 64, v3
	v_cmp_eq_u32_e32 vcc, 0, v3
	s_andn2_b64 s[54:55], s[54:55], exec
	s_and_saveexec_b64 s[56:57], vcc
	s_cbranch_execz .LBB6_3067
; %bb.3069:                             ;   in Loop: Header=BB6_3068 Depth=2
	v_add_u32_e32 v3, 1, v1
	v_cmp_lt_i32_e32 vcc, s73, v1
	s_mov_b64 s[60:61], -1
	s_and_saveexec_b64 s[58:59], vcc
	s_cbranch_execz .LBB6_3066
; %bb.3070:                             ;   in Loop: Header=BB6_3068 Depth=2
	s_trap 2
	ds_read_b64 v[4:5], v0
	s_waitcnt vmcnt(0) lgkmcnt(0)
	flat_load_dword v1, v[4:5] glc
	s_waitcnt vmcnt(0) lgkmcnt(0)
	buffer_invl2
	buffer_wbinvl1_vol
	v_cmp_ne_u32_e32 vcc, 0, v1
	s_and_saveexec_b64 s[62:63], vcc
	s_cbranch_execz .LBB6_3065
; %bb.3071:                             ;   in Loop: Header=BB6_3068 Depth=2
	v_accvgpr_read_b32 v3, a4
	v_or_b32_e32 v3, 64, v3
	v_accvgpr_write_b32 a4, v3
	s_xor_b64 s[60:61], exec, -1
	ds_write_b32 v0, v1
	s_trap 2
	s_branch .LBB6_3065
.LBB6_3072:                             ;   in Loop: Header=BB6_49 Depth=1
	s_or_b64 exec, exec, s[52:53]
	v_accvgpr_read_b32 v1, a4
	v_and_b32_e32 v1, 12, v1
.LBB6_3073:                             ;   in Loop: Header=BB6_49 Depth=1
	s_or_b64 exec, exec, s[50:51]
	v_cmp_eq_u32_e32 vcc, 0, v1
	s_orn2_b64 s[50:51], vcc, exec
	;;#ASMSTART
	s_wakeup
	;;#ASMEND
.LBB6_3074:                             ;   in Loop: Header=BB6_49 Depth=1
	s_or_b64 exec, exec, s[22:23]
	v_accvgpr_read_b32 v2, a46
	v_sub_u32_e32 v0, v2, v0
	s_xor_b64 s[22:23], s[50:51], -1
	v_min_i32_e32 v2, v14, v0
	s_and_saveexec_b64 s[50:51], s[22:23]
	s_cbranch_execz .LBB6_3086
; %bb.3075:                             ;   in Loop: Header=BB6_49 Depth=1
	v_accvgpr_read_b32 v0, a4
	v_accvgpr_read_b32 v4, a14
	v_and_b32_e32 v0, 0x108, v0
	v_accvgpr_read_b32 v6, a16
	v_cmp_ne_u32_e32 vcc, s74, v0
	v_and_b32_e32 v10, 7, v6
	v_accvgpr_read_b32 v5, a15
	v_accvgpr_read_b32 v7, a17
	s_and_saveexec_b64 s[22:23], vcc
	s_xor_b64 s[22:23], exec, s[22:23]
	s_andn2_saveexec_b64 s[22:23], s[22:23]
	s_cbranch_execz .LBB6_3077
; %bb.3076:                             ;   in Loop: Header=BB6_49 Depth=1
	v_accvgpr_read_b32 v4, a14
	v_accvgpr_read_b32 v5, a15
	v_mad_u64_u32 v[0:1], vcc, v10, 24, v[4:5]
	v_ashrrev_i32_e32 v3, 31, v2
	v_accvgpr_read_b32 v6, a16
	v_accvgpr_read_b32 v7, a17
	flat_store_dwordx2 v[0:1], v[2:3] offset:8
.LBB6_3077:                             ;   in Loop: Header=BB6_49 Depth=1
	s_or_b64 exec, exec, s[22:23]
	v_accvgpr_read_b32 v0, a4
	v_and_b32_e32 v0, 0x100, v0
	v_cmp_ne_u32_e32 vcc, 0, v0
	s_mov_b64 s[22:23], -1
                                        ; implicit-def: $vgpr12_vgpr13
	s_and_saveexec_b64 s[52:53], vcc
	s_cbranch_execz .LBB6_3081
; %bb.3078:                             ;   in Loop: Header=BB6_49 Depth=1
	v_accvgpr_read_b32 v4, a14
	v_accvgpr_read_b32 v5, a15
	v_mad_u64_u32 v[14:15], s[22:23], v10, 24, v[4:5]
	v_mov_b32_e32 v0, v15
	v_mad_u64_u32 v[0:1], s[22:23], v39, 24, v[0:1]
	v_mov_b32_e32 v15, v0
	flat_load_dword v0, v[14:15]
	v_accvgpr_read_b32 v6, a16
	v_accvgpr_read_b32 v7, a17
                                        ; implicit-def: $vgpr12_vgpr13
	s_waitcnt vmcnt(0) lgkmcnt(0)
	v_cmp_ne_u32_e32 vcc, 1, v0
	v_cmp_eq_u32_e64 s[22:23], 1, v0
	s_and_saveexec_b64 s[54:55], s[22:23]
	s_cbranch_execz .LBB6_3080
; %bb.3079:                             ;   in Loop: Header=BB6_49 Depth=1
	flat_load_dword v12, v[14:15] offset:4 glc
	s_waitcnt vmcnt(0) lgkmcnt(0)
	v_ashrrev_i32_e32 v13, 31, v12
.LBB6_3080:                             ;   in Loop: Header=BB6_49 Depth=1
	s_or_b64 exec, exec, s[54:55]
	s_orn2_b64 s[22:23], vcc, exec
.LBB6_3081:                             ;   in Loop: Header=BB6_49 Depth=1
	s_or_b64 exec, exec, s[52:53]
	s_and_saveexec_b64 vcc, s[22:23]
; %bb.3082:                             ;   in Loop: Header=BB6_49 Depth=1
	v_accvgpr_read_b32 v4, a20
	v_mul_lo_u32 v0, v39, v4
	v_mul_lo_u32 v1, v10, v57
	v_mad_u64_u32 v[12:13], s[22:23], v10, v4, 0
	v_add3_u32 v13, v13, v1, v0
; %bb.3083:                             ;   in Loop: Header=BB6_49 Depth=1
	s_or_b64 exec, exec, vcc
	v_accvgpr_read_b32 v0, a22
	v_accvgpr_read_b32 v1, a23
	v_add_co_u32_e32 v0, vcc, v0, v12
	v_addc_co_u32_e32 v1, vcc, v1, v13, vcc
	s_trap 2
	ds_write_b64 v0, v[0:1]
	v_accvgpr_read_b32 v0, a4
	v_and_b32_e32 v0, 0x2000, v0
	v_cmp_ne_u32_e32 vcc, 0, v0
	s_and_saveexec_b64 s[22:23], vcc
	s_cbranch_execz .LBB6_3085
; %bb.3084:                             ;   in Loop: Header=BB6_49 Depth=1
	ds_read_b64 v[0:1], v0 offset:584
	s_waitcnt lgkmcnt(0)
	v_add_co_u32_e32 v0, vcc, 1, v0
	v_addc_co_u32_e32 v1, vcc, 0, v1, vcc
	ds_write_b64 v0, v[0:1] offset:584
.LBB6_3085:                             ;   in Loop: Header=BB6_49 Depth=1
	s_or_b64 exec, exec, s[22:23]
	v_accvgpr_read_b32 v4, a14
	v_accvgpr_read_b32 v6, a16
	;; [unrolled: 1-line block ×3, first 2 shown]
	v_add_co_u32_e32 v6, vcc, 1, v6
	v_addc_co_u32_e32 v7, vcc, 0, v7, vcc
	v_accvgpr_read_b32 v5, a15
	v_accvgpr_write_b32 a17, v7
	v_accvgpr_write_b32 a16, v6
	;; [unrolled: 1-line block ×4, first 2 shown]
.LBB6_3086:                             ;   in Loop: Header=BB6_49 Depth=1
	s_or_b64 exec, exec, s[50:51]
	s_and_saveexec_b64 s[22:23], s[12:13]
	s_cbranch_execz .LBB6_3105
; %bb.3087:                             ;   in Loop: Header=BB6_49 Depth=1
	s_and_saveexec_b64 vcc, s[36:37]
	s_xor_b64 s[50:51], exec, vcc
	s_cbranch_execz .LBB6_3102
; %bb.3088:                             ;   in Loop: Header=BB6_49 Depth=1
	s_and_saveexec_b64 s[52:53], s[14:15]
	s_cbranch_execz .LBB6_3101
; %bb.3089:                             ;   in Loop: Header=BB6_49 Depth=1
	s_mov_b64 s[56:57], exec
	v_mbcnt_lo_u32_b32 v0, s56, 0
	v_mbcnt_hi_u32_b32 v0, s57, v0
	v_cmp_eq_u32_e32 vcc, 0, v0
	s_waitcnt vmcnt(0) lgkmcnt(0)
	buffer_wbinvl1_vol
	s_and_saveexec_b64 s[54:55], vcc
	s_cbranch_execz .LBB6_3091
; %bb.3090:                             ;   in Loop: Header=BB6_49 Depth=1
	s_bcnt1_i32_b64 vcc_lo, s[56:57]
	v_mov_b32_e32 v38, vcc_lo
	ds_add_u64 v0, v[38:39]
	s_trap 2
.LBB6_3091:                             ;   in Loop: Header=BB6_49 Depth=1
	s_or_b64 exec, exec, s[54:55]
	s_trap 2
	ds_read_b64 v[0:1], v0
	v_accvgpr_read_b32 v4, a26
	v_accvgpr_read_b32 v6, a32
	;; [unrolled: 1-line block ×3, first 2 shown]
	v_add_co_u32_e32 v4, vcc, v4, v6
	v_addc_co_u32_e32 v5, vcc, 0, v5, vcc
	v_accvgpr_write_b32 a27, v5
	v_accvgpr_write_b32 a26, v4
	s_waitcnt lgkmcnt(0)
	v_cmp_lt_u64_e32 vcc, v[0:1], v[4:5]
	s_and_saveexec_b64 s[54:55], vcc
	s_cbranch_execz .LBB6_3100
; %bb.3092:                             ;   in Loop: Header=BB6_49 Depth=1
	s_mov_b32 s66, 0
	s_mov_b64 s[56:57], 0
                                        ; implicit-def: $sgpr58_sgpr59
                                        ; implicit-def: $sgpr60_sgpr61
	s_branch .LBB6_3094
.LBB6_3093:                             ;   in Loop: Header=BB6_3094 Depth=2
	s_or_b64 exec, exec, s[64:65]
	s_and_b64 vcc, exec, vcc
	s_or_b64 s[56:57], vcc, s[56:57]
	s_andn2_b64 vcc, s[58:59], exec
	s_and_b64 s[58:59], s[60:61], exec
	s_or_b64 s[58:59], vcc, s[58:59]
	s_andn2_b64 exec, exec, s[56:57]
	s_cbranch_execz .LBB6_3098
.LBB6_3094:                             ;   Parent Loop BB6_49 Depth=1
                                        ; =>  This Inner Loop Header: Depth=2
	s_add_i32 s66, s66, 1
	s_cmpk_lg_i32 s66, 0x2710
	s_cselect_b64 s[62:63], -1, 0
	s_and_b64 vcc, exec, s[62:63]
                                        ; implicit-def: $sgpr64_sgpr65
	s_cbranch_vccnz .LBB6_3096
; %bb.3095:                             ;   in Loop: Header=BB6_3094 Depth=2
	s_trap 2
	ds_read_b64 v[0:1], v0
	s_andn2_b64 s[62:63], s[62:63], exec
	s_mov_b32 s66, 0
	s_mov_b64 s[64:65], -1
	s_waitcnt lgkmcnt(0)
	flat_load_dword v0, v[0:1] glc
	s_waitcnt vmcnt(0) lgkmcnt(0)
	buffer_invl2
	buffer_wbinvl1_vol
	v_cmp_eq_u32_e32 vcc, 0, v0
	s_and_b64 vcc, vcc, exec
	s_or_b64 s[62:63], s[62:63], vcc
.LBB6_3096:                             ;   in Loop: Header=BB6_3094 Depth=2
	s_andn2_b64 s[60:61], s[60:61], exec
	s_and_b64 s[64:65], s[64:65], exec
	s_mov_b64 vcc, -1
	s_or_b64 s[60:61], s[60:61], s[64:65]
	s_and_saveexec_b64 s[64:65], s[62:63]
	s_cbranch_execz .LBB6_3093
; %bb.3097:                             ;   in Loop: Header=BB6_3094 Depth=2
	s_sleep 1
	s_trap 2
	ds_read_b64 v[0:1], v0
	v_accvgpr_read_b32 v4, a26
	v_accvgpr_read_b32 v5, a27
	s_andn2_b64 s[60:61], s[60:61], exec
	s_waitcnt lgkmcnt(0)
	v_cmp_ge_u64_e32 vcc, v[0:1], v[4:5]
	s_orn2_b64 vcc, vcc, exec
	s_branch .LBB6_3093
.LBB6_3098:                             ;   in Loop: Header=BB6_49 Depth=1
	s_or_b64 exec, exec, s[56:57]
	s_and_saveexec_b64 vcc, s[58:59]
	s_xor_b64 vcc, exec, vcc
	s_cbranch_execz .LBB6_3100
; %bb.3099:                             ;   in Loop: Header=BB6_49 Depth=1
	v_mov_b32_e32 v0, 1
	ds_write_b32 v0, v0
	s_trap 2
.LBB6_3100:                             ;   in Loop: Header=BB6_49 Depth=1
	s_or_b64 exec, exec, s[54:55]
	;;#ASMSTART
	s_wakeup
	;;#ASMEND
.LBB6_3101:                             ;   in Loop: Header=BB6_49 Depth=1
	s_or_b64 exec, exec, s[52:53]
.LBB6_3102:                             ;   in Loop: Header=BB6_49 Depth=1
	s_andn2_saveexec_b64 vcc, s[50:51]
	s_cbranch_execz .LBB6_3104
; %bb.3103:                             ;   in Loop: Header=BB6_49 Depth=1
	s_waitcnt vmcnt(0) lgkmcnt(0)
	buffer_wbinvl1_vol
	s_barrier
.LBB6_3104:                             ;   in Loop: Header=BB6_49 Depth=1
	s_or_b64 exec, exec, vcc
.LBB6_3105:                             ;   in Loop: Header=BB6_49 Depth=1
	s_or_b64 exec, exec, s[22:23]
	s_trap 2
	ds_read_b32 v1, v0
	v_accvgpr_read_b32 v0, a4
	v_cmp_lt_i32_e32 vcc, 0, v2
	v_and_b32_e32 v0, 16, v0
	s_waitcnt lgkmcnt(0)
	v_readfirstlane_b32 s22, v1
	s_cmp_eq_u32 s22, 0
	s_cselect_b64 s[22:23], -1, 0
	s_and_b64 s[22:23], vcc, s[22:23]
	v_cmp_ne_u32_e32 vcc, 0, v0
	s_and_b64 vcc, vcc, s[22:23]
	s_and_saveexec_b64 s[22:23], vcc
	s_cbranch_execz .LBB6_3107
; %bb.3106:                             ;   in Loop: Header=BB6_49 Depth=1
	s_waitcnt vmcnt(0)
	buffer_wbinvl1_vol
.LBB6_3107:                             ;   in Loop: Header=BB6_49 Depth=1
	s_or_b64 exec, exec, s[22:23]
	v_cmp_ne_u32_e32 vcc, 0, v0
	s_xor_b64 s[22:23], s[20:21], -1
	s_and_b64 vcc, vcc, s[22:23]
	s_and_saveexec_b64 s[22:23], vcc
	s_cbranch_execz .LBB6_3109
; %bb.3108:                             ;   in Loop: Header=BB6_49 Depth=1
	v_accvgpr_read_b32 v0, a30
	v_accvgpr_read_b32 v1, a31
	v_mov_b32_e32 v2, 1
	flat_store_dword v[0:1], v2
.LBB6_3109:                             ;   in Loop: Header=BB6_49 Depth=1
	s_or_b64 exec, exec, s[22:23]
	v_accvgpr_read_b32 v0, a4
	v_and_b32_e32 v0, 48, v0
	v_cmp_ne_u32_e32 vcc, 0, v0
	s_and_saveexec_b64 s[22:23], vcc
	s_cbranch_execz .LBB6_47
; %bb.3110:                             ;   in Loop: Header=BB6_49 Depth=1
	v_accvgpr_read_b32 v0, a14
	v_accvgpr_read_b32 v2, a16
	;; [unrolled: 1-line block ×3, first 2 shown]
	v_add_co_u32_e32 v2, vcc, 1, v2
	v_addc_co_u32_e32 v3, vcc, 0, v3, vcc
	v_accvgpr_read_b32 v1, a15
	v_accvgpr_write_b32 a17, v3
	v_accvgpr_write_b32 a16, v2
	v_accvgpr_write_b32 a15, v1
	v_accvgpr_write_b32 a14, v0
	v_accvgpr_read_b32 v0, a18
	v_accvgpr_read_b32 v1, a19
	flat_store_dwordx2 v[0:1], v[2:3]
	s_branch .LBB6_47
.LBB6_3111:
	s_or_b64 exec, exec, s[38:39]
	v_accvgpr_read_b32 v23, a17
	v_accvgpr_read_b32 v22, a16
	;; [unrolled: 1-line block ×4, first 2 shown]
.LBB6_3112:
	s_or_b64 exec, exec, s[34:35]
                                        ; implicit-def: $agpr8_agpr9
                                        ; implicit-def: $vgpr18_vgpr19
                                        ; implicit-def: $agpr20
                                        ; implicit-def: $agpr24_agpr25
                                        ; implicit-def: $agpr22_agpr23
                                        ; implicit-def: $agpr18_agpr19
                                        ; implicit-def: $agpr3
                                        ; implicit-def: $vgpr0
                                        ; implicit-def: $agpr28_agpr29
.LBB6_3113:
	s_andn2_saveexec_b64 s[22:23], s[30:31]
	s_cbranch_execz .LBB6_6174
; %bb.3114:
	v_pk_mov_b32 v[2:3], 0, 0
	v_accvgpr_write_b32 a27, v3
	v_accvgpr_write_b32 a26, v2
	s_and_saveexec_b64 s[24:25], s[6:7]
	s_cbranch_execz .LBB6_6173
; %bb.3115:
	v_accvgpr_read_b32 v2, a0
	s_waitcnt vmcnt(0)
	v_accvgpr_read_b32 v1, a2
	v_cmp_ne_u32_sdwa s[30:31], v1, v2 src0_sel:WORD_0 src1_sel:DWORD
	v_accvgpr_read_b32 v1, a1
	v_accvgpr_read_b32 v3, a3
	v_and_b32_e32 v1, 63, v1
	v_cmp_eq_u32_e64 s[12:13], 0, v1
	v_ashrrev_i32_e32 v1, 31, v3
	v_lshrrev_b32_e32 v1, 26, v1
	v_add_u32_e32 v1, v3, v1
	v_ashrrev_i32_e32 v5, 6, v1
	v_and_b32_e32 v1, 0xffffffc0, v1
	v_sub_u32_e32 v1, v3, v1
	v_cmp_le_i32_e64 s[14:15], v1, v0
	v_lshlrev_b32_e32 v0, 11, v5
	v_lshl_add_u32 v0, v1, 4, v0
	v_lshrrev_b32_e32 v4, 6, v2
	v_cmp_gt_i32_e64 s[16:17], 1, v1
	v_accvgpr_write_b32 a21, v1
	v_accvgpr_write_b32 a32, v0
	v_ashrrev_i32_e32 v1, 31, v0
	v_mov_b32_e32 v0, 0xfffff800
	v_lshl_add_u32 v0, v4, 11, v0
	s_movk_i32 s18, 0x800
	s_waitcnt lgkmcnt(0)
	v_accvgpr_write_b32 a31, v1
	v_ashrrev_i32_e32 v1, 31, v0
	v_add_co_u32_e64 v0, s[18:19], s18, v0
	v_accvgpr_write_b32 a33, v0
	v_addc_co_u32_e64 v0, s[18:19], 0, v1, s[18:19]
	v_accvgpr_write_b32 a34, v0
	v_lshlrev_b32_e32 v0, 10, v4
	v_accvgpr_write_b32 a35, v0
	v_add_u32_e32 v0, 0xfffffc00, v0
	s_movk_i32 s18, 0x400
	s_ashr_i32 s6, s70, 31
	v_ashrrev_i32_e32 v1, 31, v0
	v_add_co_u32_e64 v0, s[18:19], s18, v0
	s_lshr_b32 s6, s6, 24
	v_accvgpr_write_b32 a36, v0
	v_addc_co_u32_e64 v0, s[18:19], 0, v1, s[18:19]
	s_add_i32 s6, s70, s6
	v_accvgpr_write_b32 a5, v5
	v_accvgpr_write_b32 a30, v4
	;; [unrolled: 1-line block ×3, first 2 shown]
	v_and_b32_e32 v0, 0xffffffc0, v2
	v_pk_mov_b32 v[4:5], 0, 0
	v_accvgpr_write_b32 a14, v20
	s_ashr_i32 s66, s6, 8
	v_cmp_ge_i32_e64 s[6:7], v3, v2
	v_cmp_eq_u32_e32 vcc, 64, v2
	v_cmp_ne_u32_e64 s[10:11], 64, v2
	v_ashrrev_i32_e32 v1, 31, v0
	s_mov_b32 s42, -1
	v_accvgpr_write_b32 a27, v5
	v_accvgpr_read_b32 v2, a28
	v_accvgpr_write_b32 a15, v21
	v_accvgpr_write_b32 a16, v22
	v_accvgpr_write_b32 a17, v23
	v_mov_b32_e32 v37, 0
	s_movk_i32 s67, 0xffc0
	v_accvgpr_write_b32 a38, v0
	v_accvgpr_write_b32 a39, v1
	s_mov_b64 s[34:35], 0
	s_movk_i32 s68, 0x270e
	s_xor_b64 s[36:37], vcc, -1
	s_movk_i32 s69, 0x7f
	s_movk_i32 s71, 0x80
	s_mov_b64 s[38:39], 0x7f800000
	s_mov_b64 s[40:41], 0x43e00001
	s_movk_i32 s72, 0x7a
	s_mov_b32 s43, 0xffffff
	s_mov_b64 s[44:45], 0xffffff
	s_mov_b32 s73, 0xc0c0500
	s_mov_b32 s74, 0x8000
	;; [unrolled: 1-line block ×3, first 2 shown]
	v_bfrev_b32_e32 v21, 60
	v_accvgpr_write_b32 a26, v4
	v_accvgpr_read_b32 v3, a29
	s_trap 2
	s_branch .LBB6_3118
.LBB6_3116:                             ;   in Loop: Header=BB6_3118 Depth=1
	s_or_b64 exec, exec, s[18:19]
.LBB6_3117:                             ;   in Loop: Header=BB6_3118 Depth=1
	s_or_b64 exec, exec, s[20:21]
	v_accvgpr_read_b32 v2, a28
	v_accvgpr_read_b32 v4, a40
	;; [unrolled: 1-line block ×3, first 2 shown]
	v_add_co_u32_e32 v4, vcc, v4, v2
	v_accvgpr_read_b32 v19, a7
	v_addc_co_u32_e32 v5, vcc, 0, v5, vcc
	v_accvgpr_read_b32 v18, a6
	v_cmp_ge_u64_e32 vcc, v[4:5], v[18:19]
	v_accvgpr_read_b32 v3, a29
	s_or_b64 s[34:35], vcc, s[34:35]
	s_andn2_b64 exec, exec, s[34:35]
	s_cbranch_execz .LBB6_6172
.LBB6_3118:                             ; =>This Loop Header: Depth=1
                                        ;     Child Loop BB6_3129 Depth 2
                                        ;     Child Loop BB6_3151 Depth 2
	;; [unrolled: 1-line block ×10, first 2 shown]
	v_sub_co_u32_e32 v0, vcc, v18, v4
	v_subb_co_u32_e32 v1, vcc, v19, v5, vcc
	v_cmp_lt_u64_e32 vcc, v[2:3], v[0:1]
	v_cndmask_b32_e64 v3, v1, 0, vcc
	v_cndmask_b32_e32 v2, v0, v2, vcc
	v_add_u32_e32 v0, 15, v2
	v_cmp_eq_u64_e32 vcc, 0, v[2:3]
	v_accvgpr_write_b32 a6, v18
	v_accvgpr_write_b32 a41, v5
	v_and_b32_e32 v0, 0x7ffffff0, v0
	s_or_b64 s[46:47], s[6:7], vcc
	v_accvgpr_write_b32 a7, v19
	v_accvgpr_write_b32 a40, v4
	v_max_i32_e32 v8, s66, v0
	v_accvgpr_write_b32 a42, v2
	s_xor_b64 s[18:19], s[46:47], -1
	v_mov_b32_e32 v0, v37
	s_and_saveexec_b64 s[48:49], s[18:19]
	s_cbranch_execz .LBB6_6126
; %bb.3119:                             ;   in Loop: Header=BB6_3118 Depth=1
	s_and_saveexec_b64 s[18:19], s[4:5]
	s_cbranch_execz .LBB6_3121
; %bb.3120:                             ;   in Loop: Header=BB6_3118 Depth=1
	s_trap 2
	ds_read2_b64 v[0:3], v0 offset1:1
	v_accvgpr_read_b32 v4, a8
	v_accvgpr_read_b32 v6, a40
	;; [unrolled: 1-line block ×4, first 2 shown]
	v_add_co_u32_e32 v6, vcc, v6, v4
	v_addc_co_u32_e32 v7, vcc, v7, v5, vcc
	s_waitcnt lgkmcnt(0)
	ds_read_b64 v[4:5], v0
	v_add_co_u32_e32 v0, vcc, v0, v6
	v_addc_co_u32_e32 v1, vcc, v1, v7, vcc
	ds_write_b64 v0, v[0:1]
	v_add_co_u32_e32 v0, vcc, v2, v6
	v_addc_co_u32_e32 v1, vcc, v3, v7, vcc
	ds_write_b64 v0, v[0:1]
	s_waitcnt lgkmcnt(0)
	v_add_co_u32_e32 v0, vcc, v4, v6
	v_addc_co_u32_e32 v1, vcc, v5, v7, vcc
	v_cmp_ne_u64_e32 vcc, 0, v[4:5]
	v_cndmask_b32_e32 v1, 0, v1, vcc
	v_cndmask_b32_e32 v0, 0, v0, vcc
	ds_write_b64 v0, v[0:1]
.LBB6_3121:                             ;   in Loop: Header=BB6_3118 Depth=1
	s_or_b64 exec, exec, s[18:19]
	v_accvgpr_read_b32 v0, a4
	v_and_b32_e32 v0, 4, v0
	v_cmp_ne_u32_e32 vcc, 0, v0
	s_mov_b64 s[20:21], -1
	s_and_saveexec_b64 s[18:19], vcc
	s_cbranch_execnz .LBB6_3124
; %bb.3122:                             ;   in Loop: Header=BB6_3118 Depth=1
	s_or_b64 exec, exec, s[18:19]
	s_xor_b64 s[18:19], s[20:21], -1
	s_and_saveexec_b64 s[20:21], s[18:19]
	s_cbranch_execnz .LBB6_3135
.LBB6_3123:                             ;   in Loop: Header=BB6_3118 Depth=1
	s_or_b64 exec, exec, s[20:21]
	s_and_saveexec_b64 s[18:19], s[10:11]
	s_cbranch_execnz .LBB6_3144
	s_branch .LBB6_3162
.LBB6_3124:                             ;   in Loop: Header=BB6_3118 Depth=1
	v_accvgpr_read_b32 v0, a14
	v_accvgpr_read_b32 v1, a15
	;; [unrolled: 1-line block ×4, first 2 shown]
	v_add_co_u32_e32 v2, vcc, 1, v2
	v_accvgpr_read_b32 v0, a24
	v_addc_co_u32_e32 v3, vcc, 0, v3, vcc
	v_accvgpr_read_b32 v1, a25
	v_cmp_lt_u64_e32 vcc, v[0:1], v[2:3]
	v_mov_b32_e32 v0, 1
	s_and_saveexec_b64 s[20:21], vcc
	s_cbranch_execz .LBB6_3134
; %bb.3125:                             ;   in Loop: Header=BB6_3118 Depth=1
	s_mov_b64 s[50:51], 0
	v_mov_b32_e32 v0, 0
                                        ; implicit-def: $sgpr52_sgpr53
	s_branch .LBB6_3129
.LBB6_3126:                             ;   in Loop: Header=BB6_3129 Depth=2
	s_or_b64 exec, exec, s[60:61]
	v_mov_b32_e32 v1, 0
	s_orn2_b64 s[58:59], s[58:59], exec
.LBB6_3127:                             ;   in Loop: Header=BB6_3129 Depth=2
	s_or_b64 exec, exec, s[56:57]
	s_andn2_b64 vcc, s[52:53], exec
	s_and_b64 s[52:53], s[58:59], exec
	s_or_b64 s[52:53], vcc, s[52:53]
	v_mov_b32_e32 v0, v1
.LBB6_3128:                             ;   in Loop: Header=BB6_3129 Depth=2
	s_or_b64 exec, exec, s[54:55]
	s_waitcnt vmcnt(0) lgkmcnt(0)
	v_accvgpr_read_b32 v4, a24
	v_accvgpr_read_b32 v5, a25
	v_cmp_ge_u64_e32 vcc, v[4:5], v[2:3]
	s_xor_b64 s[54:55], s[52:53], -1
	s_or_b64 vcc, s[54:55], vcc
	s_and_b64 vcc, exec, vcc
	s_or_b64 s[50:51], vcc, s[50:51]
	s_andn2_b64 exec, exec, s[50:51]
	s_cbranch_execz .LBB6_3133
.LBB6_3129:                             ;   Parent Loop BB6_3118 Depth=1
                                        ; =>  This Inner Loop Header: Depth=2
	v_accvgpr_read_b32 v4, a18
	v_accvgpr_read_b32 v5, a19
	s_sleep 1
	flat_load_dwordx2 a[24:25], v[4:5] glc
	v_accvgpr_read_b32 v1, a4
	v_and_b32_e32 v1, 64, v1
	v_cmp_eq_u32_e32 vcc, 0, v1
	s_andn2_b64 s[52:53], s[52:53], exec
	s_and_saveexec_b64 s[54:55], vcc
	s_cbranch_execz .LBB6_3128
; %bb.3130:                             ;   in Loop: Header=BB6_3129 Depth=2
	v_add_u32_e32 v1, 1, v0
	v_cmp_lt_i32_e32 vcc, s68, v0
	s_mov_b64 s[58:59], -1
	s_and_saveexec_b64 s[56:57], vcc
	s_cbranch_execz .LBB6_3127
; %bb.3131:                             ;   in Loop: Header=BB6_3129 Depth=2
	s_trap 2
	ds_read_b64 v[0:1], v0
	s_waitcnt vmcnt(0) lgkmcnt(0)
	flat_load_dword v0, v[0:1] glc
	s_waitcnt vmcnt(0) lgkmcnt(0)
	buffer_invl2
	buffer_wbinvl1_vol
	v_cmp_ne_u32_e32 vcc, 0, v0
	s_and_saveexec_b64 s[60:61], vcc
	s_cbranch_execz .LBB6_3126
; %bb.3132:                             ;   in Loop: Header=BB6_3129 Depth=2
	v_accvgpr_read_b32 v1, a4
	v_or_b32_e32 v1, 64, v1
	v_accvgpr_write_b32 a4, v1
	s_xor_b64 s[58:59], exec, -1
	ds_write_b32 v0, v0
	s_trap 2
	s_branch .LBB6_3126
.LBB6_3133:                             ;   in Loop: Header=BB6_3118 Depth=1
	s_or_b64 exec, exec, s[50:51]
	v_accvgpr_read_b32 v0, a4
	v_and_b32_e32 v0, 4, v0
.LBB6_3134:                             ;   in Loop: Header=BB6_3118 Depth=1
	s_or_b64 exec, exec, s[20:21]
	v_cmp_eq_u32_e32 vcc, 0, v0
	s_orn2_b64 s[20:21], vcc, exec
	;;#ASMSTART
	s_wakeup
	;;#ASMEND
	s_or_b64 exec, exec, s[18:19]
	s_xor_b64 s[18:19], s[20:21], -1
	s_and_saveexec_b64 s[20:21], s[18:19]
	s_cbranch_execz .LBB6_3123
.LBB6_3135:                             ;   in Loop: Header=BB6_3118 Depth=1
	v_accvgpr_read_b32 v0, a4
	v_and_b32_e32 v0, 0x100, v0
	v_cmp_ne_u32_e32 vcc, 0, v0
	v_accvgpr_read_b32 v0, a14
	v_accvgpr_read_b32 v2, a16
	;; [unrolled: 1-line block ×3, first 2 shown]
	v_and_b32_e32 v0, 7, v2
	s_mov_b64 s[18:19], -1
	v_accvgpr_read_b32 v1, a15
                                        ; implicit-def: $vgpr2_vgpr3
	s_and_saveexec_b64 s[50:51], vcc
	s_cbranch_execz .LBB6_3139
; %bb.3136:                             ;   in Loop: Header=BB6_3118 Depth=1
	v_accvgpr_read_b32 v2, a14
	v_accvgpr_read_b32 v3, a15
	v_mad_u64_u32 v[10:11], s[18:19], v0, 24, v[2:3]
	flat_load_dword v1, v[10:11]
	v_accvgpr_read_b32 v4, a16
	v_accvgpr_read_b32 v5, a17
                                        ; implicit-def: $vgpr2_vgpr3
	s_waitcnt vmcnt(0) lgkmcnt(0)
	v_cmp_ne_u32_e32 vcc, 1, v1
	v_cmp_eq_u32_e64 s[18:19], 1, v1
	s_and_saveexec_b64 s[52:53], s[18:19]
	s_cbranch_execz .LBB6_3138
; %bb.3137:                             ;   in Loop: Header=BB6_3118 Depth=1
	flat_load_dword v2, v[10:11] offset:4 glc
	s_waitcnt vmcnt(0) lgkmcnt(0)
	v_ashrrev_i32_e32 v3, 31, v2
.LBB6_3138:                             ;   in Loop: Header=BB6_3118 Depth=1
	s_or_b64 exec, exec, s[52:53]
	s_orn2_b64 s[18:19], vcc, exec
.LBB6_3139:                             ;   in Loop: Header=BB6_3118 Depth=1
	s_or_b64 exec, exec, s[50:51]
	s_and_saveexec_b64 vcc, s[18:19]
; %bb.3140:                             ;   in Loop: Header=BB6_3118 Depth=1
	v_accvgpr_read_b32 v2, a20
	v_mad_i64_i32 v[2:3], s[18:19], v0, v2, 0
; %bb.3141:                             ;   in Loop: Header=BB6_3118 Depth=1
	s_or_b64 exec, exec, vcc
	v_accvgpr_read_b32 v0, a22
	v_accvgpr_read_b32 v1, a23
	v_add_co_u32_e32 v0, vcc, v0, v2
	v_addc_co_u32_e32 v1, vcc, v1, v3, vcc
	ds_write_b64 v0, v[0:1] offset:728
	v_accvgpr_read_b32 v0, a4
	v_and_b32_e32 v0, 0x2000, v0
	v_cmp_ne_u32_e32 vcc, 0, v0
	s_and_saveexec_b64 s[18:19], vcc
	s_cbranch_execz .LBB6_3143
; %bb.3142:                             ;   in Loop: Header=BB6_3118 Depth=1
	ds_read_b64 v[0:1], v0 offset:584
	s_waitcnt lgkmcnt(0)
	v_add_co_u32_e32 v0, vcc, 1, v0
	v_addc_co_u32_e32 v1, vcc, 0, v1, vcc
	ds_write_b64 v0, v[0:1] offset:584
.LBB6_3143:                             ;   in Loop: Header=BB6_3118 Depth=1
	s_or_b64 exec, exec, s[18:19]
	v_accvgpr_read_b32 v0, a14
	v_accvgpr_read_b32 v2, a16
	;; [unrolled: 1-line block ×3, first 2 shown]
	v_add_co_u32_e32 v2, vcc, 1, v2
	v_addc_co_u32_e32 v3, vcc, 0, v3, vcc
	v_accvgpr_read_b32 v1, a15
	v_accvgpr_write_b32 a17, v3
	v_accvgpr_write_b32 a16, v2
	;; [unrolled: 1-line block ×4, first 2 shown]
	s_or_b64 exec, exec, s[20:21]
	s_and_saveexec_b64 s[18:19], s[10:11]
	s_cbranch_execz .LBB6_3162
.LBB6_3144:                             ;   in Loop: Header=BB6_3118 Depth=1
	s_and_saveexec_b64 s[20:21], s[30:31]
	s_xor_b64 s[20:21], exec, s[20:21]
	s_cbranch_execz .LBB6_3159
; %bb.3145:                             ;   in Loop: Header=BB6_3118 Depth=1
	s_and_saveexec_b64 s[50:51], s[12:13]
	s_cbranch_execz .LBB6_3158
; %bb.3146:                             ;   in Loop: Header=BB6_3118 Depth=1
	s_mov_b64 s[54:55], exec
	v_mbcnt_lo_u32_b32 v0, s54, 0
	v_mbcnt_hi_u32_b32 v0, s55, v0
	v_cmp_eq_u32_e32 vcc, 0, v0
	s_waitcnt vmcnt(0) lgkmcnt(0)
	buffer_wbinvl1_vol
	s_and_saveexec_b64 s[52:53], vcc
	s_cbranch_execz .LBB6_3148
; %bb.3147:                             ;   in Loop: Header=BB6_3118 Depth=1
	s_bcnt1_i32_b64 vcc_lo, s[54:55]
	v_mov_b32_e32 v36, vcc_lo
	ds_add_u64 v0, v[36:37]
	s_trap 2
.LBB6_3148:                             ;   in Loop: Header=BB6_3118 Depth=1
	s_or_b64 exec, exec, s[52:53]
	s_trap 2
	ds_read_b64 v[0:1], v0
	v_accvgpr_read_b32 v2, a26
	v_accvgpr_read_b32 v4, a30
	;; [unrolled: 1-line block ×3, first 2 shown]
	v_add_co_u32_e32 v2, vcc, v2, v4
	v_addc_co_u32_e32 v3, vcc, 0, v3, vcc
	v_accvgpr_write_b32 a27, v3
	v_accvgpr_write_b32 a26, v2
	s_waitcnt lgkmcnt(0)
	v_cmp_lt_u64_e32 vcc, v[0:1], v[2:3]
	s_and_saveexec_b64 s[52:53], vcc
	s_cbranch_execz .LBB6_3157
; %bb.3149:                             ;   in Loop: Header=BB6_3118 Depth=1
	s_mov_b32 s64, 0
	s_mov_b64 s[54:55], 0
                                        ; implicit-def: $sgpr56_sgpr57
                                        ; implicit-def: $sgpr58_sgpr59
	s_branch .LBB6_3151
.LBB6_3150:                             ;   in Loop: Header=BB6_3151 Depth=2
	s_or_b64 exec, exec, s[62:63]
	s_and_b64 vcc, exec, vcc
	s_or_b64 s[54:55], vcc, s[54:55]
	s_andn2_b64 vcc, s[56:57], exec
	s_and_b64 s[56:57], s[58:59], exec
	s_or_b64 s[56:57], vcc, s[56:57]
	s_andn2_b64 exec, exec, s[54:55]
	s_cbranch_execz .LBB6_3155
.LBB6_3151:                             ;   Parent Loop BB6_3118 Depth=1
                                        ; =>  This Inner Loop Header: Depth=2
	s_add_i32 s64, s64, 1
	s_cmpk_lg_i32 s64, 0x2710
	s_cselect_b64 s[60:61], -1, 0
	s_and_b64 vcc, exec, s[60:61]
                                        ; implicit-def: $sgpr62_sgpr63
	s_cbranch_vccnz .LBB6_3153
; %bb.3152:                             ;   in Loop: Header=BB6_3151 Depth=2
	s_trap 2
	ds_read_b64 v[0:1], v0
	s_andn2_b64 s[60:61], s[60:61], exec
	s_mov_b32 s64, 0
	s_mov_b64 s[62:63], -1
	s_waitcnt lgkmcnt(0)
	flat_load_dword v0, v[0:1] glc
	s_waitcnt vmcnt(0) lgkmcnt(0)
	buffer_invl2
	buffer_wbinvl1_vol
	v_cmp_eq_u32_e32 vcc, 0, v0
	s_and_b64 vcc, vcc, exec
	s_or_b64 s[60:61], s[60:61], vcc
.LBB6_3153:                             ;   in Loop: Header=BB6_3151 Depth=2
	s_andn2_b64 s[58:59], s[58:59], exec
	s_and_b64 s[62:63], s[62:63], exec
	s_mov_b64 vcc, -1
	s_or_b64 s[58:59], s[58:59], s[62:63]
	s_and_saveexec_b64 s[62:63], s[60:61]
	s_cbranch_execz .LBB6_3150
; %bb.3154:                             ;   in Loop: Header=BB6_3151 Depth=2
	s_sleep 1
	s_trap 2
	ds_read_b64 v[0:1], v0
	v_accvgpr_read_b32 v2, a26
	v_accvgpr_read_b32 v3, a27
	s_andn2_b64 s[58:59], s[58:59], exec
	s_waitcnt lgkmcnt(0)
	v_cmp_ge_u64_e32 vcc, v[0:1], v[2:3]
	s_orn2_b64 vcc, vcc, exec
	s_branch .LBB6_3150
.LBB6_3155:                             ;   in Loop: Header=BB6_3118 Depth=1
	s_or_b64 exec, exec, s[54:55]
	s_and_saveexec_b64 vcc, s[56:57]
	s_xor_b64 vcc, exec, vcc
	s_cbranch_execz .LBB6_3157
; %bb.3156:                             ;   in Loop: Header=BB6_3118 Depth=1
	v_mov_b32_e32 v0, 1
	ds_write_b32 v0, v0
	s_trap 2
.LBB6_3157:                             ;   in Loop: Header=BB6_3118 Depth=1
	s_or_b64 exec, exec, s[52:53]
	;;#ASMSTART
	s_wakeup
	;;#ASMEND
.LBB6_3158:                             ;   in Loop: Header=BB6_3118 Depth=1
	s_or_b64 exec, exec, s[50:51]
.LBB6_3159:                             ;   in Loop: Header=BB6_3118 Depth=1
	s_andn2_saveexec_b64 s[20:21], s[20:21]
	s_cbranch_execz .LBB6_3161
; %bb.3160:                             ;   in Loop: Header=BB6_3118 Depth=1
	s_waitcnt vmcnt(0) lgkmcnt(0)
	buffer_wbinvl1_vol
	s_barrier
.LBB6_3161:                             ;   in Loop: Header=BB6_3118 Depth=1
	s_or_b64 exec, exec, s[20:21]
.LBB6_3162:                             ;   in Loop: Header=BB6_3118 Depth=1
	s_or_b64 exec, exec, s[18:19]
	s_trap 2
	ds_read_b32 v1, v0
	v_accvgpr_read_b32 v0, a4
	v_and_b32_e32 v0, 0x4000, v0
	v_cmp_ne_u32_e32 vcc, 0, v0
	s_and_b64 s[20:21], s[36:37], vcc
	s_and_saveexec_b64 s[18:19], s[20:21]
	s_cbranch_execz .LBB6_3181
; %bb.3163:                             ;   in Loop: Header=BB6_3118 Depth=1
	s_and_saveexec_b64 s[20:21], s[30:31]
	s_xor_b64 s[20:21], exec, s[20:21]
	s_cbranch_execz .LBB6_3178
; %bb.3164:                             ;   in Loop: Header=BB6_3118 Depth=1
	s_and_saveexec_b64 s[50:51], s[12:13]
	s_cbranch_execz .LBB6_3177
; %bb.3165:                             ;   in Loop: Header=BB6_3118 Depth=1
	s_mov_b64 s[54:55], exec
	v_mbcnt_lo_u32_b32 v0, s54, 0
	v_mbcnt_hi_u32_b32 v0, s55, v0
	v_cmp_eq_u32_e32 vcc, 0, v0
	s_waitcnt vmcnt(0) lgkmcnt(0)
	buffer_wbinvl1_vol
	s_and_saveexec_b64 s[52:53], vcc
	s_cbranch_execz .LBB6_3167
; %bb.3166:                             ;   in Loop: Header=BB6_3118 Depth=1
	s_bcnt1_i32_b64 vcc_lo, s[54:55]
	v_mov_b32_e32 v36, vcc_lo
	ds_add_u64 v0, v[36:37]
	s_trap 2
.LBB6_3167:                             ;   in Loop: Header=BB6_3118 Depth=1
	s_or_b64 exec, exec, s[52:53]
	s_trap 2
	ds_read_b64 v[2:3], v0
	v_accvgpr_read_b32 v4, a26
	v_accvgpr_read_b32 v0, a30
	;; [unrolled: 1-line block ×3, first 2 shown]
	v_add_co_u32_e32 v4, vcc, v4, v0
	v_addc_co_u32_e32 v5, vcc, 0, v5, vcc
	v_accvgpr_write_b32 a27, v5
	v_accvgpr_write_b32 a26, v4
	s_waitcnt lgkmcnt(0)
	v_cmp_lt_u64_e32 vcc, v[2:3], v[4:5]
	s_and_saveexec_b64 s[52:53], vcc
	s_cbranch_execz .LBB6_3176
; %bb.3168:                             ;   in Loop: Header=BB6_3118 Depth=1
	s_mov_b32 s64, 0
	s_mov_b64 s[54:55], 0
                                        ; implicit-def: $sgpr56_sgpr57
                                        ; implicit-def: $sgpr58_sgpr59
	s_branch .LBB6_3170
.LBB6_3169:                             ;   in Loop: Header=BB6_3170 Depth=2
	s_or_b64 exec, exec, s[62:63]
	s_and_b64 vcc, exec, vcc
	s_or_b64 s[54:55], vcc, s[54:55]
	s_andn2_b64 vcc, s[56:57], exec
	s_and_b64 s[56:57], s[58:59], exec
	s_or_b64 s[56:57], vcc, s[56:57]
	s_andn2_b64 exec, exec, s[54:55]
	s_cbranch_execz .LBB6_3174
.LBB6_3170:                             ;   Parent Loop BB6_3118 Depth=1
                                        ; =>  This Inner Loop Header: Depth=2
	s_add_i32 s64, s64, 1
	s_cmpk_lg_i32 s64, 0x2710
	s_cselect_b64 s[60:61], -1, 0
	s_and_b64 vcc, exec, s[60:61]
                                        ; implicit-def: $sgpr62_sgpr63
	s_cbranch_vccnz .LBB6_3172
; %bb.3171:                             ;   in Loop: Header=BB6_3170 Depth=2
	s_trap 2
	ds_read_b64 v[2:3], v0
	s_andn2_b64 s[60:61], s[60:61], exec
	s_mov_b32 s64, 0
	s_mov_b64 s[62:63], -1
	s_waitcnt lgkmcnt(0)
	flat_load_dword v0, v[2:3] glc
	s_waitcnt vmcnt(0) lgkmcnt(0)
	buffer_invl2
	buffer_wbinvl1_vol
	v_cmp_eq_u32_e32 vcc, 0, v0
	s_and_b64 vcc, vcc, exec
	s_or_b64 s[60:61], s[60:61], vcc
.LBB6_3172:                             ;   in Loop: Header=BB6_3170 Depth=2
	s_andn2_b64 s[58:59], s[58:59], exec
	s_and_b64 s[62:63], s[62:63], exec
	s_mov_b64 vcc, -1
	s_or_b64 s[58:59], s[58:59], s[62:63]
	s_and_saveexec_b64 s[62:63], s[60:61]
	s_cbranch_execz .LBB6_3169
; %bb.3173:                             ;   in Loop: Header=BB6_3170 Depth=2
	s_sleep 1
	s_trap 2
	ds_read_b64 v[2:3], v0
	v_accvgpr_read_b32 v4, a26
	v_accvgpr_read_b32 v5, a27
	s_andn2_b64 s[58:59], s[58:59], exec
	s_waitcnt lgkmcnt(0)
	v_cmp_ge_u64_e32 vcc, v[2:3], v[4:5]
	s_orn2_b64 vcc, vcc, exec
	s_branch .LBB6_3169
.LBB6_3174:                             ;   in Loop: Header=BB6_3118 Depth=1
	s_or_b64 exec, exec, s[54:55]
	s_and_saveexec_b64 vcc, s[56:57]
	s_xor_b64 vcc, exec, vcc
	s_cbranch_execz .LBB6_3176
; %bb.3175:                             ;   in Loop: Header=BB6_3118 Depth=1
	v_mov_b32_e32 v0, 1
	ds_write_b32 v0, v0
	s_trap 2
.LBB6_3176:                             ;   in Loop: Header=BB6_3118 Depth=1
	s_or_b64 exec, exec, s[52:53]
	;;#ASMSTART
	s_wakeup
	;;#ASMEND
.LBB6_3177:                             ;   in Loop: Header=BB6_3118 Depth=1
	s_or_b64 exec, exec, s[50:51]
.LBB6_3178:                             ;   in Loop: Header=BB6_3118 Depth=1
	s_andn2_saveexec_b64 s[20:21], s[20:21]
	s_cbranch_execz .LBB6_3180
; %bb.3179:                             ;   in Loop: Header=BB6_3118 Depth=1
	s_waitcnt vmcnt(0) lgkmcnt(0)
	buffer_wbinvl1_vol
	s_barrier
.LBB6_3180:                             ;   in Loop: Header=BB6_3118 Depth=1
	s_or_b64 exec, exec, s[20:21]
.LBB6_3181:                             ;   in Loop: Header=BB6_3118 Depth=1
	s_or_b64 exec, exec, s[18:19]
	s_trap 2
	ds_read_b64 v[2:3], v0
	v_accvgpr_read_b32 v0, a42
	v_min_u32_e32 v8, v8, v0
	s_waitcnt lgkmcnt(0)
	v_readfirstlane_b32 s18, v2
	v_readfirstlane_b32 s19, v3
	s_cmp_eq_u64 s[18:19], 0
	s_cselect_b64 s[18:19], -1, 0
	s_or_b64 s[20:21], s[18:19], s[18:19]
	s_mov_b64 s[18:19], 0
	s_and_b64 vcc, exec, s[20:21]
	s_cbranch_vccnz .LBB6_6102
; %bb.3182:                             ;   in Loop: Header=BB6_3118 Depth=1
	s_mov_b64 s[20:21], -1
	s_and_saveexec_b64 s[18:19], s[14:15]
	s_cbranch_execz .LBB6_3184
; %bb.3183:                             ;   in Loop: Header=BB6_3118 Depth=1
	ds_read_b32 v0, v0 offset:720
	s_waitcnt lgkmcnt(0)
	v_and_b32_e32 v0, 15, v0
	v_cmp_eq_u32_e32 vcc, 0, v0
	s_orn2_b64 s[20:21], vcc, exec
.LBB6_3184:                             ;   in Loop: Header=BB6_3118 Depth=1
	s_or_b64 exec, exec, s[18:19]
	s_and_saveexec_b64 s[18:19], s[16:17]
	s_cbranch_execz .LBB6_3186
; %bb.3185:                             ;   in Loop: Header=BB6_3118 Depth=1
	ds_read_b32 v0, v0 offset:784
	s_waitcnt lgkmcnt(0)
	v_and_b32_e32 v0, 15, v0
	v_cmp_eq_u32_e32 vcc, 0, v0
	s_and_b64 vcc, s[20:21], vcc
	s_andn2_b64 s[20:21], s[20:21], exec
	s_and_b64 vcc, vcc, exec
	s_or_b64 s[20:21], s[20:21], vcc
.LBB6_3186:                             ;   in Loop: Header=BB6_3118 Depth=1
	s_or_b64 exec, exec, s[18:19]
	s_xor_b64 s[20:21], s[20:21], -1
	v_cmp_eq_u32_e32 vcc, 0, v1
	v_cndmask_b32_e64 v1, 0, 1, s[20:21]
	v_cndmask_b32_e32 v2, 0, v8, vcc
	;;#ASMSTART
	;;#ASMEND
	v_mov_b32_e32 v0, 0
	v_accvgpr_write_b32 a43, v8
	s_mov_b64 s[18:19], -1
	v_cmp_ne_u32_e32 vcc, 0, v1
	v_accvgpr_write_b32 a44, v2
	v_mov_b32_e32 v1, v2
	v_accvgpr_read_b32 v16, a3
	v_accvgpr_read_b32 v2, a5
	s_cbranch_vccz .LBB6_3188
; %bb.3187:                             ;   in Loop: Header=BB6_3118 Depth=1
	s_and_saveexec_b64 s[20:21], s[18:19]
	s_cbranch_execnz .LBB6_5233
	s_branch .LBB6_6101
.LBB6_3188:                             ;   in Loop: Header=BB6_3118 Depth=1
	v_accvgpr_read_b32 v0, a44
	v_lshrrev_b32_e32 v0, 11, v0
	v_accvgpr_read_b32 v1, a5
	v_sub_u32_e32 v20, v0, v1
	v_cmp_lt_i32_e32 vcc, 0, v20
	s_and_saveexec_b64 s[20:21], vcc
	s_cbranch_execz .LBB6_4544
; %bb.3189:                             ;   in Loop: Header=BB6_3118 Depth=1
	s_trap 2
	ds_read_b128 v[0:3], v0
	v_accvgpr_read_b32 v4, a32
	v_accvgpr_read_b32 v5, a31
	s_waitcnt lgkmcnt(0)
	ds_read_b64 v[6:7], v0
	v_add_co_u32_e32 v40, vcc, v0, v4
	v_addc_co_u32_e32 v41, vcc, v1, v5, vcc
	v_add_co_u32_e32 v42, vcc, v2, v4
	s_waitcnt lgkmcnt(0)
	v_readfirstlane_b32 s18, v6
	v_addc_co_u32_e32 v43, vcc, v3, v5, vcc
	s_and_b32 s19, s18, 7
	v_add_co_u32_e32 v44, vcc, v6, v4
	s_flbit_i32_b32 s19, s19
	v_addc_co_u32_e32 v45, vcc, v7, v5, vcc
	s_min_u32 s19, s19, 32
	s_and_b32 vcc_lo, s18, 0x7f
	s_bfe_u32 vcc_hi, s18, 0x40003
	s_sub_i32 s50, s19, 28
	s_sub_i32 s19, 29, s19
	s_cmp_lt_u32 vcc_lo, 8
	s_cselect_b32 s19, s19, vcc_hi
	s_cselect_b32 vcc_hi, s50, 0
	s_lshl_b32 s18, s18, 24
	s_lshl_b32 s19, s19, 23
	v_lshlrev_b64 v[0:1], vcc_hi, v[6:7]
	s_and_b32 s18, s18, 0x80000000
	s_add_i32 s19, s19, 0x3c000000
	v_lshlrev_b32_e32 v0, 20, v0
	s_or_b32 s18, s18, s19
	v_and_b32_e32 v0, 0x700000, v0
	s_cmpk_lg_i32 vcc_lo, 0x7f
	v_or_b32_e32 v0, s18, v0
	s_cselect_b64 vcc, -1, 0
	v_mov_b32_e32 v1, 0x7f800001
	v_cndmask_b32_e32 v0, v1, v0, vcc
	v_accvgpr_write_b32 a46, v6
	v_accvgpr_write_b32 a45, v0
	s_mov_b64 s[50:51], 0
	s_branch .LBB6_3191
.LBB6_3190:                             ;   in Loop: Header=BB6_3191 Depth=2
	s_or_b64 exec, exec, s[18:19]
	v_lshlrev_b32_e32 v3, 8, v24
	v_perm_b32 v3, v3, v6, s73
	v_lshl_or_b32 v3, v49, 16, v3
	v_lshl_or_b32 v53, v15, 24, v3
	v_and_b32_e32 v3, 0xff, v26
	v_lshlrev_b32_e32 v6, 8, v38
	v_lshlrev_b32_e32 v5, 24, v60
	;; [unrolled: 1-line block ×3, first 2 shown]
	v_perm_b32 v0, v6, v0, s73
	v_or3_b32 v52, v5, v3, v0
	v_and_b32_e32 v0, 0xff, v23
	v_lshlrev_b32_e32 v5, 8, v22
	v_lshlrev_b32_e32 v3, 24, v7
	;; [unrolled: 1-line block ×3, first 2 shown]
	v_perm_b32 v5, v5, v8, s73
	v_or3_b32 v54, v3, v0, v5
	v_lshlrev_b32_e32 v0, 8, v31
	v_perm_b32 v0, v0, v25, s73
	v_lshl_or_b32 v0, v39, 16, v0
	v_lshl_or_b32 v55, v16, 24, v0
	v_lshlrev_b32_e32 v0, 8, v14
	v_perm_b32 v0, v0, v9, s73
	v_lshl_or_b32 v0, v27, 16, v0
	v_lshl_or_b32 v7, v11, 24, v0
	v_and_b32_e32 v0, 0xff, v35
	v_lshlrev_b32_e32 v5, 8, v30
	v_lshlrev_b32_e32 v3, 24, v34
	;; [unrolled: 1-line block ×3, first 2 shown]
	v_perm_b32 v5, v5, v17, s73
	v_or3_b32 v6, v3, v0, v5
	v_and_b32_e32 v0, 0xff, v28
	v_lshlrev_b32_e32 v3, 24, v4
	v_lshlrev_b32_e32 v4, 8, v33
	;; [unrolled: 1-line block ×3, first 2 shown]
	v_perm_b32 v4, v4, v18, s73
	v_or3_b32 v8, v3, v0, v4
	v_lshlrev_b32_e32 v0, 8, v10
	v_perm_b32 v0, v0, v1, s73
	v_lshl_or_b32 v0, v19, 16, v0
	v_accvgpr_read_b32 v1, a33
	v_lshl_or_b32 v9, v2, 24, v0
	v_add_co_u32_e32 v40, vcc, v40, v1
	v_accvgpr_read_b32 v2, a34
	v_addc_co_u32_e32 v41, vcc, v41, v2, vcc
	v_add_co_u32_e32 v42, vcc, v42, v1
	v_accvgpr_read_b32 v0, a30
	v_addc_co_u32_e32 v43, vcc, v43, v2, vcc
	v_sub_u32_e32 v20, v20, v0
	v_cmp_gt_i32_e32 vcc, 1, v20
	global_store_dwordx4 v[44:45], v[52:55], off glc slc
	global_store_dwordx4 v[44:45], v[6:9], off offset:1024 glc slc
	s_or_b64 s[50:51], vcc, s[50:51]
	v_add_co_u32_e32 v44, vcc, v44, v1
	v_addc_co_u32_e32 v45, vcc, v45, v2, vcc
	s_andn2_b64 exec, exec, s[50:51]
	s_cbranch_execz .LBB6_4543
.LBB6_3191:                             ;   Parent Loop BB6_3118 Depth=1
                                        ; =>  This Inner Loop Header: Depth=2
	v_accvgpr_read_b32 v0, a46
	v_cmp_lt_i16_sdwa s[18:19], v0, s71 src0_sel:BYTE_0 src1_sel:DWORD
	s_and_b64 vcc, exec, s[18:19]
	s_cbranch_vccnz .LBB6_3195
; %bb.3192:                             ;   in Loop: Header=BB6_3191 Depth=2
	v_cmp_eq_u16_sdwa vcc, v0, s71 src0_sel:BYTE_0 src1_sel:DWORD
	s_mov_b64 s[18:19], -1
	s_and_b64 vcc, exec, vcc
                                        ; implicit-def: $sgpr52
	s_cbranch_vccz .LBB6_3194
; %bb.3193:                             ;   in Loop: Header=BB6_3191 Depth=2
	s_mov_b64 s[18:19], 0
	s_brev_b32 s52, 1
.LBB6_3194:                             ;   in Loop: Header=BB6_3191 Depth=2
	s_branch .LBB6_3197
.LBB6_3195:                             ;   in Loop: Header=BB6_3191 Depth=2
	s_mov_b64 s[18:19], 0
                                        ; implicit-def: $sgpr52
	s_cbranch_execz .LBB6_3197
; %bb.3196:                             ;   in Loop: Header=BB6_3191 Depth=2
	v_cmp_ne_u16_sdwa s[18:19], v0, v37 src0_sel:BYTE_0 src1_sel:DWORD
	s_mov_b32 s52, 0
.LBB6_3197:                             ;   in Loop: Header=BB6_3191 Depth=2
	s_andn2_b64 vcc, exec, s[18:19]
	v_mov_b32_e32 v5, s52
	s_cbranch_vccnz .LBB6_3199
; %bb.3198:                             ;   in Loop: Header=BB6_3191 Depth=2
	v_accvgpr_read_b32 v5, a45
.LBB6_3199:                             ;   in Loop: Header=BB6_3191 Depth=2
	global_load_dwordx4 v[10:13], v[40:41], off glc slc
	v_mov_b32_e32 v0, 0
	s_waitcnt vmcnt(0)
	v_cmp_ne_u16_sdwa vcc, v10, v37 src0_sel:BYTE_0 src1_sel:DWORD
	s_and_saveexec_b64 s[18:19], vcc
	s_cbranch_execz .LBB6_3205
; %bb.3200:                             ;   in Loop: Header=BB6_3191 Depth=2
	v_cmp_ne_u16_sdwa vcc, v10, s71 src0_sel:BYTE_0 src1_sel:DWORD
	v_bfrev_b32_e32 v0, 1
	s_and_saveexec_b64 s[52:53], vcc
	s_cbranch_execz .LBB6_3204
; %bb.3201:                             ;   in Loop: Header=BB6_3191 Depth=2
	v_and_b32_e32 v1, 0x7f, v10
	v_cmp_ne_u32_e32 vcc, s69, v1
	v_mov_b32_e32 v0, 0x7f800001
	s_and_saveexec_b64 s[54:55], vcc
	s_cbranch_execz .LBB6_3203
; %bb.3202:                             ;   in Loop: Header=BB6_3191 Depth=2
	v_and_b32_e32 v0, 7, v10
	v_ffbh_u32_e32 v0, v0
	v_min_u32_e32 v0, 32, v0
	v_lshrrev_b32_e32 v2, 3, v1
	v_subrev_u32_e32 v3, 28, v0
	v_sub_u32_e32 v0, 29, v0
	v_cmp_gt_u32_e32 vcc, 8, v1
	v_cndmask_b32_e32 v2, v2, v0, vcc
	v_cndmask_b32_e32 v0, 0, v3, vcc
	v_lshlrev_b64 v[0:1], v0, v[10:11]
	v_lshlrev_b32_e32 v0, 20, v0
	v_lshlrev_b32_e32 v1, 24, v10
	v_and_b32_e32 v0, 0x700000, v0
	v_and_b32_e32 v1, 0x80000000, v1
	v_lshl_add_u32 v2, v2, 23, v21
	v_or3_b32 v0, v1, v2, v0
.LBB6_3203:                             ;   in Loop: Header=BB6_3191 Depth=2
	s_or_b64 exec, exec, s[54:55]
.LBB6_3204:                             ;   in Loop: Header=BB6_3191 Depth=2
	s_or_b64 exec, exec, s[52:53]
.LBB6_3205:                             ;   in Loop: Header=BB6_3191 Depth=2
	s_or_b64 exec, exec, s[18:19]
	v_mul_f32_e32 v2, v5, v0
	v_and_b32_sdwa v1, v2, s71 dst_sel:DWORD dst_unused:UNUSED_PAD src0_sel:BYTE_3 src1_sel:DWORD
	v_and_b32_e32 v6, 0x7f800000, v2
	v_mov_b32_e32 v7, v37
	v_and_b32_e32 v36, 0x7fffff, v2
	v_or_b32_e32 v0, 0x7e, v1
	v_cmp_ne_u64_e32 vcc, s[38:39], v[6:7]
	s_and_saveexec_b64 s[18:19], vcc
	s_xor_b64 s[52:53], exec, s[18:19]
	s_cbranch_execz .LBB6_3215
; %bb.3206:                             ;   in Loop: Header=BB6_3191 Depth=2
	v_and_b32_e32 v6, 0x7fffffff, v2
	v_mov_b32_e32 v7, v37
	v_cmp_gt_u64_e32 vcc, s[40:41], v[6:7]
	s_and_saveexec_b64 s[54:55], vcc
	s_cbranch_execz .LBB6_3214
; %bb.3207:                             ;   in Loop: Header=BB6_3191 Depth=2
	v_cmp_ne_u32_e32 vcc, 0, v2
	v_mov_b32_e32 v0, 0
	s_and_saveexec_b64 s[56:57], vcc
	s_cbranch_execz .LBB6_3213
; %bb.3208:                             ;   in Loop: Header=BB6_3191 Depth=2
	v_bfe_u32 v0, v2, 23, 8
	v_sub_u32_e32 v3, 0x79, v0
	v_cmp_gt_u32_e32 vcc, s72, v0
	v_add_u32_e32 v2, 0xffffff81, v0
	v_cndmask_b32_e32 v3, 0, v3, vcc
	v_cmp_eq_u32_e32 vcc, 0, v0
	v_mov_b32_e32 v0, 0xffffff82
	v_cndmask_b32_e32 v0, v2, v0, vcc
	v_mov_b32_e32 v2, 0x78
	v_or_b32_e32 v4, 0x800000, v36
	v_cndmask_b32_e32 v6, v3, v2, vcc
	v_cndmask_b32_e32 v36, v4, v36, vcc
	v_add_u32_e32 v2, 20, v6
	v_lshlrev_b64 v[2:3], v2, -1
	v_add_u32_e32 v4, 19, v6
	v_lshrrev_b64 v[14:15], v6, v[36:37]
	v_not_b32_e32 v3, v3
	v_not_b32_e32 v2, v2
	v_lshlrev_b64 v[8:9], v4, 1
	v_lshrrev_b32_e32 v4, 23, v14
	v_and_b32_e32 v3, 0, v3
	v_and_b32_e32 v2, v36, v2
	v_add3_u32 v6, v6, v0, v4
	v_bfe_u32 v0, v14, 20, 1
	v_add_u32_e32 v0, -1, v0
	v_cmp_eq_u64_e32 vcc, v[2:3], v[8:9]
	v_cndmask_b32_e32 v0, 0, v0, vcc
	v_add_u32_e32 v0, v0, v14
	v_and_b32_e32 v0, 0xfffff, v0
	v_add_co_u32_e32 v2, vcc, v0, v14
	v_add_u32_e32 v4, 6, v6
	v_addc_co_u32_e32 v3, vcc, 0, v15, vcc
	v_cmp_ne_u32_e32 vcc, 0, v4
                                        ; implicit-def: $vgpr0
	s_and_saveexec_b64 s[18:19], vcc
	s_xor_b64 s[18:19], exec, s[18:19]
; %bb.3209:                             ;   in Loop: Header=BB6_3191 Depth=2
	v_add_u32_e32 v0, 7, v6
	v_cmp_lt_u64_e32 vcc, s[44:45], v[2:3]
	v_cndmask_b32_e32 v0, v4, v0, vcc
	v_cndmask_b32_e64 v4, 0, 1, vcc
	v_lshrrev_b64 v[2:3], v4, v[2:3]
; %bb.3210:                             ;   in Loop: Header=BB6_3191 Depth=2
	s_andn2_saveexec_b64 s[18:19], s[18:19]
; %bb.3211:                             ;   in Loop: Header=BB6_3191 Depth=2
	v_bfe_u32 v0, v2, 23, 1
; %bb.3212:                             ;   in Loop: Header=BB6_3191 Depth=2
	s_or_b64 exec, exec, s[18:19]
	v_lshrrev_b64 v[2:3], 20, v[2:3]
	v_cmp_gt_i32_e32 vcc, 16, v0
	v_cndmask_b32_e32 v3, 0, v3, vcc
	v_cndmask_b32_e32 v2, 7, v2, vcc
	v_cmp_eq_u32_e32 vcc, 0, v0
	v_min_i32_e32 v0, 15, v0
	v_cmp_eq_u64_e64 s[18:19], 0, v[2:3]
	v_lshlrev_b32_e32 v0, 3, v0
	v_and_or_b32 v0, v2, 7, v0
	s_and_b64 s[18:19], vcc, s[18:19]
	v_cndmask_b32_e64 v0, v0, 0, s[18:19]
	v_or_b32_e32 v0, v0, v1
.LBB6_3213:                             ;   in Loop: Header=BB6_3191 Depth=2
	s_or_b64 exec, exec, s[56:57]
.LBB6_3214:                             ;   in Loop: Header=BB6_3191 Depth=2
	s_or_b64 exec, exec, s[54:55]
                                        ; implicit-def: $vgpr2
.LBB6_3215:                             ;   in Loop: Header=BB6_3191 Depth=2
	s_andn2_saveexec_b64 s[18:19], s[52:53]
; %bb.3216:                             ;   in Loop: Header=BB6_3191 Depth=2
	v_or_b32_sdwa v1, v2, s69 dst_sel:DWORD dst_unused:UNUSED_PAD src0_sel:BYTE_3 src1_sel:DWORD
	v_cmp_eq_u64_e32 vcc, 0, v[36:37]
	v_cndmask_b32_e32 v0, v1, v0, vcc
; %bb.3217:                             ;   in Loop: Header=BB6_3191 Depth=2
	s_or_b64 exec, exec, s[18:19]
	v_lshrrev_b16_e32 v2, 8, v10
	v_cmp_ne_u16_e32 vcc, 0, v2
	v_mov_b32_e32 v1, 0
	s_and_saveexec_b64 s[18:19], vcc
	s_cbranch_execz .LBB6_3223
; %bb.3218:                             ;   in Loop: Header=BB6_3191 Depth=2
	v_cmp_ne_u16_e32 vcc, s71, v2
	v_bfrev_b32_e32 v1, 1
	s_and_saveexec_b64 s[52:53], vcc
	s_cbranch_execz .LBB6_3222
; %bb.3219:                             ;   in Loop: Header=BB6_3191 Depth=2
	v_and_b32_e32 v3, 0x7f, v2
	v_cmp_ne_u32_e32 vcc, s69, v3
	v_mov_b32_e32 v1, 0x7f800001
	s_and_saveexec_b64 s[54:55], vcc
	s_cbranch_execz .LBB6_3221
; %bb.3220:                             ;   in Loop: Header=BB6_3191 Depth=2
	v_and_b32_e32 v1, 7, v2
	v_ffbh_u32_e32 v6, v1
	v_min_u32_e32 v8, 32, v6
	v_subrev_u32_e32 v6, 28, v8
	v_lshlrev_b64 v[6:7], v6, v[2:3]
	v_lshrrev_b32_e32 v4, 3, v3
	v_sub_u32_e32 v2, 29, v8
	v_and_b32_e32 v6, 7, v6
	v_cmp_gt_u32_e32 vcc, 8, v3
	v_cndmask_b32_e32 v2, v4, v2, vcc
	v_cndmask_b32_e32 v1, v1, v6, vcc
	v_lshlrev_b32_e32 v3, 16, v10
	v_lshlrev_b32_e32 v1, 20, v1
	v_and_b32_e32 v3, 0x80000000, v3
	v_lshl_add_u32 v2, v2, 23, v21
	v_or3_b32 v1, v3, v2, v1
.LBB6_3221:                             ;   in Loop: Header=BB6_3191 Depth=2
	s_or_b64 exec, exec, s[54:55]
.LBB6_3222:                             ;   in Loop: Header=BB6_3191 Depth=2
	s_or_b64 exec, exec, s[52:53]
.LBB6_3223:                             ;   in Loop: Header=BB6_3191 Depth=2
	s_or_b64 exec, exec, s[18:19]
	v_mul_f32_e32 v2, v5, v1
	v_and_b32_sdwa v1, v2, s71 dst_sel:DWORD dst_unused:UNUSED_PAD src0_sel:BYTE_3 src1_sel:DWORD
	v_and_b32_e32 v6, 0x7f800000, v2
	v_mov_b32_e32 v7, v37
	v_and_b32_e32 v36, 0x7fffff, v2
	v_or_b32_e32 v24, 0x7e, v1
	v_cmp_ne_u64_e32 vcc, s[38:39], v[6:7]
	s_and_saveexec_b64 s[18:19], vcc
	s_xor_b64 s[52:53], exec, s[18:19]
	s_cbranch_execz .LBB6_3233
; %bb.3224:                             ;   in Loop: Header=BB6_3191 Depth=2
	v_and_b32_e32 v6, 0x7fffffff, v2
	v_mov_b32_e32 v7, v37
	v_cmp_gt_u64_e32 vcc, s[40:41], v[6:7]
	s_and_saveexec_b64 s[54:55], vcc
	s_cbranch_execz .LBB6_3232
; %bb.3225:                             ;   in Loop: Header=BB6_3191 Depth=2
	v_cmp_ne_u32_e32 vcc, 0, v2
	v_mov_b32_e32 v24, 0
	s_and_saveexec_b64 s[56:57], vcc
	s_cbranch_execz .LBB6_3231
; %bb.3226:                             ;   in Loop: Header=BB6_3191 Depth=2
	v_bfe_u32 v2, v2, 23, 8
	v_sub_u32_e32 v4, 0x79, v2
	v_cmp_gt_u32_e32 vcc, s72, v2
	v_add_u32_e32 v3, 0xffffff81, v2
	v_cndmask_b32_e32 v4, 0, v4, vcc
	v_cmp_eq_u32_e32 vcc, 0, v2
	v_mov_b32_e32 v2, 0xffffff82
	v_cndmask_b32_e32 v7, v3, v2, vcc
	v_mov_b32_e32 v2, 0x78
	v_or_b32_e32 v6, 0x800000, v36
	v_cndmask_b32_e32 v4, v4, v2, vcc
	v_cndmask_b32_e32 v36, v6, v36, vcc
	v_add_u32_e32 v2, 20, v4
	v_lshlrev_b64 v[2:3], v2, -1
	v_add_u32_e32 v6, 19, v4
	v_lshrrev_b64 v[14:15], v4, v[36:37]
	v_not_b32_e32 v3, v3
	v_not_b32_e32 v2, v2
	v_lshlrev_b64 v[8:9], v6, 1
	v_lshrrev_b32_e32 v6, 23, v14
	v_and_b32_e32 v3, 0, v3
	v_and_b32_e32 v2, v36, v2
	v_add3_u32 v7, v4, v7, v6
	v_bfe_u32 v4, v14, 20, 1
	v_add_u32_e32 v4, -1, v4
	v_cmp_eq_u64_e32 vcc, v[2:3], v[8:9]
	v_cndmask_b32_e32 v2, 0, v4, vcc
	v_add_u32_e32 v2, v2, v14
	v_and_b32_e32 v2, 0xfffff, v2
	v_add_co_u32_e32 v2, vcc, v2, v14
	v_add_u32_e32 v6, 6, v7
	v_addc_co_u32_e32 v3, vcc, 0, v15, vcc
	v_cmp_ne_u32_e32 vcc, 0, v6
                                        ; implicit-def: $vgpr4
	s_and_saveexec_b64 s[18:19], vcc
	s_xor_b64 s[18:19], exec, s[18:19]
; %bb.3227:                             ;   in Loop: Header=BB6_3191 Depth=2
	v_add_u32_e32 v4, 7, v7
	v_cmp_lt_u64_e32 vcc, s[44:45], v[2:3]
	v_cndmask_b32_e32 v4, v6, v4, vcc
	v_cndmask_b32_e64 v6, 0, 1, vcc
	v_lshrrev_b64 v[2:3], v6, v[2:3]
; %bb.3228:                             ;   in Loop: Header=BB6_3191 Depth=2
	s_andn2_saveexec_b64 s[18:19], s[18:19]
; %bb.3229:                             ;   in Loop: Header=BB6_3191 Depth=2
	v_bfe_u32 v4, v2, 23, 1
; %bb.3230:                             ;   in Loop: Header=BB6_3191 Depth=2
	s_or_b64 exec, exec, s[18:19]
	v_lshrrev_b64 v[2:3], 20, v[2:3]
	v_cmp_gt_i32_e32 vcc, 16, v4
	v_cndmask_b32_e32 v3, 0, v3, vcc
	v_cndmask_b32_e32 v2, 7, v2, vcc
	v_cmp_eq_u64_e64 s[18:19], 0, v[2:3]
	v_min_i32_e32 v3, 15, v4
	v_cmp_eq_u32_e32 vcc, 0, v4
	v_lshlrev_b32_e32 v3, 3, v3
	v_and_or_b32 v2, v2, 7, v3
	s_and_b64 s[18:19], vcc, s[18:19]
	v_cndmask_b32_e64 v2, v2, 0, s[18:19]
	v_or_b32_e32 v24, v2, v1
.LBB6_3231:                             ;   in Loop: Header=BB6_3191 Depth=2
	s_or_b64 exec, exec, s[56:57]
.LBB6_3232:                             ;   in Loop: Header=BB6_3191 Depth=2
	s_or_b64 exec, exec, s[54:55]
                                        ; implicit-def: $vgpr2
.LBB6_3233:                             ;   in Loop: Header=BB6_3191 Depth=2
	s_andn2_saveexec_b64 s[18:19], s[52:53]
; %bb.3234:                             ;   in Loop: Header=BB6_3191 Depth=2
	v_or_b32_sdwa v1, v2, s69 dst_sel:DWORD dst_unused:UNUSED_PAD src0_sel:BYTE_3 src1_sel:DWORD
	v_cmp_eq_u64_e32 vcc, 0, v[36:37]
	v_cndmask_b32_e32 v24, v1, v24, vcc
; %bb.3235:                             ;   in Loop: Header=BB6_3191 Depth=2
	s_or_b64 exec, exec, s[18:19]
	v_lshrrev_b32_e32 v2, 16, v10
	v_cmp_ne_u16_sdwa vcc, v2, v37 src0_sel:BYTE_0 src1_sel:DWORD
	v_mov_b32_e32 v1, 0
	s_and_saveexec_b64 s[18:19], vcc
	s_cbranch_execz .LBB6_3241
; %bb.3236:                             ;   in Loop: Header=BB6_3191 Depth=2
	v_cmp_ne_u16_sdwa vcc, v2, s71 src0_sel:BYTE_0 src1_sel:DWORD
	v_bfrev_b32_e32 v1, 1
	s_and_saveexec_b64 s[52:53], vcc
	s_cbranch_execz .LBB6_3240
; %bb.3237:                             ;   in Loop: Header=BB6_3191 Depth=2
	v_bfe_u32 v3, v10, 16, 7
	v_cmp_ne_u32_e32 vcc, s69, v3
	v_mov_b32_e32 v1, 0x7f800001
	s_and_saveexec_b64 s[54:55], vcc
	s_cbranch_execz .LBB6_3239
; %bb.3238:                             ;   in Loop: Header=BB6_3191 Depth=2
	v_and_b32_e32 v1, 7, v2
	v_ffbh_u32_e32 v6, v1
	v_min_u32_e32 v8, 32, v6
	v_subrev_u32_e32 v6, 28, v8
	v_lshlrev_b64 v[6:7], v6, v[2:3]
	v_lshrrev_b32_e32 v4, 3, v3
	v_sub_u32_e32 v7, 29, v8
	v_and_b32_e32 v6, 7, v6
	v_cmp_gt_u32_e32 vcc, 8, v3
	v_cndmask_b32_e32 v3, v4, v7, vcc
	v_cndmask_b32_e32 v1, v1, v6, vcc
	v_lshlrev_b32_e32 v2, 24, v2
	v_lshlrev_b32_e32 v1, 20, v1
	v_and_b32_e32 v2, 0x80000000, v2
	v_lshl_add_u32 v3, v3, 23, v21
	v_or3_b32 v1, v2, v3, v1
.LBB6_3239:                             ;   in Loop: Header=BB6_3191 Depth=2
	s_or_b64 exec, exec, s[54:55]
.LBB6_3240:                             ;   in Loop: Header=BB6_3191 Depth=2
	s_or_b64 exec, exec, s[52:53]
.LBB6_3241:                             ;   in Loop: Header=BB6_3191 Depth=2
	s_or_b64 exec, exec, s[18:19]
	v_mul_f32_e32 v3, v5, v1
	v_and_b32_sdwa v1, v3, s71 dst_sel:DWORD dst_unused:UNUSED_PAD src0_sel:BYTE_3 src1_sel:DWORD
	v_and_b32_e32 v6, 0x7f800000, v3
	v_mov_b32_e32 v7, v37
	v_and_b32_e32 v36, 0x7fffff, v3
	v_or_b32_e32 v2, 0x7e, v1
	v_cmp_ne_u64_e32 vcc, s[38:39], v[6:7]
	s_and_saveexec_b64 s[18:19], vcc
	s_xor_b64 s[52:53], exec, s[18:19]
	s_cbranch_execz .LBB6_3251
; %bb.3242:                             ;   in Loop: Header=BB6_3191 Depth=2
	v_and_b32_e32 v6, 0x7fffffff, v3
	v_mov_b32_e32 v7, v37
	v_cmp_gt_u64_e32 vcc, s[40:41], v[6:7]
	s_and_saveexec_b64 s[54:55], vcc
	s_cbranch_execz .LBB6_3250
; %bb.3243:                             ;   in Loop: Header=BB6_3191 Depth=2
	v_cmp_ne_u32_e32 vcc, 0, v3
	v_mov_b32_e32 v2, 0
	s_and_saveexec_b64 s[56:57], vcc
	s_cbranch_execz .LBB6_3249
; %bb.3244:                             ;   in Loop: Header=BB6_3191 Depth=2
	v_bfe_u32 v2, v3, 23, 8
	v_sub_u32_e32 v4, 0x79, v2
	v_cmp_gt_u32_e32 vcc, s72, v2
	v_add_u32_e32 v3, 0xffffff81, v2
	v_cndmask_b32_e32 v4, 0, v4, vcc
	v_cmp_eq_u32_e32 vcc, 0, v2
	v_mov_b32_e32 v2, 0xffffff82
	v_cndmask_b32_e32 v7, v3, v2, vcc
	v_mov_b32_e32 v2, 0x78
	v_or_b32_e32 v6, 0x800000, v36
	v_cndmask_b32_e32 v4, v4, v2, vcc
	v_cndmask_b32_e32 v36, v6, v36, vcc
	v_add_u32_e32 v2, 20, v4
	v_lshlrev_b64 v[2:3], v2, -1
	v_add_u32_e32 v6, 19, v4
	v_lshrrev_b64 v[14:15], v4, v[36:37]
	v_not_b32_e32 v3, v3
	v_not_b32_e32 v2, v2
	v_lshlrev_b64 v[8:9], v6, 1
	v_lshrrev_b32_e32 v6, 23, v14
	v_and_b32_e32 v3, 0, v3
	v_and_b32_e32 v2, v36, v2
	v_add3_u32 v7, v4, v7, v6
	v_bfe_u32 v4, v14, 20, 1
	v_add_u32_e32 v4, -1, v4
	v_cmp_eq_u64_e32 vcc, v[2:3], v[8:9]
	v_cndmask_b32_e32 v2, 0, v4, vcc
	v_add_u32_e32 v2, v2, v14
	v_and_b32_e32 v2, 0xfffff, v2
	v_add_co_u32_e32 v2, vcc, v2, v14
	v_add_u32_e32 v6, 6, v7
	v_addc_co_u32_e32 v3, vcc, 0, v15, vcc
	v_cmp_ne_u32_e32 vcc, 0, v6
                                        ; implicit-def: $vgpr4
	s_and_saveexec_b64 s[18:19], vcc
	s_xor_b64 s[18:19], exec, s[18:19]
; %bb.3245:                             ;   in Loop: Header=BB6_3191 Depth=2
	v_add_u32_e32 v4, 7, v7
	v_cmp_lt_u64_e32 vcc, s[44:45], v[2:3]
	v_cndmask_b32_e32 v4, v6, v4, vcc
	v_cndmask_b32_e64 v6, 0, 1, vcc
	v_lshrrev_b64 v[2:3], v6, v[2:3]
; %bb.3246:                             ;   in Loop: Header=BB6_3191 Depth=2
	s_andn2_saveexec_b64 s[18:19], s[18:19]
; %bb.3247:                             ;   in Loop: Header=BB6_3191 Depth=2
	v_bfe_u32 v4, v2, 23, 1
; %bb.3248:                             ;   in Loop: Header=BB6_3191 Depth=2
	s_or_b64 exec, exec, s[18:19]
	v_lshrrev_b64 v[2:3], 20, v[2:3]
	v_cmp_gt_i32_e32 vcc, 16, v4
	v_cndmask_b32_e32 v3, 0, v3, vcc
	v_cndmask_b32_e32 v2, 7, v2, vcc
	v_cmp_eq_u64_e64 s[18:19], 0, v[2:3]
	v_min_i32_e32 v3, 15, v4
	v_cmp_eq_u32_e32 vcc, 0, v4
	v_lshlrev_b32_e32 v3, 3, v3
	v_and_or_b32 v2, v2, 7, v3
	s_and_b64 s[18:19], vcc, s[18:19]
	v_cndmask_b32_e64 v2, v2, 0, s[18:19]
	v_or_b32_e32 v2, v2, v1
.LBB6_3249:                             ;   in Loop: Header=BB6_3191 Depth=2
	s_or_b64 exec, exec, s[56:57]
.LBB6_3250:                             ;   in Loop: Header=BB6_3191 Depth=2
	s_or_b64 exec, exec, s[54:55]
                                        ; implicit-def: $vgpr3
.LBB6_3251:                             ;   in Loop: Header=BB6_3191 Depth=2
	s_andn2_saveexec_b64 s[18:19], s[52:53]
; %bb.3252:                             ;   in Loop: Header=BB6_3191 Depth=2
	v_or_b32_sdwa v1, v3, s69 dst_sel:DWORD dst_unused:UNUSED_PAD src0_sel:BYTE_3 src1_sel:DWORD
	v_cmp_eq_u64_e32 vcc, 0, v[36:37]
	v_cndmask_b32_e32 v2, v1, v2, vcc
; %bb.3253:                             ;   in Loop: Header=BB6_3191 Depth=2
	s_or_b64 exec, exec, s[18:19]
	v_cmp_lt_u32_e32 vcc, s43, v10
	v_mov_b32_e32 v1, 0
	s_and_saveexec_b64 s[18:19], vcc
	s_cbranch_execz .LBB6_3259
; %bb.3254:                             ;   in Loop: Header=BB6_3191 Depth=2
	v_lshrrev_b32_e32 v14, 24, v10
	v_cmp_ne_u32_e32 vcc, s71, v14
	v_bfrev_b32_e32 v1, 1
	s_and_saveexec_b64 s[52:53], vcc
	s_cbranch_execz .LBB6_3258
; %bb.3255:                             ;   in Loop: Header=BB6_3191 Depth=2
	v_bfe_u32 v3, v10, 24, 7
	v_cmp_ne_u32_e32 vcc, s69, v3
	v_mov_b32_e32 v1, 0x7f800001
	s_and_saveexec_b64 s[54:55], vcc
	s_cbranch_execz .LBB6_3257
; %bb.3256:                             ;   in Loop: Header=BB6_3191 Depth=2
	v_and_b32_e32 v1, 7, v14
	v_ffbh_u32_e32 v6, v1
	v_min_u32_e32 v8, 32, v6
	v_subrev_u32_e32 v6, 28, v8
	v_lshlrev_b64 v[6:7], v6, v[14:15]
	v_lshrrev_b32_e32 v4, 3, v3
	v_sub_u32_e32 v7, 29, v8
	v_and_b32_e32 v6, 7, v6
	v_cmp_gt_u32_e32 vcc, 8, v3
	v_cndmask_b32_e32 v3, v4, v7, vcc
	v_cndmask_b32_e32 v1, v1, v6, vcc
	v_lshlrev_b32_e32 v4, 24, v14
	v_lshlrev_b32_e32 v1, 20, v1
	v_and_b32_e32 v4, 0x80000000, v4
	v_lshl_add_u32 v3, v3, 23, v21
	v_or3_b32 v1, v4, v3, v1
.LBB6_3257:                             ;   in Loop: Header=BB6_3191 Depth=2
	s_or_b64 exec, exec, s[54:55]
.LBB6_3258:                             ;   in Loop: Header=BB6_3191 Depth=2
	s_or_b64 exec, exec, s[52:53]
.LBB6_3259:                             ;   in Loop: Header=BB6_3191 Depth=2
	s_or_b64 exec, exec, s[18:19]
	v_mul_f32_e32 v3, v5, v1
	v_and_b32_sdwa v1, v3, s71 dst_sel:DWORD dst_unused:UNUSED_PAD src0_sel:BYTE_3 src1_sel:DWORD
	v_and_b32_e32 v6, 0x7f800000, v3
	v_mov_b32_e32 v7, v37
	v_and_b32_e32 v36, 0x7fffff, v3
	v_or_b32_e32 v49, 0x7e, v1
	v_cmp_ne_u64_e32 vcc, s[38:39], v[6:7]
	s_and_saveexec_b64 s[18:19], vcc
	s_xor_b64 s[52:53], exec, s[18:19]
	s_cbranch_execz .LBB6_3269
; %bb.3260:                             ;   in Loop: Header=BB6_3191 Depth=2
	v_and_b32_e32 v6, 0x7fffffff, v3
	v_mov_b32_e32 v7, v37
	v_cmp_gt_u64_e32 vcc, s[40:41], v[6:7]
	s_and_saveexec_b64 s[54:55], vcc
	s_cbranch_execz .LBB6_3268
; %bb.3261:                             ;   in Loop: Header=BB6_3191 Depth=2
	v_cmp_ne_u32_e32 vcc, 0, v3
	v_mov_b32_e32 v49, 0
	s_and_saveexec_b64 s[56:57], vcc
	s_cbranch_execz .LBB6_3267
; %bb.3262:                             ;   in Loop: Header=BB6_3191 Depth=2
	v_bfe_u32 v3, v3, 23, 8
	v_sub_u32_e32 v6, 0x79, v3
	v_cmp_gt_u32_e32 vcc, s72, v3
	v_add_u32_e32 v4, 0xffffff81, v3
	v_cndmask_b32_e32 v6, 0, v6, vcc
	v_cmp_eq_u32_e32 vcc, 0, v3
	v_mov_b32_e32 v3, 0xffffff82
	v_cndmask_b32_e32 v3, v4, v3, vcc
	v_mov_b32_e32 v4, 0x78
	v_cndmask_b32_e32 v4, v6, v4, vcc
	v_or_b32_e32 v7, 0x800000, v36
	v_add_u32_e32 v6, 20, v4
	v_cndmask_b32_e32 v36, v7, v36, vcc
	v_lshlrev_b64 v[6:7], v6, -1
	v_not_b32_e32 v6, v6
	v_and_b32_e32 v8, v36, v6
	v_add_u32_e32 v6, 19, v4
	v_lshrrev_b64 v[16:17], v4, v[36:37]
	v_not_b32_e32 v7, v7
	v_lshlrev_b64 v[14:15], v6, 1
	v_lshrrev_b32_e32 v6, 23, v16
	v_and_b32_e32 v9, 0, v7
	v_add3_u32 v6, v4, v3, v6
	v_bfe_u32 v3, v16, 20, 1
	v_add_u32_e32 v3, -1, v3
	v_cmp_eq_u64_e32 vcc, v[8:9], v[14:15]
	v_cndmask_b32_e32 v3, 0, v3, vcc
	v_add_u32_e32 v3, v3, v16
	v_and_b32_e32 v3, 0xfffff, v3
	v_add_co_u32_e32 v14, vcc, v3, v16
	v_add_u32_e32 v4, 6, v6
	v_addc_co_u32_e32 v15, vcc, 0, v17, vcc
	v_cmp_ne_u32_e32 vcc, 0, v4
                                        ; implicit-def: $vgpr3
	s_and_saveexec_b64 s[18:19], vcc
	s_xor_b64 s[18:19], exec, s[18:19]
; %bb.3263:                             ;   in Loop: Header=BB6_3191 Depth=2
	v_add_u32_e32 v3, 7, v6
	v_cmp_lt_u64_e32 vcc, s[44:45], v[14:15]
	v_cndmask_b32_e32 v3, v4, v3, vcc
	v_cndmask_b32_e64 v4, 0, 1, vcc
	v_lshrrev_b64 v[14:15], v4, v[14:15]
; %bb.3264:                             ;   in Loop: Header=BB6_3191 Depth=2
	s_andn2_saveexec_b64 s[18:19], s[18:19]
; %bb.3265:                             ;   in Loop: Header=BB6_3191 Depth=2
	v_bfe_u32 v3, v14, 23, 1
; %bb.3266:                             ;   in Loop: Header=BB6_3191 Depth=2
	s_or_b64 exec, exec, s[18:19]
	v_lshrrev_b64 v[6:7], 20, v[14:15]
	v_cmp_gt_i32_e32 vcc, 16, v3
	v_cndmask_b32_e32 v7, 0, v7, vcc
	v_cndmask_b32_e32 v6, 7, v6, vcc
	v_cmp_eq_u32_e32 vcc, 0, v3
	v_min_i32_e32 v3, 15, v3
	v_cmp_eq_u64_e64 s[18:19], 0, v[6:7]
	v_lshlrev_b32_e32 v3, 3, v3
	v_and_or_b32 v3, v6, 7, v3
	s_and_b64 s[18:19], vcc, s[18:19]
	v_cndmask_b32_e64 v3, v3, 0, s[18:19]
	v_or_b32_e32 v49, v3, v1
.LBB6_3267:                             ;   in Loop: Header=BB6_3191 Depth=2
	s_or_b64 exec, exec, s[56:57]
.LBB6_3268:                             ;   in Loop: Header=BB6_3191 Depth=2
	s_or_b64 exec, exec, s[54:55]
                                        ; implicit-def: $vgpr3
.LBB6_3269:                             ;   in Loop: Header=BB6_3191 Depth=2
	s_andn2_saveexec_b64 s[18:19], s[52:53]
; %bb.3270:                             ;   in Loop: Header=BB6_3191 Depth=2
	v_or_b32_sdwa v1, v3, s69 dst_sel:DWORD dst_unused:UNUSED_PAD src0_sel:BYTE_3 src1_sel:DWORD
	v_cmp_eq_u64_e32 vcc, 0, v[36:37]
	v_cndmask_b32_e32 v49, v1, v49, vcc
; %bb.3271:                             ;   in Loop: Header=BB6_3191 Depth=2
	s_or_b64 exec, exec, s[18:19]
	v_mov_b32_e32 v36, v11
	v_cmp_ne_u16_sdwa vcc, v11, v37 src0_sel:BYTE_0 src1_sel:DWORD
	v_mov_b32_e32 v1, 0
	s_and_saveexec_b64 s[18:19], vcc
	s_cbranch_execz .LBB6_3277
; %bb.3272:                             ;   in Loop: Header=BB6_3191 Depth=2
	v_cmp_ne_u16_sdwa vcc, v11, s71 src0_sel:BYTE_0 src1_sel:DWORD
	v_bfrev_b32_e32 v1, 1
	s_and_saveexec_b64 s[52:53], vcc
	s_cbranch_execz .LBB6_3276
; %bb.3273:                             ;   in Loop: Header=BB6_3191 Depth=2
	v_and_b32_e32 v3, 0x7f, v11
	v_cmp_ne_u32_e32 vcc, s69, v3
	v_mov_b32_e32 v1, 0x7f800001
	s_and_saveexec_b64 s[54:55], vcc
	s_cbranch_execz .LBB6_3275
; %bb.3274:                             ;   in Loop: Header=BB6_3191 Depth=2
	v_and_b32_e32 v1, 7, v11
	v_ffbh_u32_e32 v1, v1
	v_min_u32_e32 v1, 32, v1
	v_subrev_u32_e32 v6, 28, v1
	v_cmp_gt_u32_e32 vcc, 8, v3
	v_lshrrev_b32_e32 v4, 3, v3
	v_cndmask_b32_e32 v3, 0, v6, vcc
	v_sub_u32_e32 v1, 29, v1
	v_lshlrev_b64 v[6:7], v3, v[36:37]
	v_cndmask_b32_e32 v1, v4, v1, vcc
	v_lshlrev_b32_e32 v3, 20, v6
	v_lshlrev_b32_e32 v4, 24, v36
	v_and_b32_e32 v3, 0x700000, v3
	v_and_b32_e32 v4, 0x80000000, v4
	v_lshl_add_u32 v1, v1, 23, v21
	v_or3_b32 v1, v4, v1, v3
.LBB6_3275:                             ;   in Loop: Header=BB6_3191 Depth=2
	s_or_b64 exec, exec, s[54:55]
.LBB6_3276:                             ;   in Loop: Header=BB6_3191 Depth=2
	s_or_b64 exec, exec, s[52:53]
.LBB6_3277:                             ;   in Loop: Header=BB6_3191 Depth=2
	s_or_b64 exec, exec, s[18:19]
	v_mul_f32_e32 v3, v5, v1
	v_and_b32_sdwa v1, v3, s71 dst_sel:DWORD dst_unused:UNUSED_PAD src0_sel:BYTE_3 src1_sel:DWORD
	v_and_b32_e32 v8, 0x7f800000, v3
	v_mov_b32_e32 v9, v37
	v_and_b32_e32 v14, 0x7fffff, v3
	v_mov_b32_e32 v15, v37
	v_or_b32_e32 v6, 0x7e, v1
	v_cmp_ne_u64_e32 vcc, s[38:39], v[8:9]
	s_and_saveexec_b64 s[18:19], vcc
	s_xor_b64 s[52:53], exec, s[18:19]
	s_cbranch_execz .LBB6_3287
; %bb.3278:                             ;   in Loop: Header=BB6_3191 Depth=2
	v_and_b32_e32 v8, 0x7fffffff, v3
	v_mov_b32_e32 v9, v37
	v_cmp_gt_u64_e32 vcc, s[40:41], v[8:9]
	s_and_saveexec_b64 s[54:55], vcc
	s_cbranch_execz .LBB6_3286
; %bb.3279:                             ;   in Loop: Header=BB6_3191 Depth=2
	v_cmp_ne_u32_e32 vcc, 0, v3
	v_mov_b32_e32 v6, 0
	s_and_saveexec_b64 s[56:57], vcc
	s_cbranch_execz .LBB6_3285
; %bb.3280:                             ;   in Loop: Header=BB6_3191 Depth=2
	v_bfe_u32 v3, v3, 23, 8
	v_sub_u32_e32 v6, 0x79, v3
	v_cmp_gt_u32_e32 vcc, s72, v3
	v_add_u32_e32 v4, 0xffffff81, v3
	v_cndmask_b32_e32 v6, 0, v6, vcc
	v_cmp_eq_u32_e32 vcc, 0, v3
	v_mov_b32_e32 v3, 0xffffff82
	v_cndmask_b32_e32 v3, v4, v3, vcc
	v_mov_b32_e32 v4, 0x78
	v_cndmask_b32_e32 v4, v6, v4, vcc
	v_or_b32_e32 v7, 0x800000, v14
	v_add_u32_e32 v6, 20, v4
	v_cndmask_b32_e32 v14, v7, v14, vcc
	v_lshlrev_b64 v[6:7], v6, -1
	v_not_b32_e32 v6, v6
	v_and_b32_e32 v8, v14, v6
	v_add_u32_e32 v6, 19, v4
	v_lshrrev_b64 v[14:15], v4, v[14:15]
	v_not_b32_e32 v7, v7
	v_lshlrev_b64 v[16:17], v6, 1
	v_lshrrev_b32_e32 v6, 23, v14
	v_and_b32_e32 v9, 0, v7
	v_add3_u32 v6, v4, v3, v6
	v_bfe_u32 v3, v14, 20, 1
	v_add_u32_e32 v3, -1, v3
	v_cmp_eq_u64_e32 vcc, v[8:9], v[16:17]
	v_cndmask_b32_e32 v3, 0, v3, vcc
	v_add_u32_e32 v3, v3, v14
	v_and_b32_e32 v3, 0xfffff, v3
	v_add_co_u32_e32 v14, vcc, v3, v14
	v_add_u32_e32 v4, 6, v6
	v_addc_co_u32_e32 v15, vcc, 0, v15, vcc
	v_cmp_ne_u32_e32 vcc, 0, v4
                                        ; implicit-def: $vgpr3
	s_and_saveexec_b64 s[18:19], vcc
	s_xor_b64 s[18:19], exec, s[18:19]
; %bb.3281:                             ;   in Loop: Header=BB6_3191 Depth=2
	v_add_u32_e32 v3, 7, v6
	v_cmp_lt_u64_e32 vcc, s[44:45], v[14:15]
	v_cndmask_b32_e32 v3, v4, v3, vcc
	v_cndmask_b32_e64 v4, 0, 1, vcc
	v_lshrrev_b64 v[14:15], v4, v[14:15]
; %bb.3282:                             ;   in Loop: Header=BB6_3191 Depth=2
	s_andn2_saveexec_b64 s[18:19], s[18:19]
; %bb.3283:                             ;   in Loop: Header=BB6_3191 Depth=2
	v_bfe_u32 v3, v14, 23, 1
; %bb.3284:                             ;   in Loop: Header=BB6_3191 Depth=2
	s_or_b64 exec, exec, s[18:19]
	v_lshrrev_b64 v[6:7], 20, v[14:15]
	v_cmp_gt_i32_e32 vcc, 16, v3
	v_cndmask_b32_e32 v7, 0, v7, vcc
	v_cndmask_b32_e32 v6, 7, v6, vcc
	v_cmp_eq_u32_e32 vcc, 0, v3
	v_min_i32_e32 v3, 15, v3
	v_cmp_eq_u64_e64 s[18:19], 0, v[6:7]
	v_lshlrev_b32_e32 v3, 3, v3
	v_and_or_b32 v3, v6, 7, v3
	s_and_b64 s[18:19], vcc, s[18:19]
	v_cndmask_b32_e64 v3, v3, 0, s[18:19]
	v_or_b32_e32 v6, v3, v1
.LBB6_3285:                             ;   in Loop: Header=BB6_3191 Depth=2
	s_or_b64 exec, exec, s[56:57]
.LBB6_3286:                             ;   in Loop: Header=BB6_3191 Depth=2
	s_or_b64 exec, exec, s[54:55]
                                        ; implicit-def: $vgpr3
                                        ; implicit-def: $vgpr14_vgpr15
.LBB6_3287:                             ;   in Loop: Header=BB6_3191 Depth=2
	s_andn2_saveexec_b64 s[18:19], s[52:53]
; %bb.3288:                             ;   in Loop: Header=BB6_3191 Depth=2
	v_or_b32_sdwa v1, v3, s69 dst_sel:DWORD dst_unused:UNUSED_PAD src0_sel:BYTE_3 src1_sel:DWORD
	v_cmp_eq_u64_e32 vcc, 0, v[14:15]
	v_cndmask_b32_e32 v6, v1, v6, vcc
; %bb.3289:                             ;   in Loop: Header=BB6_3191 Depth=2
	s_or_b64 exec, exec, s[18:19]
	v_lshrrev_b16_e32 v14, 8, v36
	v_cmp_ne_u16_e32 vcc, 0, v14
	v_mov_b32_e32 v1, 0
	s_and_saveexec_b64 s[18:19], vcc
	s_cbranch_execz .LBB6_3295
; %bb.3290:                             ;   in Loop: Header=BB6_3191 Depth=2
	v_cmp_ne_u16_e32 vcc, s71, v14
	v_bfrev_b32_e32 v1, 1
	s_and_saveexec_b64 s[52:53], vcc
	s_cbranch_execz .LBB6_3294
; %bb.3291:                             ;   in Loop: Header=BB6_3191 Depth=2
	v_and_b32_e32 v3, 0x7f, v14
	v_cmp_ne_u32_e32 vcc, s69, v3
	v_mov_b32_e32 v1, 0x7f800001
	s_and_saveexec_b64 s[54:55], vcc
	s_cbranch_execz .LBB6_3293
; %bb.3292:                             ;   in Loop: Header=BB6_3191 Depth=2
	v_and_b32_e32 v1, 7, v14
	v_ffbh_u32_e32 v7, v1
	v_min_u32_e32 v7, 32, v7
	v_subrev_u32_e32 v8, 28, v7
	v_lshlrev_b64 v[8:9], v8, v[14:15]
	v_lshrrev_b32_e32 v4, 3, v3
	v_sub_u32_e32 v7, 29, v7
	v_and_b32_e32 v8, 7, v8
	v_cmp_gt_u32_e32 vcc, 8, v3
	v_cndmask_b32_e32 v3, v4, v7, vcc
	v_cndmask_b32_e32 v1, v1, v8, vcc
	v_lshlrev_b32_e32 v4, 16, v36
	v_lshlrev_b32_e32 v1, 20, v1
	v_and_b32_e32 v4, 0x80000000, v4
	v_lshl_add_u32 v3, v3, 23, v21
	v_or3_b32 v1, v4, v3, v1
.LBB6_3293:                             ;   in Loop: Header=BB6_3191 Depth=2
	s_or_b64 exec, exec, s[54:55]
.LBB6_3294:                             ;   in Loop: Header=BB6_3191 Depth=2
	s_or_b64 exec, exec, s[52:53]
.LBB6_3295:                             ;   in Loop: Header=BB6_3191 Depth=2
	s_or_b64 exec, exec, s[18:19]
	v_mul_f32_e32 v3, v5, v1
	v_and_b32_sdwa v1, v3, s71 dst_sel:DWORD dst_unused:UNUSED_PAD src0_sel:BYTE_3 src1_sel:DWORD
	v_and_b32_e32 v8, 0x7f800000, v3
	v_mov_b32_e32 v9, v37
	v_and_b32_e32 v36, 0x7fffff, v3
	v_or_b32_e32 v57, 0x7e, v1
	v_cmp_ne_u64_e32 vcc, s[38:39], v[8:9]
	s_and_saveexec_b64 s[18:19], vcc
	s_xor_b64 s[52:53], exec, s[18:19]
	s_cbranch_execz .LBB6_3305
; %bb.3296:                             ;   in Loop: Header=BB6_3191 Depth=2
	v_and_b32_e32 v8, 0x7fffffff, v3
	v_mov_b32_e32 v9, v37
	v_cmp_gt_u64_e32 vcc, s[40:41], v[8:9]
	s_and_saveexec_b64 s[54:55], vcc
	s_cbranch_execz .LBB6_3304
; %bb.3297:                             ;   in Loop: Header=BB6_3191 Depth=2
	v_cmp_ne_u32_e32 vcc, 0, v3
	v_mov_b32_e32 v57, 0
	s_and_saveexec_b64 s[56:57], vcc
	s_cbranch_execz .LBB6_3303
; %bb.3298:                             ;   in Loop: Header=BB6_3191 Depth=2
	v_bfe_u32 v3, v3, 23, 8
	v_sub_u32_e32 v7, 0x79, v3
	v_cmp_gt_u32_e32 vcc, s72, v3
	v_add_u32_e32 v4, 0xffffff81, v3
	v_cndmask_b32_e32 v7, 0, v7, vcc
	v_cmp_eq_u32_e32 vcc, 0, v3
	v_mov_b32_e32 v3, 0xffffff82
	v_cndmask_b32_e32 v3, v4, v3, vcc
	v_mov_b32_e32 v4, 0x78
	v_cndmask_b32_e32 v4, v7, v4, vcc
	v_or_b32_e32 v8, 0x800000, v36
	v_add_u32_e32 v7, 20, v4
	v_cndmask_b32_e32 v36, v8, v36, vcc
	v_lshlrev_b64 v[8:9], v7, -1
	v_not_b32_e32 v7, v9
	v_and_b32_e32 v9, 0, v7
	v_add_u32_e32 v7, 19, v4
	v_lshrrev_b64 v[16:17], v4, v[36:37]
	v_not_b32_e32 v8, v8
	v_lshlrev_b64 v[14:15], v7, 1
	v_lshrrev_b32_e32 v7, 23, v16
	v_and_b32_e32 v8, v36, v8
	v_add3_u32 v7, v4, v3, v7
	v_bfe_u32 v3, v16, 20, 1
	v_add_u32_e32 v3, -1, v3
	v_cmp_eq_u64_e32 vcc, v[8:9], v[14:15]
	v_cndmask_b32_e32 v3, 0, v3, vcc
	v_add_u32_e32 v3, v3, v16
	v_and_b32_e32 v3, 0xfffff, v3
	v_add_co_u32_e32 v14, vcc, v3, v16
	v_add_u32_e32 v4, 6, v7
	v_addc_co_u32_e32 v15, vcc, 0, v17, vcc
	v_cmp_ne_u32_e32 vcc, 0, v4
                                        ; implicit-def: $vgpr3
	s_and_saveexec_b64 s[18:19], vcc
	s_xor_b64 s[18:19], exec, s[18:19]
; %bb.3299:                             ;   in Loop: Header=BB6_3191 Depth=2
	v_add_u32_e32 v3, 7, v7
	v_cmp_lt_u64_e32 vcc, s[44:45], v[14:15]
	v_cndmask_b32_e32 v3, v4, v3, vcc
	v_cndmask_b32_e64 v4, 0, 1, vcc
	v_lshrrev_b64 v[14:15], v4, v[14:15]
; %bb.3300:                             ;   in Loop: Header=BB6_3191 Depth=2
	s_andn2_saveexec_b64 s[18:19], s[18:19]
; %bb.3301:                             ;   in Loop: Header=BB6_3191 Depth=2
	v_bfe_u32 v3, v14, 23, 1
; %bb.3302:                             ;   in Loop: Header=BB6_3191 Depth=2
	s_or_b64 exec, exec, s[18:19]
	v_lshrrev_b64 v[8:9], 20, v[14:15]
	v_cmp_gt_i32_e32 vcc, 16, v3
	v_cndmask_b32_e32 v9, 0, v9, vcc
	v_cndmask_b32_e32 v8, 7, v8, vcc
	v_cmp_eq_u32_e32 vcc, 0, v3
	v_min_i32_e32 v3, 15, v3
	v_lshlrev_b32_e32 v3, 3, v3
	v_cmp_eq_u64_e64 s[18:19], 0, v[8:9]
	v_and_b32_e32 v3, 0xf8, v3
	v_and_or_b32 v3, v8, 7, v3
	s_and_b64 s[18:19], vcc, s[18:19]
	v_cndmask_b32_e64 v3, v3, 0, s[18:19]
	v_or_b32_e32 v57, v3, v1
.LBB6_3303:                             ;   in Loop: Header=BB6_3191 Depth=2
	s_or_b64 exec, exec, s[56:57]
.LBB6_3304:                             ;   in Loop: Header=BB6_3191 Depth=2
	s_or_b64 exec, exec, s[54:55]
                                        ; implicit-def: $vgpr3
.LBB6_3305:                             ;   in Loop: Header=BB6_3191 Depth=2
	s_andn2_saveexec_b64 s[18:19], s[52:53]
; %bb.3306:                             ;   in Loop: Header=BB6_3191 Depth=2
	v_or_b32_sdwa v1, v3, s69 dst_sel:DWORD dst_unused:UNUSED_PAD src0_sel:BYTE_3 src1_sel:DWORD
	v_cmp_eq_u64_e32 vcc, 0, v[36:37]
	v_cndmask_b32_e32 v57, v1, v57, vcc
; %bb.3307:                             ;   in Loop: Header=BB6_3191 Depth=2
	s_or_b64 exec, exec, s[18:19]
	v_lshrrev_b32_e32 v14, 16, v11
	v_cmp_ne_u16_sdwa vcc, v14, v37 src0_sel:BYTE_0 src1_sel:DWORD
	v_mov_b32_e32 v1, 0
	s_and_saveexec_b64 s[18:19], vcc
	s_cbranch_execz .LBB6_3313
; %bb.3308:                             ;   in Loop: Header=BB6_3191 Depth=2
	v_cmp_ne_u16_sdwa vcc, v14, s71 src0_sel:BYTE_0 src1_sel:DWORD
	v_bfrev_b32_e32 v1, 1
	s_and_saveexec_b64 s[52:53], vcc
	s_cbranch_execz .LBB6_3312
; %bb.3309:                             ;   in Loop: Header=BB6_3191 Depth=2
	v_bfe_u32 v3, v11, 16, 7
	v_cmp_ne_u32_e32 vcc, s69, v3
	v_mov_b32_e32 v1, 0x7f800001
	s_and_saveexec_b64 s[54:55], vcc
	s_cbranch_execz .LBB6_3311
; %bb.3310:                             ;   in Loop: Header=BB6_3191 Depth=2
	v_and_b32_e32 v1, 7, v14
	v_ffbh_u32_e32 v7, v1
	v_min_u32_e32 v7, 32, v7
	v_subrev_u32_e32 v8, 28, v7
	v_lshlrev_b64 v[8:9], v8, v[14:15]
	v_lshrrev_b32_e32 v4, 3, v3
	v_sub_u32_e32 v7, 29, v7
	v_and_b32_e32 v8, 7, v8
	v_cmp_gt_u32_e32 vcc, 8, v3
	v_cndmask_b32_e32 v3, v4, v7, vcc
	v_cndmask_b32_e32 v1, v1, v8, vcc
	v_lshlrev_b32_e32 v4, 24, v14
	v_lshlrev_b32_e32 v1, 20, v1
	v_and_b32_e32 v4, 0x80000000, v4
	v_lshl_add_u32 v3, v3, 23, v21
	v_or3_b32 v1, v4, v3, v1
.LBB6_3311:                             ;   in Loop: Header=BB6_3191 Depth=2
	s_or_b64 exec, exec, s[54:55]
.LBB6_3312:                             ;   in Loop: Header=BB6_3191 Depth=2
	s_or_b64 exec, exec, s[52:53]
.LBB6_3313:                             ;   in Loop: Header=BB6_3191 Depth=2
	s_or_b64 exec, exec, s[18:19]
	v_mul_f32_e32 v3, v5, v1
	v_and_b32_sdwa v1, v3, s71 dst_sel:DWORD dst_unused:UNUSED_PAD src0_sel:BYTE_3 src1_sel:DWORD
	v_and_b32_e32 v8, 0x7f800000, v3
	v_mov_b32_e32 v9, v37
	v_and_b32_e32 v36, 0x7fffff, v3
	v_or_b32_e32 v62, 0x7e, v1
	v_cmp_ne_u64_e32 vcc, s[38:39], v[8:9]
	s_and_saveexec_b64 s[18:19], vcc
	s_xor_b64 s[52:53], exec, s[18:19]
	s_cbranch_execz .LBB6_3323
; %bb.3314:                             ;   in Loop: Header=BB6_3191 Depth=2
	v_and_b32_e32 v8, 0x7fffffff, v3
	v_mov_b32_e32 v9, v37
	v_cmp_gt_u64_e32 vcc, s[40:41], v[8:9]
	s_and_saveexec_b64 s[54:55], vcc
	s_cbranch_execz .LBB6_3322
; %bb.3315:                             ;   in Loop: Header=BB6_3191 Depth=2
	v_cmp_ne_u32_e32 vcc, 0, v3
	v_mov_b32_e32 v62, 0
	s_and_saveexec_b64 s[56:57], vcc
	s_cbranch_execz .LBB6_3321
; %bb.3316:                             ;   in Loop: Header=BB6_3191 Depth=2
	v_bfe_u32 v3, v3, 23, 8
	v_sub_u32_e32 v7, 0x79, v3
	v_cmp_gt_u32_e32 vcc, s72, v3
	v_add_u32_e32 v4, 0xffffff81, v3
	v_cndmask_b32_e32 v7, 0, v7, vcc
	v_cmp_eq_u32_e32 vcc, 0, v3
	v_mov_b32_e32 v3, 0xffffff82
	v_cndmask_b32_e32 v3, v4, v3, vcc
	v_mov_b32_e32 v4, 0x78
	v_cndmask_b32_e32 v4, v7, v4, vcc
	v_or_b32_e32 v8, 0x800000, v36
	v_add_u32_e32 v7, 20, v4
	v_cndmask_b32_e32 v36, v8, v36, vcc
	v_lshlrev_b64 v[8:9], v7, -1
	v_not_b32_e32 v7, v9
	v_and_b32_e32 v9, 0, v7
	v_add_u32_e32 v7, 19, v4
	v_lshrrev_b64 v[16:17], v4, v[36:37]
	v_not_b32_e32 v8, v8
	v_lshlrev_b64 v[14:15], v7, 1
	v_lshrrev_b32_e32 v7, 23, v16
	v_and_b32_e32 v8, v36, v8
	v_add3_u32 v7, v4, v3, v7
	v_bfe_u32 v3, v16, 20, 1
	v_add_u32_e32 v3, -1, v3
	v_cmp_eq_u64_e32 vcc, v[8:9], v[14:15]
	v_cndmask_b32_e32 v3, 0, v3, vcc
	v_add_u32_e32 v3, v3, v16
	v_and_b32_e32 v3, 0xfffff, v3
	v_add_co_u32_e32 v14, vcc, v3, v16
	v_add_u32_e32 v4, 6, v7
	v_addc_co_u32_e32 v15, vcc, 0, v17, vcc
	v_cmp_ne_u32_e32 vcc, 0, v4
                                        ; implicit-def: $vgpr3
	s_and_saveexec_b64 s[18:19], vcc
	s_xor_b64 s[18:19], exec, s[18:19]
; %bb.3317:                             ;   in Loop: Header=BB6_3191 Depth=2
	v_add_u32_e32 v3, 7, v7
	v_cmp_lt_u64_e32 vcc, s[44:45], v[14:15]
	v_cndmask_b32_e32 v3, v4, v3, vcc
	v_cndmask_b32_e64 v4, 0, 1, vcc
	v_lshrrev_b64 v[14:15], v4, v[14:15]
; %bb.3318:                             ;   in Loop: Header=BB6_3191 Depth=2
	s_andn2_saveexec_b64 s[18:19], s[18:19]
; %bb.3319:                             ;   in Loop: Header=BB6_3191 Depth=2
	v_bfe_u32 v3, v14, 23, 1
; %bb.3320:                             ;   in Loop: Header=BB6_3191 Depth=2
	s_or_b64 exec, exec, s[18:19]
	v_lshrrev_b64 v[8:9], 20, v[14:15]
	v_cmp_gt_i32_e32 vcc, 16, v3
	v_cndmask_b32_e32 v9, 0, v9, vcc
	v_cndmask_b32_e32 v8, 7, v8, vcc
	v_cmp_eq_u32_e32 vcc, 0, v3
	v_min_i32_e32 v3, 15, v3
	v_lshlrev_b32_e32 v3, 3, v3
	v_cmp_eq_u64_e64 s[18:19], 0, v[8:9]
	v_and_b32_e32 v3, 0xf8, v3
	v_and_or_b32 v3, v8, 7, v3
	s_and_b64 s[18:19], vcc, s[18:19]
	v_cndmask_b32_e64 v3, v3, 0, s[18:19]
	v_or_b32_e32 v62, v3, v1
.LBB6_3321:                             ;   in Loop: Header=BB6_3191 Depth=2
	s_or_b64 exec, exec, s[56:57]
.LBB6_3322:                             ;   in Loop: Header=BB6_3191 Depth=2
	s_or_b64 exec, exec, s[54:55]
                                        ; implicit-def: $vgpr3
.LBB6_3323:                             ;   in Loop: Header=BB6_3191 Depth=2
	s_andn2_saveexec_b64 s[18:19], s[52:53]
; %bb.3324:                             ;   in Loop: Header=BB6_3191 Depth=2
	v_or_b32_sdwa v1, v3, s69 dst_sel:DWORD dst_unused:UNUSED_PAD src0_sel:BYTE_3 src1_sel:DWORD
	v_cmp_eq_u64_e32 vcc, 0, v[36:37]
	v_cndmask_b32_e32 v62, v1, v62, vcc
; %bb.3325:                             ;   in Loop: Header=BB6_3191 Depth=2
	s_or_b64 exec, exec, s[18:19]
	v_cmp_lt_u64_e32 vcc, s[42:43], v[10:11]
	v_mov_b32_e32 v1, 0
	s_and_saveexec_b64 s[18:19], vcc
	s_cbranch_execz .LBB6_3331
; %bb.3326:                             ;   in Loop: Header=BB6_3191 Depth=2
	v_lshrrev_b32_e32 v10, 24, v11
	v_cmp_ne_u32_e32 vcc, s71, v10
	v_bfrev_b32_e32 v1, 1
	s_and_saveexec_b64 s[52:53], vcc
	s_cbranch_execz .LBB6_3330
; %bb.3327:                             ;   in Loop: Header=BB6_3191 Depth=2
	v_bfe_u32 v3, v11, 24, 7
	v_cmp_ne_u32_e32 vcc, s69, v3
	v_mov_b32_e32 v1, 0x7f800001
	s_and_saveexec_b64 s[54:55], vcc
	s_cbranch_execz .LBB6_3329
; %bb.3328:                             ;   in Loop: Header=BB6_3191 Depth=2
	v_and_b32_e32 v1, 7, v10
	v_ffbh_u32_e32 v7, v1
	v_min_u32_e32 v7, 32, v7
	v_subrev_u32_e32 v8, 28, v7
	v_lshlrev_b64 v[8:9], v8, v[10:11]
	v_lshrrev_b32_e32 v4, 3, v3
	v_sub_u32_e32 v7, 29, v7
	v_and_b32_e32 v8, 7, v8
	v_cmp_gt_u32_e32 vcc, 8, v3
	v_cndmask_b32_e32 v3, v4, v7, vcc
	v_cndmask_b32_e32 v1, v1, v8, vcc
	v_lshlrev_b32_e32 v4, 24, v10
	v_lshlrev_b32_e32 v1, 20, v1
	v_and_b32_e32 v4, 0x80000000, v4
	v_lshl_add_u32 v3, v3, 23, v21
	v_or3_b32 v1, v4, v3, v1
.LBB6_3329:                             ;   in Loop: Header=BB6_3191 Depth=2
	s_or_b64 exec, exec, s[54:55]
.LBB6_3330:                             ;   in Loop: Header=BB6_3191 Depth=2
	s_or_b64 exec, exec, s[52:53]
.LBB6_3331:                             ;   in Loop: Header=BB6_3191 Depth=2
	s_or_b64 exec, exec, s[18:19]
	v_mul_f32_e32 v3, v5, v1
	v_and_b32_sdwa v1, v3, s71 dst_sel:DWORD dst_unused:UNUSED_PAD src0_sel:BYTE_3 src1_sel:DWORD
	v_and_b32_e32 v8, 0x7f800000, v3
	v_mov_b32_e32 v9, v37
	v_and_b32_e32 v36, 0x7fffff, v3
	v_or_b32_e32 v25, 0x7e, v1
	v_cmp_ne_u64_e32 vcc, s[38:39], v[8:9]
	s_and_saveexec_b64 s[18:19], vcc
	s_xor_b64 s[52:53], exec, s[18:19]
	s_cbranch_execz .LBB6_3341
; %bb.3332:                             ;   in Loop: Header=BB6_3191 Depth=2
	v_and_b32_e32 v8, 0x7fffffff, v3
	v_mov_b32_e32 v9, v37
	v_cmp_gt_u64_e32 vcc, s[40:41], v[8:9]
	s_and_saveexec_b64 s[54:55], vcc
	s_cbranch_execz .LBB6_3340
; %bb.3333:                             ;   in Loop: Header=BB6_3191 Depth=2
	v_cmp_ne_u32_e32 vcc, 0, v3
	v_mov_b32_e32 v25, 0
	s_and_saveexec_b64 s[56:57], vcc
	s_cbranch_execz .LBB6_3339
; %bb.3334:                             ;   in Loop: Header=BB6_3191 Depth=2
	v_bfe_u32 v3, v3, 23, 8
	v_sub_u32_e32 v7, 0x79, v3
	v_cmp_gt_u32_e32 vcc, s72, v3
	v_add_u32_e32 v4, 0xffffff81, v3
	v_cndmask_b32_e32 v7, 0, v7, vcc
	v_cmp_eq_u32_e32 vcc, 0, v3
	v_mov_b32_e32 v3, 0xffffff82
	v_cndmask_b32_e32 v3, v4, v3, vcc
	v_mov_b32_e32 v4, 0x78
	v_cndmask_b32_e32 v4, v7, v4, vcc
	v_or_b32_e32 v8, 0x800000, v36
	v_add_u32_e32 v7, 20, v4
	v_cndmask_b32_e32 v36, v8, v36, vcc
	v_lshlrev_b64 v[8:9], v7, -1
	v_not_b32_e32 v7, v9
	v_and_b32_e32 v9, 0, v7
	v_add_u32_e32 v7, 19, v4
	v_lshrrev_b64 v[14:15], v4, v[36:37]
	v_not_b32_e32 v8, v8
	v_lshlrev_b64 v[10:11], v7, 1
	v_lshrrev_b32_e32 v7, 23, v14
	v_and_b32_e32 v8, v36, v8
	v_add3_u32 v7, v4, v3, v7
	v_bfe_u32 v3, v14, 20, 1
	v_add_u32_e32 v3, -1, v3
	v_cmp_eq_u64_e32 vcc, v[8:9], v[10:11]
	v_cndmask_b32_e32 v3, 0, v3, vcc
	v_add_u32_e32 v3, v3, v14
	v_and_b32_e32 v3, 0xfffff, v3
	v_add_co_u32_e32 v10, vcc, v3, v14
	v_add_u32_e32 v4, 6, v7
	v_addc_co_u32_e32 v11, vcc, 0, v15, vcc
	v_cmp_ne_u32_e32 vcc, 0, v4
                                        ; implicit-def: $vgpr3
	s_and_saveexec_b64 s[18:19], vcc
	s_xor_b64 s[18:19], exec, s[18:19]
; %bb.3335:                             ;   in Loop: Header=BB6_3191 Depth=2
	v_add_u32_e32 v3, 7, v7
	v_cmp_lt_u64_e32 vcc, s[44:45], v[10:11]
	v_cndmask_b32_e32 v3, v4, v3, vcc
	v_cndmask_b32_e64 v4, 0, 1, vcc
	v_lshrrev_b64 v[10:11], v4, v[10:11]
; %bb.3336:                             ;   in Loop: Header=BB6_3191 Depth=2
	s_andn2_saveexec_b64 s[18:19], s[18:19]
; %bb.3337:                             ;   in Loop: Header=BB6_3191 Depth=2
	v_bfe_u32 v3, v10, 23, 1
; %bb.3338:                             ;   in Loop: Header=BB6_3191 Depth=2
	s_or_b64 exec, exec, s[18:19]
	v_lshrrev_b64 v[8:9], 20, v[10:11]
	v_cmp_gt_i32_e32 vcc, 16, v3
	v_cndmask_b32_e32 v9, 0, v9, vcc
	v_cndmask_b32_e32 v8, 7, v8, vcc
	v_cmp_eq_u32_e32 vcc, 0, v3
	v_min_i32_e32 v3, 15, v3
	v_lshlrev_b32_e32 v3, 3, v3
	v_cmp_eq_u64_e64 s[18:19], 0, v[8:9]
	v_and_b32_e32 v3, 0xf8, v3
	v_and_or_b32 v3, v8, 7, v3
	s_and_b64 s[18:19], vcc, s[18:19]
	v_cndmask_b32_e64 v3, v3, 0, s[18:19]
	v_or_b32_e32 v25, v3, v1
.LBB6_3339:                             ;   in Loop: Header=BB6_3191 Depth=2
	s_or_b64 exec, exec, s[56:57]
.LBB6_3340:                             ;   in Loop: Header=BB6_3191 Depth=2
	s_or_b64 exec, exec, s[54:55]
                                        ; implicit-def: $vgpr3
.LBB6_3341:                             ;   in Loop: Header=BB6_3191 Depth=2
	s_andn2_saveexec_b64 s[18:19], s[52:53]
; %bb.3342:                             ;   in Loop: Header=BB6_3191 Depth=2
	v_or_b32_sdwa v1, v3, s69 dst_sel:DWORD dst_unused:UNUSED_PAD src0_sel:BYTE_3 src1_sel:DWORD
	v_cmp_eq_u64_e32 vcc, 0, v[36:37]
	v_cndmask_b32_e32 v25, v1, v25, vcc
; %bb.3343:                             ;   in Loop: Header=BB6_3191 Depth=2
	s_or_b64 exec, exec, s[18:19]
	v_cmp_ne_u16_sdwa vcc, v12, v37 src0_sel:BYTE_0 src1_sel:DWORD
	v_mov_b32_e32 v1, 0
	s_and_saveexec_b64 s[18:19], vcc
	s_cbranch_execz .LBB6_3349
; %bb.3344:                             ;   in Loop: Header=BB6_3191 Depth=2
	v_cmp_ne_u16_sdwa vcc, v12, s71 src0_sel:BYTE_0 src1_sel:DWORD
	v_bfrev_b32_e32 v1, 1
	s_and_saveexec_b64 s[52:53], vcc
	s_cbranch_execz .LBB6_3348
; %bb.3345:                             ;   in Loop: Header=BB6_3191 Depth=2
	v_and_b32_e32 v3, 0x7f, v12
	v_cmp_ne_u32_e32 vcc, s69, v3
	v_mov_b32_e32 v1, 0x7f800001
	s_and_saveexec_b64 s[54:55], vcc
	s_cbranch_execz .LBB6_3347
; %bb.3346:                             ;   in Loop: Header=BB6_3191 Depth=2
	v_and_b32_e32 v1, 7, v12
	v_ffbh_u32_e32 v1, v1
	v_min_u32_e32 v1, 32, v1
	v_subrev_u32_e32 v7, 28, v1
	v_cmp_gt_u32_e32 vcc, 8, v3
	v_lshrrev_b32_e32 v4, 3, v3
	v_cndmask_b32_e32 v3, 0, v7, vcc
	v_sub_u32_e32 v1, 29, v1
	v_lshlrev_b64 v[8:9], v3, v[12:13]
	v_cndmask_b32_e32 v1, v4, v1, vcc
	v_lshlrev_b32_e32 v3, 20, v8
	v_lshlrev_b32_e32 v4, 24, v12
	v_and_b32_e32 v3, 0x700000, v3
	v_and_b32_e32 v4, 0x80000000, v4
	v_lshl_add_u32 v1, v1, 23, v21
	v_or3_b32 v1, v4, v1, v3
.LBB6_3347:                             ;   in Loop: Header=BB6_3191 Depth=2
	s_or_b64 exec, exec, s[54:55]
.LBB6_3348:                             ;   in Loop: Header=BB6_3191 Depth=2
	s_or_b64 exec, exec, s[52:53]
.LBB6_3349:                             ;   in Loop: Header=BB6_3191 Depth=2
	s_or_b64 exec, exec, s[18:19]
	v_mul_f32_e32 v3, v5, v1
	v_and_b32_sdwa v1, v3, s71 dst_sel:DWORD dst_unused:UNUSED_PAD src0_sel:BYTE_3 src1_sel:DWORD
	v_and_b32_e32 v10, 0x7f800000, v3
	v_mov_b32_e32 v11, v37
	v_and_b32_e32 v36, 0x7fffff, v3
	v_or_b32_e32 v8, 0x7e, v1
	v_cmp_ne_u64_e32 vcc, s[38:39], v[10:11]
	s_and_saveexec_b64 s[18:19], vcc
	s_xor_b64 s[52:53], exec, s[18:19]
	s_cbranch_execz .LBB6_3359
; %bb.3350:                             ;   in Loop: Header=BB6_3191 Depth=2
	v_and_b32_e32 v10, 0x7fffffff, v3
	v_mov_b32_e32 v11, v37
	v_cmp_gt_u64_e32 vcc, s[40:41], v[10:11]
	s_and_saveexec_b64 s[54:55], vcc
	s_cbranch_execz .LBB6_3358
; %bb.3351:                             ;   in Loop: Header=BB6_3191 Depth=2
	v_cmp_ne_u32_e32 vcc, 0, v3
	v_mov_b32_e32 v8, 0
	s_and_saveexec_b64 s[56:57], vcc
	s_cbranch_execz .LBB6_3357
; %bb.3352:                             ;   in Loop: Header=BB6_3191 Depth=2
	v_bfe_u32 v3, v3, 23, 8
	v_sub_u32_e32 v7, 0x79, v3
	v_cmp_gt_u32_e32 vcc, s72, v3
	v_add_u32_e32 v4, 0xffffff81, v3
	v_cndmask_b32_e32 v7, 0, v7, vcc
	v_cmp_eq_u32_e32 vcc, 0, v3
	v_mov_b32_e32 v3, 0xffffff82
	v_cndmask_b32_e32 v3, v4, v3, vcc
	v_mov_b32_e32 v4, 0x78
	v_cndmask_b32_e32 v4, v7, v4, vcc
	v_or_b32_e32 v8, 0x800000, v36
	v_add_u32_e32 v7, 20, v4
	v_cndmask_b32_e32 v36, v8, v36, vcc
	v_lshlrev_b64 v[8:9], v7, -1
	v_not_b32_e32 v7, v9
	v_and_b32_e32 v9, 0, v7
	v_add_u32_e32 v7, 19, v4
	v_lshrrev_b64 v[14:15], v4, v[36:37]
	v_not_b32_e32 v8, v8
	v_lshlrev_b64 v[10:11], v7, 1
	v_lshrrev_b32_e32 v7, 23, v14
	v_and_b32_e32 v8, v36, v8
	v_add3_u32 v7, v4, v3, v7
	v_bfe_u32 v3, v14, 20, 1
	v_add_u32_e32 v3, -1, v3
	v_cmp_eq_u64_e32 vcc, v[8:9], v[10:11]
	v_cndmask_b32_e32 v3, 0, v3, vcc
	v_add_u32_e32 v3, v3, v14
	v_and_b32_e32 v3, 0xfffff, v3
	v_add_co_u32_e32 v10, vcc, v3, v14
	v_add_u32_e32 v4, 6, v7
	v_addc_co_u32_e32 v11, vcc, 0, v15, vcc
	v_cmp_ne_u32_e32 vcc, 0, v4
                                        ; implicit-def: $vgpr3
	s_and_saveexec_b64 s[18:19], vcc
	s_xor_b64 s[18:19], exec, s[18:19]
; %bb.3353:                             ;   in Loop: Header=BB6_3191 Depth=2
	v_add_u32_e32 v3, 7, v7
	v_cmp_lt_u64_e32 vcc, s[44:45], v[10:11]
	v_cndmask_b32_e32 v3, v4, v3, vcc
	v_cndmask_b32_e64 v4, 0, 1, vcc
	v_lshrrev_b64 v[10:11], v4, v[10:11]
; %bb.3354:                             ;   in Loop: Header=BB6_3191 Depth=2
	s_andn2_saveexec_b64 s[18:19], s[18:19]
; %bb.3355:                             ;   in Loop: Header=BB6_3191 Depth=2
	v_bfe_u32 v3, v10, 23, 1
; %bb.3356:                             ;   in Loop: Header=BB6_3191 Depth=2
	s_or_b64 exec, exec, s[18:19]
	v_lshrrev_b64 v[8:9], 20, v[10:11]
	v_cmp_gt_i32_e32 vcc, 16, v3
	v_cndmask_b32_e32 v9, 0, v9, vcc
	v_cndmask_b32_e32 v8, 7, v8, vcc
	v_cmp_eq_u32_e32 vcc, 0, v3
	v_min_i32_e32 v3, 15, v3
	v_cmp_eq_u64_e64 s[18:19], 0, v[8:9]
	v_lshlrev_b32_e32 v3, 3, v3
	v_and_or_b32 v3, v8, 7, v3
	s_and_b64 s[18:19], vcc, s[18:19]
	v_cndmask_b32_e64 v3, v3, 0, s[18:19]
	v_or_b32_e32 v8, v3, v1
.LBB6_3357:                             ;   in Loop: Header=BB6_3191 Depth=2
	s_or_b64 exec, exec, s[56:57]
.LBB6_3358:                             ;   in Loop: Header=BB6_3191 Depth=2
	s_or_b64 exec, exec, s[54:55]
                                        ; implicit-def: $vgpr3
.LBB6_3359:                             ;   in Loop: Header=BB6_3191 Depth=2
	s_andn2_saveexec_b64 s[18:19], s[52:53]
; %bb.3360:                             ;   in Loop: Header=BB6_3191 Depth=2
	v_or_b32_sdwa v1, v3, s69 dst_sel:DWORD dst_unused:UNUSED_PAD src0_sel:BYTE_3 src1_sel:DWORD
	v_cmp_eq_u64_e32 vcc, 0, v[36:37]
	v_cndmask_b32_e32 v8, v1, v8, vcc
; %bb.3361:                             ;   in Loop: Header=BB6_3191 Depth=2
	s_or_b64 exec, exec, s[18:19]
	v_lshrrev_b16_e32 v10, 8, v12
	v_cmp_ne_u16_e32 vcc, 0, v10
	v_mov_b32_e32 v1, 0
	s_and_saveexec_b64 s[18:19], vcc
	s_cbranch_execz .LBB6_3367
; %bb.3362:                             ;   in Loop: Header=BB6_3191 Depth=2
	v_cmp_ne_u16_e32 vcc, s71, v10
	v_bfrev_b32_e32 v1, 1
	s_and_saveexec_b64 s[52:53], vcc
	s_cbranch_execz .LBB6_3366
; %bb.3363:                             ;   in Loop: Header=BB6_3191 Depth=2
	v_and_b32_e32 v3, 0x7f, v10
	v_cmp_ne_u32_e32 vcc, s69, v3
	v_mov_b32_e32 v1, 0x7f800001
	s_and_saveexec_b64 s[54:55], vcc
	s_cbranch_execz .LBB6_3365
; %bb.3364:                             ;   in Loop: Header=BB6_3191 Depth=2
	v_and_b32_e32 v1, 7, v10
	v_ffbh_u32_e32 v7, v1
	v_min_u32_e32 v7, 32, v7
	v_subrev_u32_e32 v9, 28, v7
	v_lshlrev_b64 v[10:11], v9, v[10:11]
	v_lshrrev_b32_e32 v4, 3, v3
	v_sub_u32_e32 v7, 29, v7
	v_and_b32_e32 v9, 7, v10
	v_cmp_gt_u32_e32 vcc, 8, v3
	v_cndmask_b32_e32 v3, v4, v7, vcc
	v_cndmask_b32_e32 v1, v1, v9, vcc
	v_lshlrev_b32_e32 v4, 16, v12
	v_lshlrev_b32_e32 v1, 20, v1
	v_and_b32_e32 v4, 0x80000000, v4
	v_lshl_add_u32 v3, v3, 23, v21
	v_or3_b32 v1, v4, v3, v1
.LBB6_3365:                             ;   in Loop: Header=BB6_3191 Depth=2
	s_or_b64 exec, exec, s[54:55]
.LBB6_3366:                             ;   in Loop: Header=BB6_3191 Depth=2
	s_or_b64 exec, exec, s[52:53]
.LBB6_3367:                             ;   in Loop: Header=BB6_3191 Depth=2
	s_or_b64 exec, exec, s[18:19]
	v_mul_f32_e32 v3, v5, v1
	v_and_b32_sdwa v1, v3, s71 dst_sel:DWORD dst_unused:UNUSED_PAD src0_sel:BYTE_3 src1_sel:DWORD
	v_and_b32_e32 v10, 0x7f800000, v3
	v_mov_b32_e32 v11, v37
	v_and_b32_e32 v36, 0x7fffff, v3
	v_or_b32_e32 v31, 0x7e, v1
	v_cmp_ne_u64_e32 vcc, s[38:39], v[10:11]
	s_and_saveexec_b64 s[18:19], vcc
	s_xor_b64 s[52:53], exec, s[18:19]
	s_cbranch_execz .LBB6_3377
; %bb.3368:                             ;   in Loop: Header=BB6_3191 Depth=2
	v_and_b32_e32 v10, 0x7fffffff, v3
	v_mov_b32_e32 v11, v37
	v_cmp_gt_u64_e32 vcc, s[40:41], v[10:11]
	s_and_saveexec_b64 s[54:55], vcc
	s_cbranch_execz .LBB6_3376
; %bb.3369:                             ;   in Loop: Header=BB6_3191 Depth=2
	v_cmp_ne_u32_e32 vcc, 0, v3
	v_mov_b32_e32 v31, 0
	s_and_saveexec_b64 s[56:57], vcc
	s_cbranch_execz .LBB6_3375
; %bb.3370:                             ;   in Loop: Header=BB6_3191 Depth=2
	v_bfe_u32 v3, v3, 23, 8
	v_sub_u32_e32 v7, 0x79, v3
	v_cmp_gt_u32_e32 vcc, s72, v3
	v_add_u32_e32 v4, 0xffffff81, v3
	v_cndmask_b32_e32 v7, 0, v7, vcc
	v_cmp_eq_u32_e32 vcc, 0, v3
	v_mov_b32_e32 v3, 0xffffff82
	v_cndmask_b32_e32 v3, v4, v3, vcc
	v_mov_b32_e32 v4, 0x78
	v_cndmask_b32_e32 v4, v7, v4, vcc
	v_add_u32_e32 v7, 20, v4
	v_or_b32_e32 v9, 0x800000, v36
	v_lshlrev_b64 v[10:11], v7, -1
	v_cndmask_b32_e32 v36, v9, v36, vcc
	v_not_b32_e32 v7, v11
	v_and_b32_e32 v11, 0, v7
	v_add_u32_e32 v7, 19, v4
	v_lshrrev_b64 v[16:17], v4, v[36:37]
	v_not_b32_e32 v9, v10
	v_lshlrev_b64 v[14:15], v7, 1
	v_lshrrev_b32_e32 v7, 23, v16
	v_and_b32_e32 v10, v36, v9
	v_add3_u32 v7, v4, v3, v7
	v_bfe_u32 v3, v16, 20, 1
	v_add_u32_e32 v3, -1, v3
	v_cmp_eq_u64_e32 vcc, v[10:11], v[14:15]
	v_cndmask_b32_e32 v3, 0, v3, vcc
	v_add_u32_e32 v3, v3, v16
	v_and_b32_e32 v3, 0xfffff, v3
	v_add_co_u32_e32 v10, vcc, v3, v16
	v_add_u32_e32 v4, 6, v7
	v_addc_co_u32_e32 v11, vcc, 0, v17, vcc
	v_cmp_ne_u32_e32 vcc, 0, v4
                                        ; implicit-def: $vgpr3
	s_and_saveexec_b64 s[18:19], vcc
	s_xor_b64 s[18:19], exec, s[18:19]
; %bb.3371:                             ;   in Loop: Header=BB6_3191 Depth=2
	v_add_u32_e32 v3, 7, v7
	v_cmp_lt_u64_e32 vcc, s[44:45], v[10:11]
	v_cndmask_b32_e32 v3, v4, v3, vcc
	v_cndmask_b32_e64 v4, 0, 1, vcc
	v_lshrrev_b64 v[10:11], v4, v[10:11]
; %bb.3372:                             ;   in Loop: Header=BB6_3191 Depth=2
	s_andn2_saveexec_b64 s[18:19], s[18:19]
; %bb.3373:                             ;   in Loop: Header=BB6_3191 Depth=2
	v_bfe_u32 v3, v10, 23, 1
; %bb.3374:                             ;   in Loop: Header=BB6_3191 Depth=2
	s_or_b64 exec, exec, s[18:19]
	v_lshrrev_b64 v[10:11], 20, v[10:11]
	v_cmp_gt_i32_e32 vcc, 16, v3
	v_cndmask_b32_e32 v11, 0, v11, vcc
	v_cndmask_b32_e32 v10, 7, v10, vcc
	v_cmp_eq_u32_e32 vcc, 0, v3
	v_min_i32_e32 v3, 15, v3
	v_cmp_eq_u64_e64 s[18:19], 0, v[10:11]
	v_lshlrev_b32_e32 v3, 3, v3
	v_and_or_b32 v3, v10, 7, v3
	s_and_b64 s[18:19], vcc, s[18:19]
	v_cndmask_b32_e64 v3, v3, 0, s[18:19]
	v_or_b32_e32 v31, v3, v1
.LBB6_3375:                             ;   in Loop: Header=BB6_3191 Depth=2
	s_or_b64 exec, exec, s[56:57]
.LBB6_3376:                             ;   in Loop: Header=BB6_3191 Depth=2
	s_or_b64 exec, exec, s[54:55]
                                        ; implicit-def: $vgpr3
.LBB6_3377:                             ;   in Loop: Header=BB6_3191 Depth=2
	s_andn2_saveexec_b64 s[18:19], s[52:53]
; %bb.3378:                             ;   in Loop: Header=BB6_3191 Depth=2
	v_or_b32_sdwa v1, v3, s69 dst_sel:DWORD dst_unused:UNUSED_PAD src0_sel:BYTE_3 src1_sel:DWORD
	v_cmp_eq_u64_e32 vcc, 0, v[36:37]
	v_cndmask_b32_e32 v31, v1, v31, vcc
; %bb.3379:                             ;   in Loop: Header=BB6_3191 Depth=2
	s_or_b64 exec, exec, s[18:19]
	v_lshrrev_b32_e32 v10, 16, v12
	v_cmp_ne_u16_sdwa vcc, v10, v37 src0_sel:BYTE_0 src1_sel:DWORD
	v_mov_b32_e32 v1, 0
	s_and_saveexec_b64 s[18:19], vcc
	s_cbranch_execz .LBB6_3385
; %bb.3380:                             ;   in Loop: Header=BB6_3191 Depth=2
	v_cmp_ne_u16_sdwa vcc, v10, s71 src0_sel:BYTE_0 src1_sel:DWORD
	v_bfrev_b32_e32 v1, 1
	s_and_saveexec_b64 s[52:53], vcc
	s_cbranch_execz .LBB6_3384
; %bb.3381:                             ;   in Loop: Header=BB6_3191 Depth=2
	v_bfe_u32 v3, v12, 16, 7
	v_cmp_ne_u32_e32 vcc, s69, v3
	v_mov_b32_e32 v1, 0x7f800001
	s_and_saveexec_b64 s[54:55], vcc
	s_cbranch_execz .LBB6_3383
; %bb.3382:                             ;   in Loop: Header=BB6_3191 Depth=2
	v_and_b32_e32 v1, 7, v10
	v_ffbh_u32_e32 v7, v1
	v_min_u32_e32 v7, 32, v7
	v_subrev_u32_e32 v9, 28, v7
	v_lshlrev_b64 v[14:15], v9, v[10:11]
	v_lshrrev_b32_e32 v4, 3, v3
	v_sub_u32_e32 v7, 29, v7
	v_and_b32_e32 v9, 7, v14
	v_cmp_gt_u32_e32 vcc, 8, v3
	v_cndmask_b32_e32 v3, v4, v7, vcc
	v_cndmask_b32_e32 v1, v1, v9, vcc
	v_lshlrev_b32_e32 v4, 24, v10
	v_lshlrev_b32_e32 v1, 20, v1
	v_and_b32_e32 v4, 0x80000000, v4
	v_lshl_add_u32 v3, v3, 23, v21
	v_or3_b32 v1, v4, v3, v1
.LBB6_3383:                             ;   in Loop: Header=BB6_3191 Depth=2
	s_or_b64 exec, exec, s[54:55]
.LBB6_3384:                             ;   in Loop: Header=BB6_3191 Depth=2
	s_or_b64 exec, exec, s[52:53]
.LBB6_3385:                             ;   in Loop: Header=BB6_3191 Depth=2
	s_or_b64 exec, exec, s[18:19]
	v_mul_f32_e32 v3, v5, v1
	v_and_b32_sdwa v1, v3, s71 dst_sel:DWORD dst_unused:UNUSED_PAD src0_sel:BYTE_3 src1_sel:DWORD
	v_and_b32_e32 v10, 0x7f800000, v3
	v_mov_b32_e32 v11, v37
	v_and_b32_e32 v36, 0x7fffff, v3
	v_or_b32_e32 v58, 0x7e, v1
	v_cmp_ne_u64_e32 vcc, s[38:39], v[10:11]
	s_and_saveexec_b64 s[18:19], vcc
	s_xor_b64 s[52:53], exec, s[18:19]
	s_cbranch_execz .LBB6_3395
; %bb.3386:                             ;   in Loop: Header=BB6_3191 Depth=2
	v_and_b32_e32 v10, 0x7fffffff, v3
	v_mov_b32_e32 v11, v37
	v_cmp_gt_u64_e32 vcc, s[40:41], v[10:11]
	s_and_saveexec_b64 s[54:55], vcc
	s_cbranch_execz .LBB6_3394
; %bb.3387:                             ;   in Loop: Header=BB6_3191 Depth=2
	v_cmp_ne_u32_e32 vcc, 0, v3
	v_mov_b32_e32 v58, 0
	s_and_saveexec_b64 s[56:57], vcc
	s_cbranch_execz .LBB6_3393
; %bb.3388:                             ;   in Loop: Header=BB6_3191 Depth=2
	v_bfe_u32 v3, v3, 23, 8
	v_sub_u32_e32 v7, 0x79, v3
	v_cmp_gt_u32_e32 vcc, s72, v3
	v_add_u32_e32 v4, 0xffffff81, v3
	v_cndmask_b32_e32 v7, 0, v7, vcc
	v_cmp_eq_u32_e32 vcc, 0, v3
	v_mov_b32_e32 v3, 0xffffff82
	v_cndmask_b32_e32 v3, v4, v3, vcc
	v_mov_b32_e32 v4, 0x78
	v_cndmask_b32_e32 v4, v7, v4, vcc
	v_add_u32_e32 v7, 20, v4
	v_or_b32_e32 v9, 0x800000, v36
	v_lshlrev_b64 v[10:11], v7, -1
	v_cndmask_b32_e32 v36, v9, v36, vcc
	v_not_b32_e32 v7, v11
	v_and_b32_e32 v11, 0, v7
	v_add_u32_e32 v7, 19, v4
	v_lshrrev_b64 v[16:17], v4, v[36:37]
	v_not_b32_e32 v9, v10
	v_lshlrev_b64 v[14:15], v7, 1
	v_lshrrev_b32_e32 v7, 23, v16
	v_and_b32_e32 v10, v36, v9
	v_add3_u32 v7, v4, v3, v7
	v_bfe_u32 v3, v16, 20, 1
	v_add_u32_e32 v3, -1, v3
	v_cmp_eq_u64_e32 vcc, v[10:11], v[14:15]
	v_cndmask_b32_e32 v3, 0, v3, vcc
	v_add_u32_e32 v3, v3, v16
	v_and_b32_e32 v3, 0xfffff, v3
	v_add_co_u32_e32 v10, vcc, v3, v16
	v_add_u32_e32 v4, 6, v7
	v_addc_co_u32_e32 v11, vcc, 0, v17, vcc
	v_cmp_ne_u32_e32 vcc, 0, v4
                                        ; implicit-def: $vgpr3
	s_and_saveexec_b64 s[18:19], vcc
	s_xor_b64 s[18:19], exec, s[18:19]
; %bb.3389:                             ;   in Loop: Header=BB6_3191 Depth=2
	v_add_u32_e32 v3, 7, v7
	v_cmp_lt_u64_e32 vcc, s[44:45], v[10:11]
	v_cndmask_b32_e32 v3, v4, v3, vcc
	v_cndmask_b32_e64 v4, 0, 1, vcc
	v_lshrrev_b64 v[10:11], v4, v[10:11]
; %bb.3390:                             ;   in Loop: Header=BB6_3191 Depth=2
	s_andn2_saveexec_b64 s[18:19], s[18:19]
; %bb.3391:                             ;   in Loop: Header=BB6_3191 Depth=2
	v_bfe_u32 v3, v10, 23, 1
; %bb.3392:                             ;   in Loop: Header=BB6_3191 Depth=2
	s_or_b64 exec, exec, s[18:19]
	v_lshrrev_b64 v[10:11], 20, v[10:11]
	v_cmp_gt_i32_e32 vcc, 16, v3
	v_cndmask_b32_e32 v11, 0, v11, vcc
	v_cndmask_b32_e32 v10, 7, v10, vcc
	v_cmp_eq_u32_e32 vcc, 0, v3
	v_min_i32_e32 v3, 15, v3
	v_cmp_eq_u64_e64 s[18:19], 0, v[10:11]
	v_lshlrev_b32_e32 v3, 3, v3
	v_and_or_b32 v3, v10, 7, v3
	s_and_b64 s[18:19], vcc, s[18:19]
	v_cndmask_b32_e64 v3, v3, 0, s[18:19]
	v_or_b32_e32 v58, v3, v1
.LBB6_3393:                             ;   in Loop: Header=BB6_3191 Depth=2
	s_or_b64 exec, exec, s[56:57]
.LBB6_3394:                             ;   in Loop: Header=BB6_3191 Depth=2
	s_or_b64 exec, exec, s[54:55]
                                        ; implicit-def: $vgpr3
.LBB6_3395:                             ;   in Loop: Header=BB6_3191 Depth=2
	s_andn2_saveexec_b64 s[18:19], s[52:53]
; %bb.3396:                             ;   in Loop: Header=BB6_3191 Depth=2
	v_or_b32_sdwa v1, v3, s69 dst_sel:DWORD dst_unused:UNUSED_PAD src0_sel:BYTE_3 src1_sel:DWORD
	v_cmp_eq_u64_e32 vcc, 0, v[36:37]
	v_cndmask_b32_e32 v58, v1, v58, vcc
; %bb.3397:                             ;   in Loop: Header=BB6_3191 Depth=2
	s_or_b64 exec, exec, s[18:19]
	v_cmp_lt_u32_e32 vcc, s43, v12
	v_mov_b32_e32 v1, 0
	s_and_saveexec_b64 s[18:19], vcc
	s_cbranch_execz .LBB6_3403
; %bb.3398:                             ;   in Loop: Header=BB6_3191 Depth=2
	v_lshrrev_b32_e32 v10, 24, v12
	v_cmp_ne_u32_e32 vcc, s71, v10
	v_bfrev_b32_e32 v1, 1
	s_and_saveexec_b64 s[52:53], vcc
	s_cbranch_execz .LBB6_3402
; %bb.3399:                             ;   in Loop: Header=BB6_3191 Depth=2
	v_bfe_u32 v3, v12, 24, 7
	v_cmp_ne_u32_e32 vcc, s69, v3
	v_mov_b32_e32 v1, 0x7f800001
	s_and_saveexec_b64 s[54:55], vcc
	s_cbranch_execz .LBB6_3401
; %bb.3400:                             ;   in Loop: Header=BB6_3191 Depth=2
	v_and_b32_e32 v1, 7, v10
	v_ffbh_u32_e32 v7, v1
	v_min_u32_e32 v7, 32, v7
	v_subrev_u32_e32 v9, 28, v7
	v_lshlrev_b64 v[14:15], v9, v[10:11]
	v_lshrrev_b32_e32 v4, 3, v3
	v_sub_u32_e32 v7, 29, v7
	v_and_b32_e32 v9, 7, v14
	v_cmp_gt_u32_e32 vcc, 8, v3
	v_cndmask_b32_e32 v3, v4, v7, vcc
	v_cndmask_b32_e32 v1, v1, v9, vcc
	v_lshlrev_b32_e32 v4, 24, v10
	v_lshlrev_b32_e32 v1, 20, v1
	v_and_b32_e32 v4, 0x80000000, v4
	v_lshl_add_u32 v3, v3, 23, v21
	v_or3_b32 v1, v4, v3, v1
.LBB6_3401:                             ;   in Loop: Header=BB6_3191 Depth=2
	s_or_b64 exec, exec, s[54:55]
.LBB6_3402:                             ;   in Loop: Header=BB6_3191 Depth=2
	s_or_b64 exec, exec, s[52:53]
.LBB6_3403:                             ;   in Loop: Header=BB6_3191 Depth=2
	s_or_b64 exec, exec, s[18:19]
	v_mul_f32_e32 v3, v5, v1
	v_and_b32_sdwa v1, v3, s71 dst_sel:DWORD dst_unused:UNUSED_PAD src0_sel:BYTE_3 src1_sel:DWORD
	v_and_b32_e32 v10, 0x7f800000, v3
	v_mov_b32_e32 v11, v37
	v_and_b32_e32 v36, 0x7fffff, v3
	v_or_b32_e32 v7, 0x7e, v1
	v_cmp_ne_u64_e32 vcc, s[38:39], v[10:11]
	s_and_saveexec_b64 s[18:19], vcc
	s_xor_b64 s[52:53], exec, s[18:19]
	s_cbranch_execz .LBB6_3413
; %bb.3404:                             ;   in Loop: Header=BB6_3191 Depth=2
	v_and_b32_e32 v10, 0x7fffffff, v3
	v_mov_b32_e32 v11, v37
	v_cmp_gt_u64_e32 vcc, s[40:41], v[10:11]
	s_and_saveexec_b64 s[54:55], vcc
	s_cbranch_execz .LBB6_3412
; %bb.3405:                             ;   in Loop: Header=BB6_3191 Depth=2
	v_cmp_ne_u32_e32 vcc, 0, v3
	v_mov_b32_e32 v7, 0
	s_and_saveexec_b64 s[56:57], vcc
	s_cbranch_execz .LBB6_3411
; %bb.3406:                             ;   in Loop: Header=BB6_3191 Depth=2
	v_bfe_u32 v3, v3, 23, 8
	v_sub_u32_e32 v7, 0x79, v3
	v_cmp_gt_u32_e32 vcc, s72, v3
	v_add_u32_e32 v4, 0xffffff81, v3
	v_cndmask_b32_e32 v7, 0, v7, vcc
	v_cmp_eq_u32_e32 vcc, 0, v3
	v_mov_b32_e32 v3, 0xffffff82
	v_cndmask_b32_e32 v3, v4, v3, vcc
	v_mov_b32_e32 v4, 0x78
	v_cndmask_b32_e32 v4, v7, v4, vcc
	v_add_u32_e32 v7, 20, v4
	v_or_b32_e32 v9, 0x800000, v36
	v_lshlrev_b64 v[10:11], v7, -1
	v_cndmask_b32_e32 v36, v9, v36, vcc
	v_not_b32_e32 v7, v11
	v_and_b32_e32 v11, 0, v7
	v_add_u32_e32 v7, 19, v4
	v_lshrrev_b64 v[16:17], v4, v[36:37]
	v_not_b32_e32 v9, v10
	v_lshlrev_b64 v[14:15], v7, 1
	v_lshrrev_b32_e32 v7, 23, v16
	v_and_b32_e32 v10, v36, v9
	v_add3_u32 v7, v4, v3, v7
	v_bfe_u32 v3, v16, 20, 1
	v_add_u32_e32 v3, -1, v3
	v_cmp_eq_u64_e32 vcc, v[10:11], v[14:15]
	v_cndmask_b32_e32 v3, 0, v3, vcc
	v_add_u32_e32 v3, v3, v16
	v_and_b32_e32 v3, 0xfffff, v3
	v_add_co_u32_e32 v10, vcc, v3, v16
	v_add_u32_e32 v4, 6, v7
	v_addc_co_u32_e32 v11, vcc, 0, v17, vcc
	v_cmp_ne_u32_e32 vcc, 0, v4
                                        ; implicit-def: $vgpr3
	s_and_saveexec_b64 s[18:19], vcc
	s_xor_b64 s[18:19], exec, s[18:19]
; %bb.3407:                             ;   in Loop: Header=BB6_3191 Depth=2
	v_add_u32_e32 v3, 7, v7
	v_cmp_lt_u64_e32 vcc, s[44:45], v[10:11]
	v_cndmask_b32_e32 v3, v4, v3, vcc
	v_cndmask_b32_e64 v4, 0, 1, vcc
	v_lshrrev_b64 v[10:11], v4, v[10:11]
; %bb.3408:                             ;   in Loop: Header=BB6_3191 Depth=2
	s_andn2_saveexec_b64 s[18:19], s[18:19]
; %bb.3409:                             ;   in Loop: Header=BB6_3191 Depth=2
	v_bfe_u32 v3, v10, 23, 1
; %bb.3410:                             ;   in Loop: Header=BB6_3191 Depth=2
	s_or_b64 exec, exec, s[18:19]
	v_lshrrev_b64 v[10:11], 20, v[10:11]
	v_cmp_gt_i32_e32 vcc, 16, v3
	v_cndmask_b32_e32 v11, 0, v11, vcc
	v_cndmask_b32_e32 v10, 7, v10, vcc
	v_cmp_eq_u32_e32 vcc, 0, v3
	v_min_i32_e32 v3, 15, v3
	v_cmp_eq_u64_e64 s[18:19], 0, v[10:11]
	v_lshlrev_b32_e32 v3, 3, v3
	v_and_or_b32 v3, v10, 7, v3
	s_and_b64 s[18:19], vcc, s[18:19]
	v_cndmask_b32_e64 v3, v3, 0, s[18:19]
	v_or_b32_e32 v7, v3, v1
.LBB6_3411:                             ;   in Loop: Header=BB6_3191 Depth=2
	s_or_b64 exec, exec, s[56:57]
.LBB6_3412:                             ;   in Loop: Header=BB6_3191 Depth=2
	s_or_b64 exec, exec, s[54:55]
                                        ; implicit-def: $vgpr3
.LBB6_3413:                             ;   in Loop: Header=BB6_3191 Depth=2
	s_andn2_saveexec_b64 s[18:19], s[52:53]
; %bb.3414:                             ;   in Loop: Header=BB6_3191 Depth=2
	v_or_b32_sdwa v1, v3, s69 dst_sel:DWORD dst_unused:UNUSED_PAD src0_sel:BYTE_3 src1_sel:DWORD
	v_cmp_eq_u64_e32 vcc, 0, v[36:37]
	v_cndmask_b32_e32 v7, v1, v7, vcc
; %bb.3415:                             ;   in Loop: Header=BB6_3191 Depth=2
	s_or_b64 exec, exec, s[18:19]
	v_mov_b32_e32 v36, v13
	v_cmp_ne_u16_sdwa vcc, v13, v37 src0_sel:BYTE_0 src1_sel:DWORD
	v_mov_b32_e32 v1, 0
	s_and_saveexec_b64 s[18:19], vcc
	s_cbranch_execz .LBB6_3421
; %bb.3416:                             ;   in Loop: Header=BB6_3191 Depth=2
	v_cmp_ne_u16_sdwa vcc, v13, s71 src0_sel:BYTE_0 src1_sel:DWORD
	v_bfrev_b32_e32 v1, 1
	s_and_saveexec_b64 s[52:53], vcc
	s_cbranch_execz .LBB6_3420
; %bb.3417:                             ;   in Loop: Header=BB6_3191 Depth=2
	v_and_b32_e32 v3, 0x7f, v13
	v_cmp_ne_u32_e32 vcc, s69, v3
	v_mov_b32_e32 v1, 0x7f800001
	s_and_saveexec_b64 s[54:55], vcc
	s_cbranch_execz .LBB6_3419
; %bb.3418:                             ;   in Loop: Header=BB6_3191 Depth=2
	v_and_b32_e32 v1, 7, v13
	v_ffbh_u32_e32 v1, v1
	v_min_u32_e32 v1, 32, v1
	v_subrev_u32_e32 v9, 28, v1
	v_cmp_gt_u32_e32 vcc, 8, v3
	v_lshrrev_b32_e32 v4, 3, v3
	v_cndmask_b32_e32 v3, 0, v9, vcc
	v_sub_u32_e32 v1, 29, v1
	v_lshlrev_b64 v[10:11], v3, v[36:37]
	v_cndmask_b32_e32 v1, v4, v1, vcc
	v_lshlrev_b32_e32 v3, 20, v10
	v_lshlrev_b32_e32 v4, 24, v36
	v_and_b32_e32 v3, 0x700000, v3
	v_and_b32_e32 v4, 0x80000000, v4
	v_lshl_add_u32 v1, v1, 23, v21
	v_or3_b32 v1, v4, v1, v3
.LBB6_3419:                             ;   in Loop: Header=BB6_3191 Depth=2
	s_or_b64 exec, exec, s[54:55]
.LBB6_3420:                             ;   in Loop: Header=BB6_3191 Depth=2
	s_or_b64 exec, exec, s[52:53]
.LBB6_3421:                             ;   in Loop: Header=BB6_3191 Depth=2
	s_or_b64 exec, exec, s[18:19]
	v_mul_f32_e32 v3, v5, v1
	v_and_b32_sdwa v1, v3, s71 dst_sel:DWORD dst_unused:UNUSED_PAD src0_sel:BYTE_3 src1_sel:DWORD
	v_and_b32_e32 v14, 0x7f800000, v3
	v_mov_b32_e32 v15, v37
	v_and_b32_e32 v10, 0x7fffff, v3
	v_mov_b32_e32 v11, v37
	v_or_b32_e32 v39, 0x7e, v1
	v_cmp_ne_u64_e32 vcc, s[38:39], v[14:15]
	s_and_saveexec_b64 s[18:19], vcc
	s_xor_b64 s[52:53], exec, s[18:19]
	s_cbranch_execz .LBB6_3431
; %bb.3422:                             ;   in Loop: Header=BB6_3191 Depth=2
	v_and_b32_e32 v14, 0x7fffffff, v3
	v_mov_b32_e32 v15, v37
	v_cmp_gt_u64_e32 vcc, s[40:41], v[14:15]
	s_and_saveexec_b64 s[54:55], vcc
	s_cbranch_execz .LBB6_3430
; %bb.3423:                             ;   in Loop: Header=BB6_3191 Depth=2
	v_cmp_ne_u32_e32 vcc, 0, v3
	v_mov_b32_e32 v39, 0
	s_and_saveexec_b64 s[56:57], vcc
	s_cbranch_execz .LBB6_3429
; %bb.3424:                             ;   in Loop: Header=BB6_3191 Depth=2
	v_bfe_u32 v3, v3, 23, 8
	v_sub_u32_e32 v9, 0x79, v3
	v_cmp_gt_u32_e32 vcc, s72, v3
	v_add_u32_e32 v4, 0xffffff81, v3
	v_cndmask_b32_e32 v9, 0, v9, vcc
	v_cmp_eq_u32_e32 vcc, 0, v3
	v_mov_b32_e32 v3, 0xffffff82
	v_cndmask_b32_e32 v3, v4, v3, vcc
	v_mov_b32_e32 v4, 0x78
	v_cndmask_b32_e32 v4, v9, v4, vcc
	v_or_b32_e32 v14, 0x800000, v10
	v_add_u32_e32 v9, 20, v4
	v_cndmask_b32_e32 v10, v14, v10, vcc
	v_lshlrev_b64 v[14:15], v9, -1
	v_not_b32_e32 v9, v15
	v_not_b32_e32 v14, v14
	v_and_b32_e32 v15, 0, v9
	v_and_b32_e32 v14, v10, v14
	v_add_u32_e32 v9, 19, v4
	v_lshrrev_b64 v[10:11], v4, v[10:11]
	v_lshlrev_b64 v[16:17], v9, 1
	v_lshrrev_b32_e32 v9, 23, v10
	v_add3_u32 v9, v4, v3, v9
	v_bfe_u32 v3, v10, 20, 1
	v_add_u32_e32 v3, -1, v3
	v_cmp_eq_u64_e32 vcc, v[14:15], v[16:17]
	v_cndmask_b32_e32 v3, 0, v3, vcc
	v_add_u32_e32 v3, v3, v10
	v_and_b32_e32 v3, 0xfffff, v3
	v_add_co_u32_e32 v10, vcc, v3, v10
	v_add_u32_e32 v4, 6, v9
	v_addc_co_u32_e32 v11, vcc, 0, v11, vcc
	v_cmp_ne_u32_e32 vcc, 0, v4
                                        ; implicit-def: $vgpr3
	s_and_saveexec_b64 s[18:19], vcc
	s_xor_b64 s[18:19], exec, s[18:19]
; %bb.3425:                             ;   in Loop: Header=BB6_3191 Depth=2
	v_add_u32_e32 v3, 7, v9
	v_cmp_lt_u64_e32 vcc, s[44:45], v[10:11]
	v_cndmask_b32_e32 v3, v4, v3, vcc
	v_cndmask_b32_e64 v4, 0, 1, vcc
	v_lshrrev_b64 v[10:11], v4, v[10:11]
; %bb.3426:                             ;   in Loop: Header=BB6_3191 Depth=2
	s_andn2_saveexec_b64 s[18:19], s[18:19]
; %bb.3427:                             ;   in Loop: Header=BB6_3191 Depth=2
	v_bfe_u32 v3, v10, 23, 1
; %bb.3428:                             ;   in Loop: Header=BB6_3191 Depth=2
	s_or_b64 exec, exec, s[18:19]
	v_lshrrev_b64 v[10:11], 20, v[10:11]
	v_cmp_gt_i32_e32 vcc, 16, v3
	v_cndmask_b32_e32 v11, 0, v11, vcc
	v_cndmask_b32_e32 v10, 7, v10, vcc
	v_cmp_eq_u32_e32 vcc, 0, v3
	v_min_i32_e32 v3, 15, v3
	v_cmp_eq_u64_e64 s[18:19], 0, v[10:11]
	v_lshlrev_b32_e32 v3, 3, v3
	v_and_or_b32 v3, v10, 7, v3
	s_and_b64 s[18:19], vcc, s[18:19]
	v_cndmask_b32_e64 v3, v3, 0, s[18:19]
	v_or_b32_e32 v39, v3, v1
.LBB6_3429:                             ;   in Loop: Header=BB6_3191 Depth=2
	s_or_b64 exec, exec, s[56:57]
.LBB6_3430:                             ;   in Loop: Header=BB6_3191 Depth=2
	s_or_b64 exec, exec, s[54:55]
                                        ; implicit-def: $vgpr3
                                        ; implicit-def: $vgpr10_vgpr11
.LBB6_3431:                             ;   in Loop: Header=BB6_3191 Depth=2
	s_andn2_saveexec_b64 s[18:19], s[52:53]
; %bb.3432:                             ;   in Loop: Header=BB6_3191 Depth=2
	v_or_b32_sdwa v1, v3, s69 dst_sel:DWORD dst_unused:UNUSED_PAD src0_sel:BYTE_3 src1_sel:DWORD
	v_cmp_eq_u64_e32 vcc, 0, v[10:11]
	v_cndmask_b32_e32 v39, v1, v39, vcc
; %bb.3433:                             ;   in Loop: Header=BB6_3191 Depth=2
	s_or_b64 exec, exec, s[18:19]
	v_lshrrev_b16_e32 v10, 8, v36
	v_cmp_ne_u16_e32 vcc, 0, v10
	v_mov_b32_e32 v1, 0
	s_and_saveexec_b64 s[18:19], vcc
	s_cbranch_execz .LBB6_3439
; %bb.3434:                             ;   in Loop: Header=BB6_3191 Depth=2
	v_cmp_ne_u16_e32 vcc, s71, v10
	v_bfrev_b32_e32 v1, 1
	s_and_saveexec_b64 s[52:53], vcc
	s_cbranch_execz .LBB6_3438
; %bb.3435:                             ;   in Loop: Header=BB6_3191 Depth=2
	v_and_b32_e32 v3, 0x7f, v10
	v_cmp_ne_u32_e32 vcc, s69, v3
	v_mov_b32_e32 v1, 0x7f800001
	s_and_saveexec_b64 s[54:55], vcc
	s_cbranch_execz .LBB6_3437
; %bb.3436:                             ;   in Loop: Header=BB6_3191 Depth=2
	v_and_b32_e32 v1, 7, v10
	v_ffbh_u32_e32 v9, v1
	v_min_u32_e32 v9, 32, v9
	v_subrev_u32_e32 v11, 28, v9
	v_lshlrev_b64 v[10:11], v11, v[10:11]
	v_lshrrev_b32_e32 v4, 3, v3
	v_sub_u32_e32 v9, 29, v9
	v_and_b32_e32 v10, 7, v10
	v_cmp_gt_u32_e32 vcc, 8, v3
	v_cndmask_b32_e32 v3, v4, v9, vcc
	v_cndmask_b32_e32 v1, v1, v10, vcc
	v_lshlrev_b32_e32 v4, 16, v36
	v_lshlrev_b32_e32 v1, 20, v1
	v_and_b32_e32 v4, 0x80000000, v4
	v_lshl_add_u32 v3, v3, 23, v21
	v_or3_b32 v1, v4, v3, v1
.LBB6_3437:                             ;   in Loop: Header=BB6_3191 Depth=2
	s_or_b64 exec, exec, s[54:55]
.LBB6_3438:                             ;   in Loop: Header=BB6_3191 Depth=2
	s_or_b64 exec, exec, s[52:53]
.LBB6_3439:                             ;   in Loop: Header=BB6_3191 Depth=2
	s_or_b64 exec, exec, s[18:19]
	v_mul_f32_e32 v3, v5, v1
	v_and_b32_sdwa v1, v3, s71 dst_sel:DWORD dst_unused:UNUSED_PAD src0_sel:BYTE_3 src1_sel:DWORD
	v_and_b32_e32 v10, 0x7f800000, v3
	v_mov_b32_e32 v11, v37
	v_and_b32_e32 v36, 0x7fffff, v3
	v_or_b32_e32 v52, 0x7e, v1
	v_cmp_ne_u64_e32 vcc, s[38:39], v[10:11]
	s_and_saveexec_b64 s[18:19], vcc
	s_xor_b64 s[52:53], exec, s[18:19]
	s_cbranch_execz .LBB6_3449
; %bb.3440:                             ;   in Loop: Header=BB6_3191 Depth=2
	v_and_b32_e32 v10, 0x7fffffff, v3
	v_mov_b32_e32 v11, v37
	v_cmp_gt_u64_e32 vcc, s[40:41], v[10:11]
	s_and_saveexec_b64 s[54:55], vcc
	s_cbranch_execz .LBB6_3448
; %bb.3441:                             ;   in Loop: Header=BB6_3191 Depth=2
	v_cmp_ne_u32_e32 vcc, 0, v3
	v_mov_b32_e32 v52, 0
	s_and_saveexec_b64 s[56:57], vcc
	s_cbranch_execz .LBB6_3447
; %bb.3442:                             ;   in Loop: Header=BB6_3191 Depth=2
	v_bfe_u32 v3, v3, 23, 8
	v_sub_u32_e32 v9, 0x79, v3
	v_cmp_gt_u32_e32 vcc, s72, v3
	v_add_u32_e32 v4, 0xffffff81, v3
	v_cndmask_b32_e32 v9, 0, v9, vcc
	v_cmp_eq_u32_e32 vcc, 0, v3
	v_mov_b32_e32 v3, 0xffffff82
	v_cndmask_b32_e32 v3, v4, v3, vcc
	v_mov_b32_e32 v4, 0x78
	v_cndmask_b32_e32 v4, v9, v4, vcc
	v_or_b32_e32 v10, 0x800000, v36
	v_add_u32_e32 v9, 20, v4
	v_cndmask_b32_e32 v36, v10, v36, vcc
	v_lshlrev_b64 v[10:11], v9, -1
	v_not_b32_e32 v9, v11
	v_and_b32_e32 v11, 0, v9
	v_add_u32_e32 v9, 19, v4
	v_lshrrev_b64 v[16:17], v4, v[36:37]
	v_not_b32_e32 v10, v10
	v_lshlrev_b64 v[14:15], v9, 1
	v_lshrrev_b32_e32 v9, 23, v16
	v_and_b32_e32 v10, v36, v10
	v_add3_u32 v9, v4, v3, v9
	v_bfe_u32 v3, v16, 20, 1
	v_add_u32_e32 v3, -1, v3
	v_cmp_eq_u64_e32 vcc, v[10:11], v[14:15]
	v_cndmask_b32_e32 v3, 0, v3, vcc
	v_add_u32_e32 v3, v3, v16
	v_and_b32_e32 v3, 0xfffff, v3
	v_add_co_u32_e32 v10, vcc, v3, v16
	v_add_u32_e32 v4, 6, v9
	v_addc_co_u32_e32 v11, vcc, 0, v17, vcc
	v_cmp_ne_u32_e32 vcc, 0, v4
                                        ; implicit-def: $vgpr3
	s_and_saveexec_b64 s[18:19], vcc
	s_xor_b64 s[18:19], exec, s[18:19]
; %bb.3443:                             ;   in Loop: Header=BB6_3191 Depth=2
	v_add_u32_e32 v3, 7, v9
	v_cmp_lt_u64_e32 vcc, s[44:45], v[10:11]
	v_cndmask_b32_e32 v3, v4, v3, vcc
	v_cndmask_b32_e64 v4, 0, 1, vcc
	v_lshrrev_b64 v[10:11], v4, v[10:11]
; %bb.3444:                             ;   in Loop: Header=BB6_3191 Depth=2
	s_andn2_saveexec_b64 s[18:19], s[18:19]
; %bb.3445:                             ;   in Loop: Header=BB6_3191 Depth=2
	v_bfe_u32 v3, v10, 23, 1
; %bb.3446:                             ;   in Loop: Header=BB6_3191 Depth=2
	s_or_b64 exec, exec, s[18:19]
	v_lshrrev_b64 v[10:11], 20, v[10:11]
	v_cmp_gt_i32_e32 vcc, 16, v3
	v_cndmask_b32_e32 v11, 0, v11, vcc
	v_cndmask_b32_e32 v10, 7, v10, vcc
	v_cmp_eq_u32_e32 vcc, 0, v3
	v_min_i32_e32 v3, 15, v3
	v_lshlrev_b32_e32 v3, 3, v3
	v_cmp_eq_u64_e64 s[18:19], 0, v[10:11]
	v_and_b32_e32 v3, 0xf8, v3
	v_and_or_b32 v3, v10, 7, v3
	s_and_b64 s[18:19], vcc, s[18:19]
	v_cndmask_b32_e64 v3, v3, 0, s[18:19]
	v_or_b32_e32 v52, v3, v1
.LBB6_3447:                             ;   in Loop: Header=BB6_3191 Depth=2
	s_or_b64 exec, exec, s[56:57]
.LBB6_3448:                             ;   in Loop: Header=BB6_3191 Depth=2
	s_or_b64 exec, exec, s[54:55]
                                        ; implicit-def: $vgpr3
.LBB6_3449:                             ;   in Loop: Header=BB6_3191 Depth=2
	s_andn2_saveexec_b64 s[18:19], s[52:53]
; %bb.3450:                             ;   in Loop: Header=BB6_3191 Depth=2
	v_or_b32_sdwa v1, v3, s69 dst_sel:DWORD dst_unused:UNUSED_PAD src0_sel:BYTE_3 src1_sel:DWORD
	v_cmp_eq_u64_e32 vcc, 0, v[36:37]
	v_cndmask_b32_e32 v52, v1, v52, vcc
; %bb.3451:                             ;   in Loop: Header=BB6_3191 Depth=2
	s_or_b64 exec, exec, s[18:19]
	v_lshrrev_b32_e32 v10, 16, v13
	v_cmp_ne_u16_sdwa vcc, v10, v37 src0_sel:BYTE_0 src1_sel:DWORD
	v_mov_b32_e32 v1, 0
	s_and_saveexec_b64 s[18:19], vcc
	s_cbranch_execz .LBB6_3457
; %bb.3452:                             ;   in Loop: Header=BB6_3191 Depth=2
	v_cmp_ne_u16_sdwa vcc, v10, s71 src0_sel:BYTE_0 src1_sel:DWORD
	v_bfrev_b32_e32 v1, 1
	s_and_saveexec_b64 s[52:53], vcc
	s_cbranch_execz .LBB6_3456
; %bb.3453:                             ;   in Loop: Header=BB6_3191 Depth=2
	v_bfe_u32 v3, v13, 16, 7
	v_cmp_ne_u32_e32 vcc, s69, v3
	v_mov_b32_e32 v1, 0x7f800001
	s_and_saveexec_b64 s[54:55], vcc
	s_cbranch_execz .LBB6_3455
; %bb.3454:                             ;   in Loop: Header=BB6_3191 Depth=2
	v_and_b32_e32 v1, 7, v10
	v_ffbh_u32_e32 v9, v1
	v_min_u32_e32 v9, 32, v9
	v_subrev_u32_e32 v11, 28, v9
	v_lshlrev_b64 v[14:15], v11, v[10:11]
	v_lshrrev_b32_e32 v4, 3, v3
	v_sub_u32_e32 v9, 29, v9
	v_and_b32_e32 v11, 7, v14
	v_cmp_gt_u32_e32 vcc, 8, v3
	v_cndmask_b32_e32 v3, v4, v9, vcc
	v_cndmask_b32_e32 v1, v1, v11, vcc
	v_lshlrev_b32_e32 v4, 24, v10
	v_lshlrev_b32_e32 v1, 20, v1
	v_and_b32_e32 v4, 0x80000000, v4
	v_lshl_add_u32 v3, v3, 23, v21
	v_or3_b32 v1, v4, v3, v1
.LBB6_3455:                             ;   in Loop: Header=BB6_3191 Depth=2
	s_or_b64 exec, exec, s[54:55]
.LBB6_3456:                             ;   in Loop: Header=BB6_3191 Depth=2
	s_or_b64 exec, exec, s[52:53]
.LBB6_3457:                             ;   in Loop: Header=BB6_3191 Depth=2
	s_or_b64 exec, exec, s[18:19]
	v_mul_f32_e32 v3, v5, v1
	v_and_b32_sdwa v1, v3, s71 dst_sel:DWORD dst_unused:UNUSED_PAD src0_sel:BYTE_3 src1_sel:DWORD
	v_and_b32_e32 v10, 0x7f800000, v3
	v_mov_b32_e32 v11, v37
	v_and_b32_e32 v36, 0x7fffff, v3
	v_or_b32_e32 v47, 0x7e, v1
	v_cmp_ne_u64_e32 vcc, s[38:39], v[10:11]
	s_and_saveexec_b64 s[18:19], vcc
	s_xor_b64 s[52:53], exec, s[18:19]
	s_cbranch_execz .LBB6_3467
; %bb.3458:                             ;   in Loop: Header=BB6_3191 Depth=2
	v_and_b32_e32 v10, 0x7fffffff, v3
	v_mov_b32_e32 v11, v37
	v_cmp_gt_u64_e32 vcc, s[40:41], v[10:11]
	s_and_saveexec_b64 s[54:55], vcc
	s_cbranch_execz .LBB6_3466
; %bb.3459:                             ;   in Loop: Header=BB6_3191 Depth=2
	v_cmp_ne_u32_e32 vcc, 0, v3
	v_mov_b32_e32 v47, 0
	s_and_saveexec_b64 s[56:57], vcc
	s_cbranch_execz .LBB6_3465
; %bb.3460:                             ;   in Loop: Header=BB6_3191 Depth=2
	v_bfe_u32 v3, v3, 23, 8
	v_sub_u32_e32 v9, 0x79, v3
	v_cmp_gt_u32_e32 vcc, s72, v3
	v_add_u32_e32 v4, 0xffffff81, v3
	v_cndmask_b32_e32 v9, 0, v9, vcc
	v_cmp_eq_u32_e32 vcc, 0, v3
	v_mov_b32_e32 v3, 0xffffff82
	v_cndmask_b32_e32 v3, v4, v3, vcc
	v_mov_b32_e32 v4, 0x78
	v_cndmask_b32_e32 v4, v9, v4, vcc
	v_or_b32_e32 v10, 0x800000, v36
	v_add_u32_e32 v9, 20, v4
	v_cndmask_b32_e32 v36, v10, v36, vcc
	v_lshlrev_b64 v[10:11], v9, -1
	v_not_b32_e32 v9, v11
	v_and_b32_e32 v11, 0, v9
	v_add_u32_e32 v9, 19, v4
	v_lshrrev_b64 v[16:17], v4, v[36:37]
	v_not_b32_e32 v10, v10
	v_lshlrev_b64 v[14:15], v9, 1
	v_lshrrev_b32_e32 v9, 23, v16
	v_and_b32_e32 v10, v36, v10
	v_add3_u32 v9, v4, v3, v9
	v_bfe_u32 v3, v16, 20, 1
	v_add_u32_e32 v3, -1, v3
	v_cmp_eq_u64_e32 vcc, v[10:11], v[14:15]
	v_cndmask_b32_e32 v3, 0, v3, vcc
	v_add_u32_e32 v3, v3, v16
	v_and_b32_e32 v3, 0xfffff, v3
	v_add_co_u32_e32 v10, vcc, v3, v16
	v_add_u32_e32 v4, 6, v9
	v_addc_co_u32_e32 v11, vcc, 0, v17, vcc
	v_cmp_ne_u32_e32 vcc, 0, v4
                                        ; implicit-def: $vgpr3
	s_and_saveexec_b64 s[18:19], vcc
	s_xor_b64 s[18:19], exec, s[18:19]
; %bb.3461:                             ;   in Loop: Header=BB6_3191 Depth=2
	v_add_u32_e32 v3, 7, v9
	v_cmp_lt_u64_e32 vcc, s[44:45], v[10:11]
	v_cndmask_b32_e32 v3, v4, v3, vcc
	v_cndmask_b32_e64 v4, 0, 1, vcc
	v_lshrrev_b64 v[10:11], v4, v[10:11]
; %bb.3462:                             ;   in Loop: Header=BB6_3191 Depth=2
	s_andn2_saveexec_b64 s[18:19], s[18:19]
; %bb.3463:                             ;   in Loop: Header=BB6_3191 Depth=2
	v_bfe_u32 v3, v10, 23, 1
; %bb.3464:                             ;   in Loop: Header=BB6_3191 Depth=2
	s_or_b64 exec, exec, s[18:19]
	v_lshrrev_b64 v[10:11], 20, v[10:11]
	v_cmp_gt_i32_e32 vcc, 16, v3
	v_cndmask_b32_e32 v11, 0, v11, vcc
	v_cndmask_b32_e32 v10, 7, v10, vcc
	v_cmp_eq_u32_e32 vcc, 0, v3
	v_min_i32_e32 v3, 15, v3
	v_lshlrev_b32_e32 v3, 3, v3
	v_cmp_eq_u64_e64 s[18:19], 0, v[10:11]
	v_and_b32_e32 v3, 0xf8, v3
	v_and_or_b32 v3, v10, 7, v3
	s_and_b64 s[18:19], vcc, s[18:19]
	v_cndmask_b32_e64 v3, v3, 0, s[18:19]
	v_or_b32_e32 v47, v3, v1
.LBB6_3465:                             ;   in Loop: Header=BB6_3191 Depth=2
	s_or_b64 exec, exec, s[56:57]
.LBB6_3466:                             ;   in Loop: Header=BB6_3191 Depth=2
	s_or_b64 exec, exec, s[54:55]
                                        ; implicit-def: $vgpr3
.LBB6_3467:                             ;   in Loop: Header=BB6_3191 Depth=2
	s_andn2_saveexec_b64 s[18:19], s[52:53]
; %bb.3468:                             ;   in Loop: Header=BB6_3191 Depth=2
	v_or_b32_sdwa v1, v3, s69 dst_sel:DWORD dst_unused:UNUSED_PAD src0_sel:BYTE_3 src1_sel:DWORD
	v_cmp_eq_u64_e32 vcc, 0, v[36:37]
	v_cndmask_b32_e32 v47, v1, v47, vcc
; %bb.3469:                             ;   in Loop: Header=BB6_3191 Depth=2
	s_or_b64 exec, exec, s[18:19]
	v_cmp_lt_u64_e32 vcc, s[42:43], v[12:13]
	v_mov_b32_e32 v1, 0
	s_and_saveexec_b64 s[18:19], vcc
	s_cbranch_execz .LBB6_3475
; %bb.3470:                             ;   in Loop: Header=BB6_3191 Depth=2
	v_lshrrev_b32_e32 v10, 24, v13
	v_cmp_ne_u32_e32 vcc, s71, v10
	v_bfrev_b32_e32 v1, 1
	s_and_saveexec_b64 s[52:53], vcc
	s_cbranch_execz .LBB6_3474
; %bb.3471:                             ;   in Loop: Header=BB6_3191 Depth=2
	v_bfe_u32 v3, v13, 24, 7
	v_cmp_ne_u32_e32 vcc, s69, v3
	v_mov_b32_e32 v1, 0x7f800001
	s_and_saveexec_b64 s[54:55], vcc
	s_cbranch_execz .LBB6_3473
; %bb.3472:                             ;   in Loop: Header=BB6_3191 Depth=2
	v_and_b32_e32 v1, 7, v10
	v_ffbh_u32_e32 v9, v1
	v_min_u32_e32 v9, 32, v9
	v_subrev_u32_e32 v11, 28, v9
	v_lshlrev_b64 v[12:13], v11, v[10:11]
	v_lshrrev_b32_e32 v4, 3, v3
	v_sub_u32_e32 v9, 29, v9
	v_and_b32_e32 v11, 7, v12
	v_cmp_gt_u32_e32 vcc, 8, v3
	v_cndmask_b32_e32 v3, v4, v9, vcc
	v_cndmask_b32_e32 v1, v1, v11, vcc
	v_lshlrev_b32_e32 v4, 24, v10
	v_lshlrev_b32_e32 v1, 20, v1
	v_and_b32_e32 v4, 0x80000000, v4
	v_lshl_add_u32 v3, v3, 23, v21
	v_or3_b32 v1, v4, v3, v1
.LBB6_3473:                             ;   in Loop: Header=BB6_3191 Depth=2
	s_or_b64 exec, exec, s[54:55]
.LBB6_3474:                             ;   in Loop: Header=BB6_3191 Depth=2
	s_or_b64 exec, exec, s[52:53]
.LBB6_3475:                             ;   in Loop: Header=BB6_3191 Depth=2
	s_or_b64 exec, exec, s[18:19]
	v_mul_f32_e32 v3, v5, v1
	v_and_b32_sdwa v1, v3, s71 dst_sel:DWORD dst_unused:UNUSED_PAD src0_sel:BYTE_3 src1_sel:DWORD
	v_and_b32_e32 v10, 0x7f800000, v3
	v_mov_b32_e32 v11, v37
	v_and_b32_e32 v36, 0x7fffff, v3
	v_or_b32_e32 v54, 0x7e, v1
	v_cmp_ne_u64_e32 vcc, s[38:39], v[10:11]
	s_and_saveexec_b64 s[18:19], vcc
	s_xor_b64 s[52:53], exec, s[18:19]
	s_cbranch_execz .LBB6_3485
; %bb.3476:                             ;   in Loop: Header=BB6_3191 Depth=2
	v_and_b32_e32 v10, 0x7fffffff, v3
	v_mov_b32_e32 v11, v37
	v_cmp_gt_u64_e32 vcc, s[40:41], v[10:11]
	s_and_saveexec_b64 s[54:55], vcc
	s_cbranch_execz .LBB6_3484
; %bb.3477:                             ;   in Loop: Header=BB6_3191 Depth=2
	v_cmp_ne_u32_e32 vcc, 0, v3
	v_mov_b32_e32 v54, 0
	s_and_saveexec_b64 s[56:57], vcc
	s_cbranch_execz .LBB6_3483
; %bb.3478:                             ;   in Loop: Header=BB6_3191 Depth=2
	v_bfe_u32 v3, v3, 23, 8
	v_sub_u32_e32 v9, 0x79, v3
	v_cmp_gt_u32_e32 vcc, s72, v3
	v_add_u32_e32 v4, 0xffffff81, v3
	v_cndmask_b32_e32 v9, 0, v9, vcc
	v_cmp_eq_u32_e32 vcc, 0, v3
	v_mov_b32_e32 v3, 0xffffff82
	v_cndmask_b32_e32 v3, v4, v3, vcc
	v_mov_b32_e32 v4, 0x78
	v_cndmask_b32_e32 v4, v9, v4, vcc
	v_or_b32_e32 v10, 0x800000, v36
	v_add_u32_e32 v9, 20, v4
	v_cndmask_b32_e32 v36, v10, v36, vcc
	v_lshlrev_b64 v[10:11], v9, -1
	v_not_b32_e32 v9, v11
	v_and_b32_e32 v11, 0, v9
	v_add_u32_e32 v9, 19, v4
	v_lshrrev_b64 v[14:15], v4, v[36:37]
	v_not_b32_e32 v10, v10
	v_lshlrev_b64 v[12:13], v9, 1
	v_lshrrev_b32_e32 v9, 23, v14
	v_and_b32_e32 v10, v36, v10
	v_add3_u32 v9, v4, v3, v9
	v_bfe_u32 v3, v14, 20, 1
	v_add_u32_e32 v3, -1, v3
	v_cmp_eq_u64_e32 vcc, v[10:11], v[12:13]
	v_cndmask_b32_e32 v3, 0, v3, vcc
	v_add_u32_e32 v3, v3, v14
	v_and_b32_e32 v3, 0xfffff, v3
	v_add_co_u32_e32 v10, vcc, v3, v14
	v_add_u32_e32 v4, 6, v9
	v_addc_co_u32_e32 v11, vcc, 0, v15, vcc
	v_cmp_ne_u32_e32 vcc, 0, v4
                                        ; implicit-def: $vgpr3
	s_and_saveexec_b64 s[18:19], vcc
	s_xor_b64 s[18:19], exec, s[18:19]
; %bb.3479:                             ;   in Loop: Header=BB6_3191 Depth=2
	v_add_u32_e32 v3, 7, v9
	v_cmp_lt_u64_e32 vcc, s[44:45], v[10:11]
	v_cndmask_b32_e32 v3, v4, v3, vcc
	v_cndmask_b32_e64 v4, 0, 1, vcc
	v_lshrrev_b64 v[10:11], v4, v[10:11]
; %bb.3480:                             ;   in Loop: Header=BB6_3191 Depth=2
	s_andn2_saveexec_b64 s[18:19], s[18:19]
; %bb.3481:                             ;   in Loop: Header=BB6_3191 Depth=2
	v_bfe_u32 v3, v10, 23, 1
; %bb.3482:                             ;   in Loop: Header=BB6_3191 Depth=2
	s_or_b64 exec, exec, s[18:19]
	v_lshrrev_b64 v[10:11], 20, v[10:11]
	v_cmp_gt_i32_e32 vcc, 16, v3
	v_cndmask_b32_e32 v11, 0, v11, vcc
	v_cndmask_b32_e32 v10, 7, v10, vcc
	v_cmp_eq_u32_e32 vcc, 0, v3
	v_min_i32_e32 v3, 15, v3
	v_lshlrev_b32_e32 v3, 3, v3
	v_cmp_eq_u64_e64 s[18:19], 0, v[10:11]
	v_and_b32_e32 v3, 0xf8, v3
	v_and_or_b32 v3, v10, 7, v3
	s_and_b64 s[18:19], vcc, s[18:19]
	v_cndmask_b32_e64 v3, v3, 0, s[18:19]
	v_or_b32_e32 v54, v3, v1
.LBB6_3483:                             ;   in Loop: Header=BB6_3191 Depth=2
	s_or_b64 exec, exec, s[56:57]
.LBB6_3484:                             ;   in Loop: Header=BB6_3191 Depth=2
	s_or_b64 exec, exec, s[54:55]
                                        ; implicit-def: $vgpr3
.LBB6_3485:                             ;   in Loop: Header=BB6_3191 Depth=2
	s_andn2_saveexec_b64 s[18:19], s[52:53]
; %bb.3486:                             ;   in Loop: Header=BB6_3191 Depth=2
	v_or_b32_sdwa v1, v3, s69 dst_sel:DWORD dst_unused:UNUSED_PAD src0_sel:BYTE_3 src1_sel:DWORD
	v_cmp_eq_u64_e32 vcc, 0, v[36:37]
	v_cndmask_b32_e32 v54, v1, v54, vcc
; %bb.3487:                             ;   in Loop: Header=BB6_3191 Depth=2
	s_or_b64 exec, exec, s[18:19]
	global_load_dwordx4 v[10:13], v[40:41], off offset:1024 glc slc
	v_mov_b32_e32 v1, 0
	s_waitcnt vmcnt(0)
	v_cmp_ne_u16_sdwa vcc, v10, v37 src0_sel:BYTE_0 src1_sel:DWORD
	s_and_saveexec_b64 s[18:19], vcc
	s_cbranch_execz .LBB6_3493
; %bb.3488:                             ;   in Loop: Header=BB6_3191 Depth=2
	v_cmp_ne_u16_sdwa vcc, v10, s71 src0_sel:BYTE_0 src1_sel:DWORD
	v_bfrev_b32_e32 v1, 1
	s_and_saveexec_b64 s[52:53], vcc
	s_cbranch_execz .LBB6_3492
; %bb.3489:                             ;   in Loop: Header=BB6_3191 Depth=2
	v_and_b32_e32 v3, 0x7f, v10
	v_cmp_ne_u32_e32 vcc, s69, v3
	v_mov_b32_e32 v1, 0x7f800001
	s_and_saveexec_b64 s[54:55], vcc
	s_cbranch_execz .LBB6_3491
; %bb.3490:                             ;   in Loop: Header=BB6_3191 Depth=2
	v_and_b32_e32 v1, 7, v10
	v_ffbh_u32_e32 v1, v1
	v_min_u32_e32 v1, 32, v1
	v_subrev_u32_e32 v9, 28, v1
	v_cmp_gt_u32_e32 vcc, 8, v3
	v_lshrrev_b32_e32 v4, 3, v3
	v_cndmask_b32_e32 v3, 0, v9, vcc
	v_sub_u32_e32 v1, 29, v1
	v_lshlrev_b64 v[14:15], v3, v[10:11]
	v_cndmask_b32_e32 v1, v4, v1, vcc
	v_lshlrev_b32_e32 v3, 20, v14
	v_lshlrev_b32_e32 v4, 24, v10
	v_and_b32_e32 v3, 0x700000, v3
	v_and_b32_e32 v4, 0x80000000, v4
	v_lshl_add_u32 v1, v1, 23, v21
	v_or3_b32 v1, v4, v1, v3
.LBB6_3491:                             ;   in Loop: Header=BB6_3191 Depth=2
	s_or_b64 exec, exec, s[54:55]
.LBB6_3492:                             ;   in Loop: Header=BB6_3191 Depth=2
	s_or_b64 exec, exec, s[52:53]
.LBB6_3493:                             ;   in Loop: Header=BB6_3191 Depth=2
	s_or_b64 exec, exec, s[18:19]
	v_mul_f32_e32 v3, v5, v1
	v_and_b32_sdwa v1, v3, s71 dst_sel:DWORD dst_unused:UNUSED_PAD src0_sel:BYTE_3 src1_sel:DWORD
	v_and_b32_e32 v14, 0x7f800000, v3
	v_mov_b32_e32 v15, v37
	v_and_b32_e32 v36, 0x7fffff, v3
	v_or_b32_e32 v35, 0x7e, v1
	v_cmp_ne_u64_e32 vcc, s[38:39], v[14:15]
	s_and_saveexec_b64 s[18:19], vcc
	s_xor_b64 s[52:53], exec, s[18:19]
	s_cbranch_execz .LBB6_3503
; %bb.3494:                             ;   in Loop: Header=BB6_3191 Depth=2
	v_and_b32_e32 v14, 0x7fffffff, v3
	v_mov_b32_e32 v15, v37
	v_cmp_gt_u64_e32 vcc, s[40:41], v[14:15]
	s_and_saveexec_b64 s[54:55], vcc
	s_cbranch_execz .LBB6_3502
; %bb.3495:                             ;   in Loop: Header=BB6_3191 Depth=2
	v_cmp_ne_u32_e32 vcc, 0, v3
	v_mov_b32_e32 v35, 0
	s_and_saveexec_b64 s[56:57], vcc
	s_cbranch_execz .LBB6_3501
; %bb.3496:                             ;   in Loop: Header=BB6_3191 Depth=2
	v_bfe_u32 v3, v3, 23, 8
	v_sub_u32_e32 v9, 0x79, v3
	v_cmp_gt_u32_e32 vcc, s72, v3
	v_add_u32_e32 v4, 0xffffff81, v3
	v_cndmask_b32_e32 v9, 0, v9, vcc
	v_cmp_eq_u32_e32 vcc, 0, v3
	v_mov_b32_e32 v3, 0xffffff82
	v_cndmask_b32_e32 v3, v4, v3, vcc
	v_mov_b32_e32 v4, 0x78
	v_cndmask_b32_e32 v4, v9, v4, vcc
	v_or_b32_e32 v14, 0x800000, v36
	v_add_u32_e32 v9, 20, v4
	v_cndmask_b32_e32 v36, v14, v36, vcc
	v_lshlrev_b64 v[14:15], v9, -1
	v_not_b32_e32 v9, v15
	v_and_b32_e32 v15, 0, v9
	v_add_u32_e32 v9, 19, v4
	v_lshrrev_b64 v[18:19], v4, v[36:37]
	v_not_b32_e32 v14, v14
	v_lshlrev_b64 v[16:17], v9, 1
	v_lshrrev_b32_e32 v9, 23, v18
	v_and_b32_e32 v14, v36, v14
	v_add3_u32 v9, v4, v3, v9
	v_bfe_u32 v3, v18, 20, 1
	v_add_u32_e32 v3, -1, v3
	v_cmp_eq_u64_e32 vcc, v[14:15], v[16:17]
	v_cndmask_b32_e32 v3, 0, v3, vcc
	v_add_u32_e32 v3, v3, v18
	v_and_b32_e32 v3, 0xfffff, v3
	v_add_co_u32_e32 v14, vcc, v3, v18
	v_add_u32_e32 v4, 6, v9
	v_addc_co_u32_e32 v15, vcc, 0, v19, vcc
	v_cmp_ne_u32_e32 vcc, 0, v4
                                        ; implicit-def: $vgpr3
	s_and_saveexec_b64 s[18:19], vcc
	s_xor_b64 s[18:19], exec, s[18:19]
; %bb.3497:                             ;   in Loop: Header=BB6_3191 Depth=2
	v_add_u32_e32 v3, 7, v9
	v_cmp_lt_u64_e32 vcc, s[44:45], v[14:15]
	v_cndmask_b32_e32 v3, v4, v3, vcc
	v_cndmask_b32_e64 v4, 0, 1, vcc
	v_lshrrev_b64 v[14:15], v4, v[14:15]
; %bb.3498:                             ;   in Loop: Header=BB6_3191 Depth=2
	s_andn2_saveexec_b64 s[18:19], s[18:19]
; %bb.3499:                             ;   in Loop: Header=BB6_3191 Depth=2
	v_bfe_u32 v3, v14, 23, 1
; %bb.3500:                             ;   in Loop: Header=BB6_3191 Depth=2
	s_or_b64 exec, exec, s[18:19]
	v_lshrrev_b64 v[14:15], 20, v[14:15]
	v_cmp_gt_i32_e32 vcc, 16, v3
	v_cndmask_b32_e32 v15, 0, v15, vcc
	v_cndmask_b32_e32 v14, 7, v14, vcc
	v_cmp_eq_u32_e32 vcc, 0, v3
	v_min_i32_e32 v3, 15, v3
	v_cmp_eq_u64_e64 s[18:19], 0, v[14:15]
	v_lshlrev_b32_e32 v3, 3, v3
	v_and_or_b32 v3, v14, 7, v3
	s_and_b64 s[18:19], vcc, s[18:19]
	v_cndmask_b32_e64 v3, v3, 0, s[18:19]
	v_or_b32_e32 v35, v3, v1
.LBB6_3501:                             ;   in Loop: Header=BB6_3191 Depth=2
	s_or_b64 exec, exec, s[56:57]
.LBB6_3502:                             ;   in Loop: Header=BB6_3191 Depth=2
	s_or_b64 exec, exec, s[54:55]
                                        ; implicit-def: $vgpr3
.LBB6_3503:                             ;   in Loop: Header=BB6_3191 Depth=2
	s_andn2_saveexec_b64 s[18:19], s[52:53]
; %bb.3504:                             ;   in Loop: Header=BB6_3191 Depth=2
	v_or_b32_sdwa v1, v3, s69 dst_sel:DWORD dst_unused:UNUSED_PAD src0_sel:BYTE_3 src1_sel:DWORD
	v_cmp_eq_u64_e32 vcc, 0, v[36:37]
	v_cndmask_b32_e32 v35, v1, v35, vcc
; %bb.3505:                             ;   in Loop: Header=BB6_3191 Depth=2
	s_or_b64 exec, exec, s[18:19]
	v_lshrrev_b16_e32 v14, 8, v10
	v_cmp_ne_u16_e32 vcc, 0, v14
	v_mov_b32_e32 v1, 0
	s_and_saveexec_b64 s[18:19], vcc
	s_cbranch_execz .LBB6_3511
; %bb.3506:                             ;   in Loop: Header=BB6_3191 Depth=2
	v_cmp_ne_u16_e32 vcc, s71, v14
	v_bfrev_b32_e32 v1, 1
	s_and_saveexec_b64 s[52:53], vcc
	s_cbranch_execz .LBB6_3510
; %bb.3507:                             ;   in Loop: Header=BB6_3191 Depth=2
	v_and_b32_e32 v3, 0x7f, v14
	v_cmp_ne_u32_e32 vcc, s69, v3
	v_mov_b32_e32 v1, 0x7f800001
	s_and_saveexec_b64 s[54:55], vcc
	s_cbranch_execz .LBB6_3509
; %bb.3508:                             ;   in Loop: Header=BB6_3191 Depth=2
	v_and_b32_e32 v1, 7, v14
	v_ffbh_u32_e32 v9, v1
	v_min_u32_e32 v9, 32, v9
	v_subrev_u32_e32 v15, 28, v9
	v_lshlrev_b64 v[14:15], v15, v[14:15]
	v_lshrrev_b32_e32 v4, 3, v3
	v_sub_u32_e32 v9, 29, v9
	v_and_b32_e32 v14, 7, v14
	v_cmp_gt_u32_e32 vcc, 8, v3
	v_cndmask_b32_e32 v3, v4, v9, vcc
	v_cndmask_b32_e32 v1, v1, v14, vcc
	v_lshlrev_b32_e32 v4, 16, v10
	v_lshlrev_b32_e32 v1, 20, v1
	v_and_b32_e32 v4, 0x80000000, v4
	v_lshl_add_u32 v3, v3, 23, v21
	v_or3_b32 v1, v4, v3, v1
.LBB6_3509:                             ;   in Loop: Header=BB6_3191 Depth=2
	s_or_b64 exec, exec, s[54:55]
.LBB6_3510:                             ;   in Loop: Header=BB6_3191 Depth=2
	s_or_b64 exec, exec, s[52:53]
.LBB6_3511:                             ;   in Loop: Header=BB6_3191 Depth=2
	s_or_b64 exec, exec, s[18:19]
	v_mul_f32_e32 v3, v5, v1
	v_and_b32_sdwa v1, v3, s71 dst_sel:DWORD dst_unused:UNUSED_PAD src0_sel:BYTE_3 src1_sel:DWORD
	v_and_b32_e32 v14, 0x7f800000, v3
	v_mov_b32_e32 v15, v37
	v_and_b32_e32 v36, 0x7fffff, v3
	v_or_b32_e32 v30, 0x7e, v1
	v_cmp_ne_u64_e32 vcc, s[38:39], v[14:15]
	s_and_saveexec_b64 s[18:19], vcc
	s_xor_b64 s[52:53], exec, s[18:19]
	s_cbranch_execz .LBB6_3521
; %bb.3512:                             ;   in Loop: Header=BB6_3191 Depth=2
	v_and_b32_e32 v14, 0x7fffffff, v3
	v_mov_b32_e32 v15, v37
	v_cmp_gt_u64_e32 vcc, s[40:41], v[14:15]
	s_and_saveexec_b64 s[54:55], vcc
	s_cbranch_execz .LBB6_3520
; %bb.3513:                             ;   in Loop: Header=BB6_3191 Depth=2
	v_cmp_ne_u32_e32 vcc, 0, v3
	v_mov_b32_e32 v30, 0
	s_and_saveexec_b64 s[56:57], vcc
	s_cbranch_execz .LBB6_3519
; %bb.3514:                             ;   in Loop: Header=BB6_3191 Depth=2
	v_bfe_u32 v3, v3, 23, 8
	v_sub_u32_e32 v9, 0x79, v3
	v_cmp_gt_u32_e32 vcc, s72, v3
	v_add_u32_e32 v4, 0xffffff81, v3
	v_cndmask_b32_e32 v9, 0, v9, vcc
	v_cmp_eq_u32_e32 vcc, 0, v3
	v_mov_b32_e32 v3, 0xffffff82
	v_cndmask_b32_e32 v3, v4, v3, vcc
	v_mov_b32_e32 v4, 0x78
	v_cndmask_b32_e32 v4, v9, v4, vcc
	v_or_b32_e32 v14, 0x800000, v36
	v_add_u32_e32 v9, 20, v4
	v_cndmask_b32_e32 v36, v14, v36, vcc
	v_lshlrev_b64 v[14:15], v9, -1
	v_not_b32_e32 v9, v15
	v_and_b32_e32 v15, 0, v9
	v_add_u32_e32 v9, 19, v4
	v_lshrrev_b64 v[18:19], v4, v[36:37]
	v_not_b32_e32 v14, v14
	v_lshlrev_b64 v[16:17], v9, 1
	v_lshrrev_b32_e32 v9, 23, v18
	v_and_b32_e32 v14, v36, v14
	v_add3_u32 v9, v4, v3, v9
	v_bfe_u32 v3, v18, 20, 1
	v_add_u32_e32 v3, -1, v3
	v_cmp_eq_u64_e32 vcc, v[14:15], v[16:17]
	v_cndmask_b32_e32 v3, 0, v3, vcc
	v_add_u32_e32 v3, v3, v18
	v_and_b32_e32 v3, 0xfffff, v3
	v_add_co_u32_e32 v14, vcc, v3, v18
	v_add_u32_e32 v4, 6, v9
	v_addc_co_u32_e32 v15, vcc, 0, v19, vcc
	v_cmp_ne_u32_e32 vcc, 0, v4
                                        ; implicit-def: $vgpr3
	s_and_saveexec_b64 s[18:19], vcc
	s_xor_b64 s[18:19], exec, s[18:19]
; %bb.3515:                             ;   in Loop: Header=BB6_3191 Depth=2
	v_add_u32_e32 v3, 7, v9
	v_cmp_lt_u64_e32 vcc, s[44:45], v[14:15]
	v_cndmask_b32_e32 v3, v4, v3, vcc
	v_cndmask_b32_e64 v4, 0, 1, vcc
	v_lshrrev_b64 v[14:15], v4, v[14:15]
; %bb.3516:                             ;   in Loop: Header=BB6_3191 Depth=2
	s_andn2_saveexec_b64 s[18:19], s[18:19]
; %bb.3517:                             ;   in Loop: Header=BB6_3191 Depth=2
	v_bfe_u32 v3, v14, 23, 1
; %bb.3518:                             ;   in Loop: Header=BB6_3191 Depth=2
	s_or_b64 exec, exec, s[18:19]
	v_lshrrev_b64 v[14:15], 20, v[14:15]
	v_cmp_gt_i32_e32 vcc, 16, v3
	v_cndmask_b32_e32 v15, 0, v15, vcc
	v_cndmask_b32_e32 v14, 7, v14, vcc
	v_cmp_eq_u32_e32 vcc, 0, v3
	v_min_i32_e32 v3, 15, v3
	v_cmp_eq_u64_e64 s[18:19], 0, v[14:15]
	v_lshlrev_b32_e32 v3, 3, v3
	v_and_or_b32 v3, v14, 7, v3
	s_and_b64 s[18:19], vcc, s[18:19]
	v_cndmask_b32_e64 v3, v3, 0, s[18:19]
	v_or_b32_e32 v30, v3, v1
.LBB6_3519:                             ;   in Loop: Header=BB6_3191 Depth=2
	s_or_b64 exec, exec, s[56:57]
.LBB6_3520:                             ;   in Loop: Header=BB6_3191 Depth=2
	s_or_b64 exec, exec, s[54:55]
                                        ; implicit-def: $vgpr3
.LBB6_3521:                             ;   in Loop: Header=BB6_3191 Depth=2
	s_andn2_saveexec_b64 s[18:19], s[52:53]
; %bb.3522:                             ;   in Loop: Header=BB6_3191 Depth=2
	v_or_b32_sdwa v1, v3, s69 dst_sel:DWORD dst_unused:UNUSED_PAD src0_sel:BYTE_3 src1_sel:DWORD
	v_cmp_eq_u64_e32 vcc, 0, v[36:37]
	v_cndmask_b32_e32 v30, v1, v30, vcc
; %bb.3523:                             ;   in Loop: Header=BB6_3191 Depth=2
	s_or_b64 exec, exec, s[18:19]
	v_lshrrev_b32_e32 v14, 16, v10
	v_cmp_ne_u16_sdwa vcc, v14, v37 src0_sel:BYTE_0 src1_sel:DWORD
	v_mov_b32_e32 v1, 0
	s_and_saveexec_b64 s[18:19], vcc
	s_cbranch_execz .LBB6_3529
; %bb.3524:                             ;   in Loop: Header=BB6_3191 Depth=2
	v_cmp_ne_u16_sdwa vcc, v14, s71 src0_sel:BYTE_0 src1_sel:DWORD
	v_bfrev_b32_e32 v1, 1
	s_and_saveexec_b64 s[52:53], vcc
	s_cbranch_execz .LBB6_3528
; %bb.3525:                             ;   in Loop: Header=BB6_3191 Depth=2
	v_bfe_u32 v3, v10, 16, 7
	v_cmp_ne_u32_e32 vcc, s69, v3
	v_mov_b32_e32 v1, 0x7f800001
	s_and_saveexec_b64 s[54:55], vcc
	s_cbranch_execz .LBB6_3527
; %bb.3526:                             ;   in Loop: Header=BB6_3191 Depth=2
	v_and_b32_e32 v1, 7, v14
	v_ffbh_u32_e32 v9, v1
	v_min_u32_e32 v9, 32, v9
	v_subrev_u32_e32 v15, 28, v9
	v_lshlrev_b64 v[16:17], v15, v[14:15]
	v_lshrrev_b32_e32 v4, 3, v3
	v_sub_u32_e32 v9, 29, v9
	v_and_b32_e32 v15, 7, v16
	v_cmp_gt_u32_e32 vcc, 8, v3
	v_cndmask_b32_e32 v3, v4, v9, vcc
	v_cndmask_b32_e32 v1, v1, v15, vcc
	v_lshlrev_b32_e32 v4, 24, v14
	v_lshlrev_b32_e32 v1, 20, v1
	v_and_b32_e32 v4, 0x80000000, v4
	v_lshl_add_u32 v3, v3, 23, v21
	v_or3_b32 v1, v4, v3, v1
.LBB6_3527:                             ;   in Loop: Header=BB6_3191 Depth=2
	s_or_b64 exec, exec, s[54:55]
.LBB6_3528:                             ;   in Loop: Header=BB6_3191 Depth=2
	s_or_b64 exec, exec, s[52:53]
.LBB6_3529:                             ;   in Loop: Header=BB6_3191 Depth=2
	s_or_b64 exec, exec, s[18:19]
	v_mul_f32_e32 v3, v5, v1
	v_and_b32_sdwa v1, v3, s71 dst_sel:DWORD dst_unused:UNUSED_PAD src0_sel:BYTE_3 src1_sel:DWORD
	v_and_b32_e32 v14, 0x7f800000, v3
	v_mov_b32_e32 v15, v37
	v_and_b32_e32 v36, 0x7fffff, v3
	v_or_b32_e32 v56, 0x7e, v1
	v_cmp_ne_u64_e32 vcc, s[38:39], v[14:15]
	s_and_saveexec_b64 s[18:19], vcc
	s_xor_b64 s[52:53], exec, s[18:19]
	s_cbranch_execz .LBB6_3539
; %bb.3530:                             ;   in Loop: Header=BB6_3191 Depth=2
	v_and_b32_e32 v14, 0x7fffffff, v3
	v_mov_b32_e32 v15, v37
	v_cmp_gt_u64_e32 vcc, s[40:41], v[14:15]
	s_and_saveexec_b64 s[54:55], vcc
	s_cbranch_execz .LBB6_3538
; %bb.3531:                             ;   in Loop: Header=BB6_3191 Depth=2
	v_cmp_ne_u32_e32 vcc, 0, v3
	v_mov_b32_e32 v56, 0
	s_and_saveexec_b64 s[56:57], vcc
	s_cbranch_execz .LBB6_3537
; %bb.3532:                             ;   in Loop: Header=BB6_3191 Depth=2
	v_bfe_u32 v3, v3, 23, 8
	v_sub_u32_e32 v9, 0x79, v3
	v_cmp_gt_u32_e32 vcc, s72, v3
	v_add_u32_e32 v4, 0xffffff81, v3
	v_cndmask_b32_e32 v9, 0, v9, vcc
	v_cmp_eq_u32_e32 vcc, 0, v3
	v_mov_b32_e32 v3, 0xffffff82
	v_cndmask_b32_e32 v3, v4, v3, vcc
	v_mov_b32_e32 v4, 0x78
	v_cndmask_b32_e32 v4, v9, v4, vcc
	v_or_b32_e32 v14, 0x800000, v36
	v_add_u32_e32 v9, 20, v4
	v_cndmask_b32_e32 v36, v14, v36, vcc
	v_lshlrev_b64 v[14:15], v9, -1
	v_not_b32_e32 v9, v15
	v_and_b32_e32 v15, 0, v9
	v_add_u32_e32 v9, 19, v4
	v_lshrrev_b64 v[18:19], v4, v[36:37]
	v_not_b32_e32 v14, v14
	v_lshlrev_b64 v[16:17], v9, 1
	v_lshrrev_b32_e32 v9, 23, v18
	v_and_b32_e32 v14, v36, v14
	v_add3_u32 v9, v4, v3, v9
	v_bfe_u32 v3, v18, 20, 1
	v_add_u32_e32 v3, -1, v3
	v_cmp_eq_u64_e32 vcc, v[14:15], v[16:17]
	v_cndmask_b32_e32 v3, 0, v3, vcc
	v_add_u32_e32 v3, v3, v18
	v_and_b32_e32 v3, 0xfffff, v3
	v_add_co_u32_e32 v14, vcc, v3, v18
	v_add_u32_e32 v4, 6, v9
	v_addc_co_u32_e32 v15, vcc, 0, v19, vcc
	v_cmp_ne_u32_e32 vcc, 0, v4
                                        ; implicit-def: $vgpr3
	s_and_saveexec_b64 s[18:19], vcc
	s_xor_b64 s[18:19], exec, s[18:19]
; %bb.3533:                             ;   in Loop: Header=BB6_3191 Depth=2
	v_add_u32_e32 v3, 7, v9
	v_cmp_lt_u64_e32 vcc, s[44:45], v[14:15]
	v_cndmask_b32_e32 v3, v4, v3, vcc
	v_cndmask_b32_e64 v4, 0, 1, vcc
	v_lshrrev_b64 v[14:15], v4, v[14:15]
; %bb.3534:                             ;   in Loop: Header=BB6_3191 Depth=2
	s_andn2_saveexec_b64 s[18:19], s[18:19]
; %bb.3535:                             ;   in Loop: Header=BB6_3191 Depth=2
	v_bfe_u32 v3, v14, 23, 1
; %bb.3536:                             ;   in Loop: Header=BB6_3191 Depth=2
	s_or_b64 exec, exec, s[18:19]
	v_lshrrev_b64 v[14:15], 20, v[14:15]
	v_cmp_gt_i32_e32 vcc, 16, v3
	v_cndmask_b32_e32 v15, 0, v15, vcc
	v_cndmask_b32_e32 v14, 7, v14, vcc
	v_cmp_eq_u32_e32 vcc, 0, v3
	v_min_i32_e32 v3, 15, v3
	v_cmp_eq_u64_e64 s[18:19], 0, v[14:15]
	v_lshlrev_b32_e32 v3, 3, v3
	v_and_or_b32 v3, v14, 7, v3
	s_and_b64 s[18:19], vcc, s[18:19]
	v_cndmask_b32_e64 v3, v3, 0, s[18:19]
	v_or_b32_e32 v56, v3, v1
.LBB6_3537:                             ;   in Loop: Header=BB6_3191 Depth=2
	s_or_b64 exec, exec, s[56:57]
.LBB6_3538:                             ;   in Loop: Header=BB6_3191 Depth=2
	s_or_b64 exec, exec, s[54:55]
                                        ; implicit-def: $vgpr3
.LBB6_3539:                             ;   in Loop: Header=BB6_3191 Depth=2
	s_andn2_saveexec_b64 s[18:19], s[52:53]
; %bb.3540:                             ;   in Loop: Header=BB6_3191 Depth=2
	v_or_b32_sdwa v1, v3, s69 dst_sel:DWORD dst_unused:UNUSED_PAD src0_sel:BYTE_3 src1_sel:DWORD
	v_cmp_eq_u64_e32 vcc, 0, v[36:37]
	v_cndmask_b32_e32 v56, v1, v56, vcc
; %bb.3541:                             ;   in Loop: Header=BB6_3191 Depth=2
	s_or_b64 exec, exec, s[18:19]
	v_cmp_lt_u32_e32 vcc, s43, v10
	v_mov_b32_e32 v1, 0
	s_and_saveexec_b64 s[18:19], vcc
	s_cbranch_execz .LBB6_3547
; %bb.3542:                             ;   in Loop: Header=BB6_3191 Depth=2
	v_lshrrev_b32_e32 v14, 24, v10
	v_cmp_ne_u32_e32 vcc, s71, v14
	v_bfrev_b32_e32 v1, 1
	s_and_saveexec_b64 s[52:53], vcc
	s_cbranch_execz .LBB6_3546
; %bb.3543:                             ;   in Loop: Header=BB6_3191 Depth=2
	v_bfe_u32 v3, v10, 24, 7
	v_cmp_ne_u32_e32 vcc, s69, v3
	v_mov_b32_e32 v1, 0x7f800001
	s_and_saveexec_b64 s[54:55], vcc
	s_cbranch_execz .LBB6_3545
; %bb.3544:                             ;   in Loop: Header=BB6_3191 Depth=2
	v_and_b32_e32 v1, 7, v14
	v_ffbh_u32_e32 v9, v1
	v_min_u32_e32 v9, 32, v9
	v_subrev_u32_e32 v15, 28, v9
	v_lshlrev_b64 v[16:17], v15, v[14:15]
	v_lshrrev_b32_e32 v4, 3, v3
	v_sub_u32_e32 v9, 29, v9
	v_and_b32_e32 v15, 7, v16
	v_cmp_gt_u32_e32 vcc, 8, v3
	v_cndmask_b32_e32 v3, v4, v9, vcc
	v_cndmask_b32_e32 v1, v1, v15, vcc
	v_lshlrev_b32_e32 v4, 24, v14
	v_lshlrev_b32_e32 v1, 20, v1
	v_and_b32_e32 v4, 0x80000000, v4
	v_lshl_add_u32 v3, v3, 23, v21
	v_or3_b32 v1, v4, v3, v1
.LBB6_3545:                             ;   in Loop: Header=BB6_3191 Depth=2
	s_or_b64 exec, exec, s[54:55]
.LBB6_3546:                             ;   in Loop: Header=BB6_3191 Depth=2
	s_or_b64 exec, exec, s[52:53]
.LBB6_3547:                             ;   in Loop: Header=BB6_3191 Depth=2
	s_or_b64 exec, exec, s[18:19]
	v_mul_f32_e32 v3, v5, v1
	v_and_b32_sdwa v1, v3, s71 dst_sel:DWORD dst_unused:UNUSED_PAD src0_sel:BYTE_3 src1_sel:DWORD
	v_and_b32_e32 v14, 0x7f800000, v3
	v_mov_b32_e32 v15, v37
	v_and_b32_e32 v36, 0x7fffff, v3
	v_or_b32_e32 v34, 0x7e, v1
	v_cmp_ne_u64_e32 vcc, s[38:39], v[14:15]
	s_and_saveexec_b64 s[18:19], vcc
	s_xor_b64 s[52:53], exec, s[18:19]
	s_cbranch_execz .LBB6_3557
; %bb.3548:                             ;   in Loop: Header=BB6_3191 Depth=2
	v_and_b32_e32 v14, 0x7fffffff, v3
	v_mov_b32_e32 v15, v37
	v_cmp_gt_u64_e32 vcc, s[40:41], v[14:15]
	s_and_saveexec_b64 s[54:55], vcc
	s_cbranch_execz .LBB6_3556
; %bb.3549:                             ;   in Loop: Header=BB6_3191 Depth=2
	v_cmp_ne_u32_e32 vcc, 0, v3
	v_mov_b32_e32 v34, 0
	s_and_saveexec_b64 s[56:57], vcc
	s_cbranch_execz .LBB6_3555
; %bb.3550:                             ;   in Loop: Header=BB6_3191 Depth=2
	v_bfe_u32 v3, v3, 23, 8
	v_sub_u32_e32 v9, 0x79, v3
	v_cmp_gt_u32_e32 vcc, s72, v3
	v_add_u32_e32 v4, 0xffffff81, v3
	v_cndmask_b32_e32 v9, 0, v9, vcc
	v_cmp_eq_u32_e32 vcc, 0, v3
	v_mov_b32_e32 v3, 0xffffff82
	v_cndmask_b32_e32 v3, v4, v3, vcc
	v_mov_b32_e32 v4, 0x78
	v_cndmask_b32_e32 v4, v9, v4, vcc
	v_or_b32_e32 v14, 0x800000, v36
	v_add_u32_e32 v9, 20, v4
	v_cndmask_b32_e32 v36, v14, v36, vcc
	v_lshlrev_b64 v[14:15], v9, -1
	v_not_b32_e32 v9, v15
	v_and_b32_e32 v15, 0, v9
	v_add_u32_e32 v9, 19, v4
	v_lshrrev_b64 v[18:19], v4, v[36:37]
	v_not_b32_e32 v14, v14
	v_lshlrev_b64 v[16:17], v9, 1
	v_lshrrev_b32_e32 v9, 23, v18
	v_and_b32_e32 v14, v36, v14
	v_add3_u32 v9, v4, v3, v9
	v_bfe_u32 v3, v18, 20, 1
	v_add_u32_e32 v3, -1, v3
	v_cmp_eq_u64_e32 vcc, v[14:15], v[16:17]
	v_cndmask_b32_e32 v3, 0, v3, vcc
	v_add_u32_e32 v3, v3, v18
	v_and_b32_e32 v3, 0xfffff, v3
	v_add_co_u32_e32 v14, vcc, v3, v18
	v_add_u32_e32 v4, 6, v9
	v_addc_co_u32_e32 v15, vcc, 0, v19, vcc
	v_cmp_ne_u32_e32 vcc, 0, v4
                                        ; implicit-def: $vgpr3
	s_and_saveexec_b64 s[18:19], vcc
	s_xor_b64 s[18:19], exec, s[18:19]
; %bb.3551:                             ;   in Loop: Header=BB6_3191 Depth=2
	v_add_u32_e32 v3, 7, v9
	v_cmp_lt_u64_e32 vcc, s[44:45], v[14:15]
	v_cndmask_b32_e32 v3, v4, v3, vcc
	v_cndmask_b32_e64 v4, 0, 1, vcc
	v_lshrrev_b64 v[14:15], v4, v[14:15]
; %bb.3552:                             ;   in Loop: Header=BB6_3191 Depth=2
	s_andn2_saveexec_b64 s[18:19], s[18:19]
; %bb.3553:                             ;   in Loop: Header=BB6_3191 Depth=2
	v_bfe_u32 v3, v14, 23, 1
; %bb.3554:                             ;   in Loop: Header=BB6_3191 Depth=2
	s_or_b64 exec, exec, s[18:19]
	v_lshrrev_b64 v[14:15], 20, v[14:15]
	v_cmp_gt_i32_e32 vcc, 16, v3
	v_cndmask_b32_e32 v15, 0, v15, vcc
	v_cndmask_b32_e32 v14, 7, v14, vcc
	v_cmp_eq_u32_e32 vcc, 0, v3
	v_min_i32_e32 v3, 15, v3
	v_cmp_eq_u64_e64 s[18:19], 0, v[14:15]
	v_lshlrev_b32_e32 v3, 3, v3
	v_and_or_b32 v3, v14, 7, v3
	s_and_b64 s[18:19], vcc, s[18:19]
	v_cndmask_b32_e64 v3, v3, 0, s[18:19]
	v_or_b32_e32 v34, v3, v1
.LBB6_3555:                             ;   in Loop: Header=BB6_3191 Depth=2
	s_or_b64 exec, exec, s[56:57]
.LBB6_3556:                             ;   in Loop: Header=BB6_3191 Depth=2
	s_or_b64 exec, exec, s[54:55]
                                        ; implicit-def: $vgpr3
.LBB6_3557:                             ;   in Loop: Header=BB6_3191 Depth=2
	s_andn2_saveexec_b64 s[18:19], s[52:53]
; %bb.3558:                             ;   in Loop: Header=BB6_3191 Depth=2
	v_or_b32_sdwa v1, v3, s69 dst_sel:DWORD dst_unused:UNUSED_PAD src0_sel:BYTE_3 src1_sel:DWORD
	v_cmp_eq_u64_e32 vcc, 0, v[36:37]
	v_cndmask_b32_e32 v34, v1, v34, vcc
; %bb.3559:                             ;   in Loop: Header=BB6_3191 Depth=2
	s_or_b64 exec, exec, s[18:19]
	v_mov_b32_e32 v36, v11
	v_cmp_ne_u16_sdwa vcc, v11, v37 src0_sel:BYTE_0 src1_sel:DWORD
	v_mov_b32_e32 v1, 0
	s_and_saveexec_b64 s[18:19], vcc
	s_cbranch_execz .LBB6_3565
; %bb.3560:                             ;   in Loop: Header=BB6_3191 Depth=2
	v_cmp_ne_u16_sdwa vcc, v11, s71 src0_sel:BYTE_0 src1_sel:DWORD
	v_bfrev_b32_e32 v1, 1
	s_and_saveexec_b64 s[52:53], vcc
	s_cbranch_execz .LBB6_3564
; %bb.3561:                             ;   in Loop: Header=BB6_3191 Depth=2
	v_and_b32_e32 v3, 0x7f, v11
	v_cmp_ne_u32_e32 vcc, s69, v3
	v_mov_b32_e32 v1, 0x7f800001
	s_and_saveexec_b64 s[54:55], vcc
	s_cbranch_execz .LBB6_3563
; %bb.3562:                             ;   in Loop: Header=BB6_3191 Depth=2
	v_and_b32_e32 v1, 7, v11
	v_ffbh_u32_e32 v1, v1
	v_min_u32_e32 v1, 32, v1
	v_subrev_u32_e32 v9, 28, v1
	v_cmp_gt_u32_e32 vcc, 8, v3
	v_lshrrev_b32_e32 v4, 3, v3
	v_cndmask_b32_e32 v3, 0, v9, vcc
	v_sub_u32_e32 v1, 29, v1
	v_lshlrev_b64 v[14:15], v3, v[36:37]
	v_cndmask_b32_e32 v1, v4, v1, vcc
	v_lshlrev_b32_e32 v3, 20, v14
	v_lshlrev_b32_e32 v4, 24, v36
	v_and_b32_e32 v3, 0x700000, v3
	v_and_b32_e32 v4, 0x80000000, v4
	v_lshl_add_u32 v1, v1, 23, v21
	v_or3_b32 v1, v4, v1, v3
.LBB6_3563:                             ;   in Loop: Header=BB6_3191 Depth=2
	s_or_b64 exec, exec, s[54:55]
.LBB6_3564:                             ;   in Loop: Header=BB6_3191 Depth=2
	s_or_b64 exec, exec, s[52:53]
.LBB6_3565:                             ;   in Loop: Header=BB6_3191 Depth=2
	s_or_b64 exec, exec, s[18:19]
	v_mul_f32_e32 v3, v5, v1
	v_and_b32_sdwa v1, v3, s71 dst_sel:DWORD dst_unused:UNUSED_PAD src0_sel:BYTE_3 src1_sel:DWORD
	v_and_b32_e32 v16, 0x7f800000, v3
	v_mov_b32_e32 v17, v37
	v_and_b32_e32 v14, 0x7fffff, v3
	v_mov_b32_e32 v15, v37
	v_or_b32_e32 v27, 0x7e, v1
	v_cmp_ne_u64_e32 vcc, s[38:39], v[16:17]
	s_and_saveexec_b64 s[18:19], vcc
	s_xor_b64 s[52:53], exec, s[18:19]
	s_cbranch_execz .LBB6_3575
; %bb.3566:                             ;   in Loop: Header=BB6_3191 Depth=2
	v_and_b32_e32 v16, 0x7fffffff, v3
	v_mov_b32_e32 v17, v37
	v_cmp_gt_u64_e32 vcc, s[40:41], v[16:17]
	s_and_saveexec_b64 s[54:55], vcc
	s_cbranch_execz .LBB6_3574
; %bb.3567:                             ;   in Loop: Header=BB6_3191 Depth=2
	v_cmp_ne_u32_e32 vcc, 0, v3
	v_mov_b32_e32 v27, 0
	s_and_saveexec_b64 s[56:57], vcc
	s_cbranch_execz .LBB6_3573
; %bb.3568:                             ;   in Loop: Header=BB6_3191 Depth=2
	v_bfe_u32 v3, v3, 23, 8
	v_sub_u32_e32 v9, 0x79, v3
	v_cmp_gt_u32_e32 vcc, s72, v3
	v_add_u32_e32 v4, 0xffffff81, v3
	v_cndmask_b32_e32 v9, 0, v9, vcc
	v_cmp_eq_u32_e32 vcc, 0, v3
	v_mov_b32_e32 v3, 0xffffff82
	v_cndmask_b32_e32 v3, v4, v3, vcc
	v_mov_b32_e32 v4, 0x78
	v_cndmask_b32_e32 v4, v9, v4, vcc
	v_or_b32_e32 v16, 0x800000, v14
	v_add_u32_e32 v9, 20, v4
	v_cndmask_b32_e32 v14, v16, v14, vcc
	v_lshlrev_b64 v[16:17], v9, -1
	v_not_b32_e32 v9, v17
	v_not_b32_e32 v16, v16
	v_and_b32_e32 v17, 0, v9
	v_and_b32_e32 v16, v14, v16
	v_add_u32_e32 v9, 19, v4
	v_lshrrev_b64 v[14:15], v4, v[14:15]
	v_lshlrev_b64 v[18:19], v9, 1
	v_lshrrev_b32_e32 v9, 23, v14
	v_add3_u32 v9, v4, v3, v9
	v_bfe_u32 v3, v14, 20, 1
	v_add_u32_e32 v3, -1, v3
	v_cmp_eq_u64_e32 vcc, v[16:17], v[18:19]
	v_cndmask_b32_e32 v3, 0, v3, vcc
	v_add_u32_e32 v3, v3, v14
	v_and_b32_e32 v3, 0xfffff, v3
	v_add_co_u32_e32 v14, vcc, v3, v14
	v_add_u32_e32 v4, 6, v9
	v_addc_co_u32_e32 v15, vcc, 0, v15, vcc
	v_cmp_ne_u32_e32 vcc, 0, v4
                                        ; implicit-def: $vgpr3
	s_and_saveexec_b64 s[18:19], vcc
	s_xor_b64 s[18:19], exec, s[18:19]
; %bb.3569:                             ;   in Loop: Header=BB6_3191 Depth=2
	v_add_u32_e32 v3, 7, v9
	v_cmp_lt_u64_e32 vcc, s[44:45], v[14:15]
	v_cndmask_b32_e32 v3, v4, v3, vcc
	v_cndmask_b32_e64 v4, 0, 1, vcc
	v_lshrrev_b64 v[14:15], v4, v[14:15]
; %bb.3570:                             ;   in Loop: Header=BB6_3191 Depth=2
	s_andn2_saveexec_b64 s[18:19], s[18:19]
; %bb.3571:                             ;   in Loop: Header=BB6_3191 Depth=2
	v_bfe_u32 v3, v14, 23, 1
; %bb.3572:                             ;   in Loop: Header=BB6_3191 Depth=2
	s_or_b64 exec, exec, s[18:19]
	v_lshrrev_b64 v[14:15], 20, v[14:15]
	v_cmp_gt_i32_e32 vcc, 16, v3
	v_cndmask_b32_e32 v15, 0, v15, vcc
	v_cndmask_b32_e32 v14, 7, v14, vcc
	v_cmp_eq_u32_e32 vcc, 0, v3
	v_min_i32_e32 v3, 15, v3
	v_cmp_eq_u64_e64 s[18:19], 0, v[14:15]
	v_lshlrev_b32_e32 v3, 3, v3
	v_and_or_b32 v3, v14, 7, v3
	s_and_b64 s[18:19], vcc, s[18:19]
	v_cndmask_b32_e64 v3, v3, 0, s[18:19]
	v_or_b32_e32 v27, v3, v1
.LBB6_3573:                             ;   in Loop: Header=BB6_3191 Depth=2
	s_or_b64 exec, exec, s[56:57]
.LBB6_3574:                             ;   in Loop: Header=BB6_3191 Depth=2
	s_or_b64 exec, exec, s[54:55]
                                        ; implicit-def: $vgpr3
                                        ; implicit-def: $vgpr14_vgpr15
.LBB6_3575:                             ;   in Loop: Header=BB6_3191 Depth=2
	s_andn2_saveexec_b64 s[18:19], s[52:53]
; %bb.3576:                             ;   in Loop: Header=BB6_3191 Depth=2
	v_or_b32_sdwa v1, v3, s69 dst_sel:DWORD dst_unused:UNUSED_PAD src0_sel:BYTE_3 src1_sel:DWORD
	v_cmp_eq_u64_e32 vcc, 0, v[14:15]
	v_cndmask_b32_e32 v27, v1, v27, vcc
; %bb.3577:                             ;   in Loop: Header=BB6_3191 Depth=2
	s_or_b64 exec, exec, s[18:19]
	v_lshrrev_b16_e32 v14, 8, v36
	v_cmp_ne_u16_e32 vcc, 0, v14
	v_mov_b32_e32 v1, 0
	s_and_saveexec_b64 s[18:19], vcc
	s_cbranch_execz .LBB6_3583
; %bb.3578:                             ;   in Loop: Header=BB6_3191 Depth=2
	v_cmp_ne_u16_e32 vcc, s71, v14
	v_bfrev_b32_e32 v1, 1
	s_and_saveexec_b64 s[52:53], vcc
	s_cbranch_execz .LBB6_3582
; %bb.3579:                             ;   in Loop: Header=BB6_3191 Depth=2
	v_and_b32_e32 v3, 0x7f, v14
	v_cmp_ne_u32_e32 vcc, s69, v3
	v_mov_b32_e32 v1, 0x7f800001
	s_and_saveexec_b64 s[54:55], vcc
	s_cbranch_execz .LBB6_3581
; %bb.3580:                             ;   in Loop: Header=BB6_3191 Depth=2
	v_and_b32_e32 v1, 7, v14
	v_ffbh_u32_e32 v9, v1
	v_min_u32_e32 v9, 32, v9
	v_subrev_u32_e32 v15, 28, v9
	v_lshlrev_b64 v[14:15], v15, v[14:15]
	v_lshrrev_b32_e32 v4, 3, v3
	v_sub_u32_e32 v9, 29, v9
	v_and_b32_e32 v14, 7, v14
	v_cmp_gt_u32_e32 vcc, 8, v3
	v_cndmask_b32_e32 v3, v4, v9, vcc
	v_cndmask_b32_e32 v1, v1, v14, vcc
	v_lshlrev_b32_e32 v4, 16, v36
	v_lshlrev_b32_e32 v1, 20, v1
	v_and_b32_e32 v4, 0x80000000, v4
	v_lshl_add_u32 v3, v3, 23, v21
	v_or3_b32 v1, v4, v3, v1
.LBB6_3581:                             ;   in Loop: Header=BB6_3191 Depth=2
	s_or_b64 exec, exec, s[54:55]
.LBB6_3582:                             ;   in Loop: Header=BB6_3191 Depth=2
	s_or_b64 exec, exec, s[52:53]
.LBB6_3583:                             ;   in Loop: Header=BB6_3191 Depth=2
	s_or_b64 exec, exec, s[18:19]
	v_mul_f32_e32 v3, v5, v1
	v_and_b32_sdwa v1, v3, s71 dst_sel:DWORD dst_unused:UNUSED_PAD src0_sel:BYTE_3 src1_sel:DWORD
	v_and_b32_e32 v14, 0x7f800000, v3
	v_mov_b32_e32 v15, v37
	v_and_b32_e32 v36, 0x7fffff, v3
	v_or_b32_e32 v55, 0x7e, v1
	v_cmp_ne_u64_e32 vcc, s[38:39], v[14:15]
	s_and_saveexec_b64 s[18:19], vcc
	s_xor_b64 s[52:53], exec, s[18:19]
	s_cbranch_execz .LBB6_3593
; %bb.3584:                             ;   in Loop: Header=BB6_3191 Depth=2
	v_and_b32_e32 v14, 0x7fffffff, v3
	v_mov_b32_e32 v15, v37
	v_cmp_gt_u64_e32 vcc, s[40:41], v[14:15]
	s_and_saveexec_b64 s[54:55], vcc
	s_cbranch_execz .LBB6_3592
; %bb.3585:                             ;   in Loop: Header=BB6_3191 Depth=2
	v_cmp_ne_u32_e32 vcc, 0, v3
	v_mov_b32_e32 v55, 0
	s_and_saveexec_b64 s[56:57], vcc
	s_cbranch_execz .LBB6_3591
; %bb.3586:                             ;   in Loop: Header=BB6_3191 Depth=2
	v_bfe_u32 v3, v3, 23, 8
	v_sub_u32_e32 v9, 0x79, v3
	v_cmp_gt_u32_e32 vcc, s72, v3
	v_add_u32_e32 v4, 0xffffff81, v3
	v_cndmask_b32_e32 v9, 0, v9, vcc
	v_cmp_eq_u32_e32 vcc, 0, v3
	v_mov_b32_e32 v3, 0xffffff82
	v_cndmask_b32_e32 v3, v4, v3, vcc
	v_mov_b32_e32 v4, 0x78
	v_cndmask_b32_e32 v4, v9, v4, vcc
	v_or_b32_e32 v14, 0x800000, v36
	v_add_u32_e32 v9, 20, v4
	v_cndmask_b32_e32 v36, v14, v36, vcc
	v_lshlrev_b64 v[14:15], v9, -1
	v_not_b32_e32 v9, v15
	v_and_b32_e32 v15, 0, v9
	v_add_u32_e32 v9, 19, v4
	v_lshrrev_b64 v[18:19], v4, v[36:37]
	v_not_b32_e32 v14, v14
	v_lshlrev_b64 v[16:17], v9, 1
	v_lshrrev_b32_e32 v9, 23, v18
	v_and_b32_e32 v14, v36, v14
	v_add3_u32 v9, v4, v3, v9
	v_bfe_u32 v3, v18, 20, 1
	v_add_u32_e32 v3, -1, v3
	v_cmp_eq_u64_e32 vcc, v[14:15], v[16:17]
	v_cndmask_b32_e32 v3, 0, v3, vcc
	v_add_u32_e32 v3, v3, v18
	v_and_b32_e32 v3, 0xfffff, v3
	v_add_co_u32_e32 v14, vcc, v3, v18
	v_add_u32_e32 v4, 6, v9
	v_addc_co_u32_e32 v15, vcc, 0, v19, vcc
	v_cmp_ne_u32_e32 vcc, 0, v4
                                        ; implicit-def: $vgpr3
	s_and_saveexec_b64 s[18:19], vcc
	s_xor_b64 s[18:19], exec, s[18:19]
; %bb.3587:                             ;   in Loop: Header=BB6_3191 Depth=2
	v_add_u32_e32 v3, 7, v9
	v_cmp_lt_u64_e32 vcc, s[44:45], v[14:15]
	v_cndmask_b32_e32 v3, v4, v3, vcc
	v_cndmask_b32_e64 v4, 0, 1, vcc
	v_lshrrev_b64 v[14:15], v4, v[14:15]
; %bb.3588:                             ;   in Loop: Header=BB6_3191 Depth=2
	s_andn2_saveexec_b64 s[18:19], s[18:19]
; %bb.3589:                             ;   in Loop: Header=BB6_3191 Depth=2
	v_bfe_u32 v3, v14, 23, 1
; %bb.3590:                             ;   in Loop: Header=BB6_3191 Depth=2
	s_or_b64 exec, exec, s[18:19]
	v_lshrrev_b64 v[14:15], 20, v[14:15]
	v_cmp_gt_i32_e32 vcc, 16, v3
	v_cndmask_b32_e32 v15, 0, v15, vcc
	v_cndmask_b32_e32 v14, 7, v14, vcc
	v_cmp_eq_u32_e32 vcc, 0, v3
	v_min_i32_e32 v3, 15, v3
	v_lshlrev_b32_e32 v3, 3, v3
	v_cmp_eq_u64_e64 s[18:19], 0, v[14:15]
	v_and_b32_e32 v3, 0xf8, v3
	v_and_or_b32 v3, v14, 7, v3
	s_and_b64 s[18:19], vcc, s[18:19]
	v_cndmask_b32_e64 v3, v3, 0, s[18:19]
	v_or_b32_e32 v55, v3, v1
.LBB6_3591:                             ;   in Loop: Header=BB6_3191 Depth=2
	s_or_b64 exec, exec, s[56:57]
.LBB6_3592:                             ;   in Loop: Header=BB6_3191 Depth=2
	s_or_b64 exec, exec, s[54:55]
                                        ; implicit-def: $vgpr3
.LBB6_3593:                             ;   in Loop: Header=BB6_3191 Depth=2
	s_andn2_saveexec_b64 s[18:19], s[52:53]
; %bb.3594:                             ;   in Loop: Header=BB6_3191 Depth=2
	v_or_b32_sdwa v1, v3, s69 dst_sel:DWORD dst_unused:UNUSED_PAD src0_sel:BYTE_3 src1_sel:DWORD
	v_cmp_eq_u64_e32 vcc, 0, v[36:37]
	v_cndmask_b32_e32 v55, v1, v55, vcc
; %bb.3595:                             ;   in Loop: Header=BB6_3191 Depth=2
	s_or_b64 exec, exec, s[18:19]
	v_lshrrev_b32_e32 v14, 16, v11
	v_cmp_ne_u16_sdwa vcc, v14, v37 src0_sel:BYTE_0 src1_sel:DWORD
	v_mov_b32_e32 v1, 0
	s_and_saveexec_b64 s[18:19], vcc
	s_cbranch_execz .LBB6_3601
; %bb.3596:                             ;   in Loop: Header=BB6_3191 Depth=2
	v_cmp_ne_u16_sdwa vcc, v14, s71 src0_sel:BYTE_0 src1_sel:DWORD
	v_bfrev_b32_e32 v1, 1
	s_and_saveexec_b64 s[52:53], vcc
	s_cbranch_execz .LBB6_3600
; %bb.3597:                             ;   in Loop: Header=BB6_3191 Depth=2
	v_bfe_u32 v3, v11, 16, 7
	v_cmp_ne_u32_e32 vcc, s69, v3
	v_mov_b32_e32 v1, 0x7f800001
	s_and_saveexec_b64 s[54:55], vcc
	s_cbranch_execz .LBB6_3599
; %bb.3598:                             ;   in Loop: Header=BB6_3191 Depth=2
	v_and_b32_e32 v1, 7, v14
	v_ffbh_u32_e32 v9, v1
	v_min_u32_e32 v9, 32, v9
	v_subrev_u32_e32 v15, 28, v9
	v_lshlrev_b64 v[16:17], v15, v[14:15]
	v_lshrrev_b32_e32 v4, 3, v3
	v_sub_u32_e32 v9, 29, v9
	v_and_b32_e32 v15, 7, v16
	v_cmp_gt_u32_e32 vcc, 8, v3
	v_cndmask_b32_e32 v3, v4, v9, vcc
	v_cndmask_b32_e32 v1, v1, v15, vcc
	v_lshlrev_b32_e32 v4, 24, v14
	v_lshlrev_b32_e32 v1, 20, v1
	v_and_b32_e32 v4, 0x80000000, v4
	v_lshl_add_u32 v3, v3, 23, v21
	v_or3_b32 v1, v4, v3, v1
.LBB6_3599:                             ;   in Loop: Header=BB6_3191 Depth=2
	s_or_b64 exec, exec, s[54:55]
.LBB6_3600:                             ;   in Loop: Header=BB6_3191 Depth=2
	s_or_b64 exec, exec, s[52:53]
.LBB6_3601:                             ;   in Loop: Header=BB6_3191 Depth=2
	s_or_b64 exec, exec, s[18:19]
	v_mul_f32_e32 v3, v5, v1
	v_and_b32_sdwa v1, v3, s71 dst_sel:DWORD dst_unused:UNUSED_PAD src0_sel:BYTE_3 src1_sel:DWORD
	v_and_b32_e32 v14, 0x7f800000, v3
	v_mov_b32_e32 v15, v37
	v_and_b32_e32 v36, 0x7fffff, v3
	v_or_b32_e32 v48, 0x7e, v1
	v_cmp_ne_u64_e32 vcc, s[38:39], v[14:15]
	s_and_saveexec_b64 s[18:19], vcc
	s_xor_b64 s[52:53], exec, s[18:19]
	s_cbranch_execz .LBB6_3611
; %bb.3602:                             ;   in Loop: Header=BB6_3191 Depth=2
	v_and_b32_e32 v14, 0x7fffffff, v3
	v_mov_b32_e32 v15, v37
	v_cmp_gt_u64_e32 vcc, s[40:41], v[14:15]
	s_and_saveexec_b64 s[54:55], vcc
	s_cbranch_execz .LBB6_3610
; %bb.3603:                             ;   in Loop: Header=BB6_3191 Depth=2
	v_cmp_ne_u32_e32 vcc, 0, v3
	v_mov_b32_e32 v48, 0
	s_and_saveexec_b64 s[56:57], vcc
	s_cbranch_execz .LBB6_3609
; %bb.3604:                             ;   in Loop: Header=BB6_3191 Depth=2
	v_bfe_u32 v3, v3, 23, 8
	v_sub_u32_e32 v9, 0x79, v3
	v_cmp_gt_u32_e32 vcc, s72, v3
	v_add_u32_e32 v4, 0xffffff81, v3
	v_cndmask_b32_e32 v9, 0, v9, vcc
	v_cmp_eq_u32_e32 vcc, 0, v3
	v_mov_b32_e32 v3, 0xffffff82
	v_cndmask_b32_e32 v3, v4, v3, vcc
	v_mov_b32_e32 v4, 0x78
	v_cndmask_b32_e32 v4, v9, v4, vcc
	v_or_b32_e32 v14, 0x800000, v36
	v_add_u32_e32 v9, 20, v4
	v_cndmask_b32_e32 v36, v14, v36, vcc
	v_lshlrev_b64 v[14:15], v9, -1
	v_not_b32_e32 v9, v15
	v_and_b32_e32 v15, 0, v9
	v_add_u32_e32 v9, 19, v4
	v_lshrrev_b64 v[18:19], v4, v[36:37]
	v_not_b32_e32 v14, v14
	v_lshlrev_b64 v[16:17], v9, 1
	v_lshrrev_b32_e32 v9, 23, v18
	v_and_b32_e32 v14, v36, v14
	v_add3_u32 v9, v4, v3, v9
	v_bfe_u32 v3, v18, 20, 1
	v_add_u32_e32 v3, -1, v3
	v_cmp_eq_u64_e32 vcc, v[14:15], v[16:17]
	v_cndmask_b32_e32 v3, 0, v3, vcc
	v_add_u32_e32 v3, v3, v18
	v_and_b32_e32 v3, 0xfffff, v3
	v_add_co_u32_e32 v14, vcc, v3, v18
	v_add_u32_e32 v4, 6, v9
	v_addc_co_u32_e32 v15, vcc, 0, v19, vcc
	v_cmp_ne_u32_e32 vcc, 0, v4
                                        ; implicit-def: $vgpr3
	s_and_saveexec_b64 s[18:19], vcc
	s_xor_b64 s[18:19], exec, s[18:19]
; %bb.3605:                             ;   in Loop: Header=BB6_3191 Depth=2
	v_add_u32_e32 v3, 7, v9
	v_cmp_lt_u64_e32 vcc, s[44:45], v[14:15]
	v_cndmask_b32_e32 v3, v4, v3, vcc
	v_cndmask_b32_e64 v4, 0, 1, vcc
	v_lshrrev_b64 v[14:15], v4, v[14:15]
; %bb.3606:                             ;   in Loop: Header=BB6_3191 Depth=2
	s_andn2_saveexec_b64 s[18:19], s[18:19]
; %bb.3607:                             ;   in Loop: Header=BB6_3191 Depth=2
	v_bfe_u32 v3, v14, 23, 1
; %bb.3608:                             ;   in Loop: Header=BB6_3191 Depth=2
	s_or_b64 exec, exec, s[18:19]
	v_lshrrev_b64 v[14:15], 20, v[14:15]
	v_cmp_gt_i32_e32 vcc, 16, v3
	v_cndmask_b32_e32 v15, 0, v15, vcc
	v_cndmask_b32_e32 v14, 7, v14, vcc
	v_cmp_eq_u32_e32 vcc, 0, v3
	v_min_i32_e32 v3, 15, v3
	v_lshlrev_b32_e32 v3, 3, v3
	v_cmp_eq_u64_e64 s[18:19], 0, v[14:15]
	v_and_b32_e32 v3, 0xf8, v3
	v_and_or_b32 v3, v14, 7, v3
	s_and_b64 s[18:19], vcc, s[18:19]
	v_cndmask_b32_e64 v3, v3, 0, s[18:19]
	v_or_b32_e32 v48, v3, v1
.LBB6_3609:                             ;   in Loop: Header=BB6_3191 Depth=2
	s_or_b64 exec, exec, s[56:57]
.LBB6_3610:                             ;   in Loop: Header=BB6_3191 Depth=2
	s_or_b64 exec, exec, s[54:55]
                                        ; implicit-def: $vgpr3
.LBB6_3611:                             ;   in Loop: Header=BB6_3191 Depth=2
	s_andn2_saveexec_b64 s[18:19], s[52:53]
; %bb.3612:                             ;   in Loop: Header=BB6_3191 Depth=2
	v_or_b32_sdwa v1, v3, s69 dst_sel:DWORD dst_unused:UNUSED_PAD src0_sel:BYTE_3 src1_sel:DWORD
	v_cmp_eq_u64_e32 vcc, 0, v[36:37]
	v_cndmask_b32_e32 v48, v1, v48, vcc
; %bb.3613:                             ;   in Loop: Header=BB6_3191 Depth=2
	s_or_b64 exec, exec, s[18:19]
	v_cmp_lt_u64_e32 vcc, s[42:43], v[10:11]
	v_mov_b32_e32 v1, 0
	s_and_saveexec_b64 s[18:19], vcc
	s_cbranch_execz .LBB6_3619
; %bb.3614:                             ;   in Loop: Header=BB6_3191 Depth=2
	v_lshrrev_b32_e32 v10, 24, v11
	v_cmp_ne_u32_e32 vcc, s71, v10
	v_bfrev_b32_e32 v1, 1
	s_and_saveexec_b64 s[52:53], vcc
	s_cbranch_execz .LBB6_3618
; %bb.3615:                             ;   in Loop: Header=BB6_3191 Depth=2
	v_bfe_u32 v3, v11, 24, 7
	v_cmp_ne_u32_e32 vcc, s69, v3
	v_mov_b32_e32 v1, 0x7f800001
	s_and_saveexec_b64 s[54:55], vcc
	s_cbranch_execz .LBB6_3617
; %bb.3616:                             ;   in Loop: Header=BB6_3191 Depth=2
	v_and_b32_e32 v1, 7, v10
	v_ffbh_u32_e32 v9, v1
	v_min_u32_e32 v9, 32, v9
	v_subrev_u32_e32 v11, 28, v9
	v_lshlrev_b64 v[14:15], v11, v[10:11]
	v_lshrrev_b32_e32 v4, 3, v3
	v_sub_u32_e32 v9, 29, v9
	v_and_b32_e32 v11, 7, v14
	v_cmp_gt_u32_e32 vcc, 8, v3
	v_cndmask_b32_e32 v3, v4, v9, vcc
	v_cndmask_b32_e32 v1, v1, v11, vcc
	v_lshlrev_b32_e32 v4, 24, v10
	v_lshlrev_b32_e32 v1, 20, v1
	v_and_b32_e32 v4, 0x80000000, v4
	v_lshl_add_u32 v3, v3, 23, v21
	v_or3_b32 v1, v4, v3, v1
.LBB6_3617:                             ;   in Loop: Header=BB6_3191 Depth=2
	s_or_b64 exec, exec, s[54:55]
.LBB6_3618:                             ;   in Loop: Header=BB6_3191 Depth=2
	s_or_b64 exec, exec, s[52:53]
.LBB6_3619:                             ;   in Loop: Header=BB6_3191 Depth=2
	s_or_b64 exec, exec, s[18:19]
	v_mul_f32_e32 v3, v5, v1
	v_and_b32_sdwa v1, v3, s71 dst_sel:DWORD dst_unused:UNUSED_PAD src0_sel:BYTE_3 src1_sel:DWORD
	v_and_b32_e32 v10, 0x7f800000, v3
	v_mov_b32_e32 v11, v37
	v_and_b32_e32 v36, 0x7fffff, v3
	v_or_b32_e32 v9, 0x7e, v1
	v_cmp_ne_u64_e32 vcc, s[38:39], v[10:11]
	s_and_saveexec_b64 s[18:19], vcc
	s_xor_b64 s[52:53], exec, s[18:19]
	s_cbranch_execz .LBB6_3629
; %bb.3620:                             ;   in Loop: Header=BB6_3191 Depth=2
	v_and_b32_e32 v10, 0x7fffffff, v3
	v_mov_b32_e32 v11, v37
	v_cmp_gt_u64_e32 vcc, s[40:41], v[10:11]
	s_and_saveexec_b64 s[54:55], vcc
	s_cbranch_execz .LBB6_3628
; %bb.3621:                             ;   in Loop: Header=BB6_3191 Depth=2
	v_cmp_ne_u32_e32 vcc, 0, v3
	v_mov_b32_e32 v9, 0
	s_and_saveexec_b64 s[56:57], vcc
	s_cbranch_execz .LBB6_3627
; %bb.3622:                             ;   in Loop: Header=BB6_3191 Depth=2
	v_bfe_u32 v3, v3, 23, 8
	v_sub_u32_e32 v9, 0x79, v3
	v_cmp_gt_u32_e32 vcc, s72, v3
	v_add_u32_e32 v4, 0xffffff81, v3
	v_cndmask_b32_e32 v9, 0, v9, vcc
	v_cmp_eq_u32_e32 vcc, 0, v3
	v_mov_b32_e32 v3, 0xffffff82
	v_cndmask_b32_e32 v3, v4, v3, vcc
	v_mov_b32_e32 v4, 0x78
	v_cndmask_b32_e32 v4, v9, v4, vcc
	v_or_b32_e32 v10, 0x800000, v36
	v_add_u32_e32 v9, 20, v4
	v_cndmask_b32_e32 v36, v10, v36, vcc
	v_lshlrev_b64 v[10:11], v9, -1
	v_not_b32_e32 v9, v11
	v_and_b32_e32 v11, 0, v9
	v_add_u32_e32 v9, 19, v4
	v_lshrrev_b64 v[16:17], v4, v[36:37]
	v_not_b32_e32 v10, v10
	v_lshlrev_b64 v[14:15], v9, 1
	v_lshrrev_b32_e32 v9, 23, v16
	v_and_b32_e32 v10, v36, v10
	v_add3_u32 v9, v4, v3, v9
	v_bfe_u32 v3, v16, 20, 1
	v_add_u32_e32 v3, -1, v3
	v_cmp_eq_u64_e32 vcc, v[10:11], v[14:15]
	v_cndmask_b32_e32 v3, 0, v3, vcc
	v_add_u32_e32 v3, v3, v16
	v_and_b32_e32 v3, 0xfffff, v3
	v_add_co_u32_e32 v10, vcc, v3, v16
	v_add_u32_e32 v4, 6, v9
	v_addc_co_u32_e32 v11, vcc, 0, v17, vcc
	v_cmp_ne_u32_e32 vcc, 0, v4
                                        ; implicit-def: $vgpr3
	s_and_saveexec_b64 s[18:19], vcc
	s_xor_b64 s[18:19], exec, s[18:19]
; %bb.3623:                             ;   in Loop: Header=BB6_3191 Depth=2
	v_add_u32_e32 v3, 7, v9
	v_cmp_lt_u64_e32 vcc, s[44:45], v[10:11]
	v_cndmask_b32_e32 v3, v4, v3, vcc
	v_cndmask_b32_e64 v4, 0, 1, vcc
	v_lshrrev_b64 v[10:11], v4, v[10:11]
; %bb.3624:                             ;   in Loop: Header=BB6_3191 Depth=2
	s_andn2_saveexec_b64 s[18:19], s[18:19]
; %bb.3625:                             ;   in Loop: Header=BB6_3191 Depth=2
	v_bfe_u32 v3, v10, 23, 1
; %bb.3626:                             ;   in Loop: Header=BB6_3191 Depth=2
	s_or_b64 exec, exec, s[18:19]
	v_lshrrev_b64 v[10:11], 20, v[10:11]
	v_cmp_gt_i32_e32 vcc, 16, v3
	v_cndmask_b32_e32 v11, 0, v11, vcc
	v_cndmask_b32_e32 v10, 7, v10, vcc
	v_cmp_eq_u32_e32 vcc, 0, v3
	v_min_i32_e32 v3, 15, v3
	v_lshlrev_b32_e32 v3, 3, v3
	v_cmp_eq_u64_e64 s[18:19], 0, v[10:11]
	v_and_b32_e32 v3, 0xf8, v3
	v_and_or_b32 v3, v10, 7, v3
	s_and_b64 s[18:19], vcc, s[18:19]
	v_cndmask_b32_e64 v3, v3, 0, s[18:19]
	v_or_b32_e32 v9, v3, v1
.LBB6_3627:                             ;   in Loop: Header=BB6_3191 Depth=2
	s_or_b64 exec, exec, s[56:57]
.LBB6_3628:                             ;   in Loop: Header=BB6_3191 Depth=2
	s_or_b64 exec, exec, s[54:55]
                                        ; implicit-def: $vgpr3
.LBB6_3629:                             ;   in Loop: Header=BB6_3191 Depth=2
	s_andn2_saveexec_b64 s[18:19], s[52:53]
; %bb.3630:                             ;   in Loop: Header=BB6_3191 Depth=2
	v_or_b32_sdwa v1, v3, s69 dst_sel:DWORD dst_unused:UNUSED_PAD src0_sel:BYTE_3 src1_sel:DWORD
	v_cmp_eq_u64_e32 vcc, 0, v[36:37]
	v_cndmask_b32_e32 v9, v1, v9, vcc
; %bb.3631:                             ;   in Loop: Header=BB6_3191 Depth=2
	s_or_b64 exec, exec, s[18:19]
	v_cmp_ne_u16_sdwa vcc, v12, v37 src0_sel:BYTE_0 src1_sel:DWORD
	v_mov_b32_e32 v1, 0
	s_and_saveexec_b64 s[18:19], vcc
	s_cbranch_execz .LBB6_3637
; %bb.3632:                             ;   in Loop: Header=BB6_3191 Depth=2
	v_cmp_ne_u16_sdwa vcc, v12, s71 src0_sel:BYTE_0 src1_sel:DWORD
	v_bfrev_b32_e32 v1, 1
	s_and_saveexec_b64 s[52:53], vcc
	s_cbranch_execz .LBB6_3636
; %bb.3633:                             ;   in Loop: Header=BB6_3191 Depth=2
	v_and_b32_e32 v3, 0x7f, v12
	v_cmp_ne_u32_e32 vcc, s69, v3
	v_mov_b32_e32 v1, 0x7f800001
	s_and_saveexec_b64 s[54:55], vcc
	s_cbranch_execz .LBB6_3635
; %bb.3634:                             ;   in Loop: Header=BB6_3191 Depth=2
	v_and_b32_e32 v1, 7, v12
	v_ffbh_u32_e32 v1, v1
	v_min_u32_e32 v1, 32, v1
	v_subrev_u32_e32 v10, 28, v1
	v_cmp_gt_u32_e32 vcc, 8, v3
	v_lshrrev_b32_e32 v4, 3, v3
	v_cndmask_b32_e32 v3, 0, v10, vcc
	v_sub_u32_e32 v1, 29, v1
	v_lshlrev_b64 v[10:11], v3, v[12:13]
	v_cndmask_b32_e32 v1, v4, v1, vcc
	v_lshlrev_b32_e32 v3, 20, v10
	v_lshlrev_b32_e32 v4, 24, v12
	v_and_b32_e32 v3, 0x700000, v3
	v_and_b32_e32 v4, 0x80000000, v4
	v_lshl_add_u32 v1, v1, 23, v21
	v_or3_b32 v1, v4, v1, v3
.LBB6_3635:                             ;   in Loop: Header=BB6_3191 Depth=2
	s_or_b64 exec, exec, s[54:55]
.LBB6_3636:                             ;   in Loop: Header=BB6_3191 Depth=2
	s_or_b64 exec, exec, s[52:53]
.LBB6_3637:                             ;   in Loop: Header=BB6_3191 Depth=2
	s_or_b64 exec, exec, s[18:19]
	v_mul_f32_e32 v3, v5, v1
	v_and_b32_sdwa v1, v3, s71 dst_sel:DWORD dst_unused:UNUSED_PAD src0_sel:BYTE_3 src1_sel:DWORD
	v_and_b32_e32 v10, 0x7f800000, v3
	v_mov_b32_e32 v11, v37
	v_and_b32_e32 v36, 0x7fffff, v3
	v_or_b32_e32 v18, 0x7e, v1
	v_cmp_ne_u64_e32 vcc, s[38:39], v[10:11]
	s_and_saveexec_b64 s[18:19], vcc
	s_xor_b64 s[52:53], exec, s[18:19]
	s_cbranch_execz .LBB6_3647
; %bb.3638:                             ;   in Loop: Header=BB6_3191 Depth=2
	v_and_b32_e32 v10, 0x7fffffff, v3
	v_mov_b32_e32 v11, v37
	v_cmp_gt_u64_e32 vcc, s[40:41], v[10:11]
	s_and_saveexec_b64 s[54:55], vcc
	s_cbranch_execz .LBB6_3646
; %bb.3639:                             ;   in Loop: Header=BB6_3191 Depth=2
	v_cmp_ne_u32_e32 vcc, 0, v3
	v_mov_b32_e32 v18, 0
	s_and_saveexec_b64 s[56:57], vcc
	s_cbranch_execz .LBB6_3645
; %bb.3640:                             ;   in Loop: Header=BB6_3191 Depth=2
	v_bfe_u32 v3, v3, 23, 8
	v_sub_u32_e32 v10, 0x79, v3
	v_cmp_gt_u32_e32 vcc, s72, v3
	v_add_u32_e32 v4, 0xffffff81, v3
	v_cndmask_b32_e32 v10, 0, v10, vcc
	v_cmp_eq_u32_e32 vcc, 0, v3
	v_mov_b32_e32 v3, 0xffffff82
	v_cndmask_b32_e32 v3, v4, v3, vcc
	v_mov_b32_e32 v4, 0x78
	v_or_b32_e32 v11, 0x800000, v36
	v_cndmask_b32_e32 v4, v10, v4, vcc
	v_cndmask_b32_e32 v36, v11, v36, vcc
	v_add_u32_e32 v10, 20, v4
	v_lshlrev_b64 v[10:11], v10, -1
	v_add_u32_e32 v14, 19, v4
	v_lshrrev_b64 v[18:19], v4, v[36:37]
	v_not_b32_e32 v11, v11
	v_not_b32_e32 v10, v10
	v_lshlrev_b64 v[16:17], v14, 1
	v_lshrrev_b32_e32 v14, 23, v18
	v_and_b32_e32 v11, 0, v11
	v_and_b32_e32 v10, v36, v10
	v_add3_u32 v14, v4, v3, v14
	v_bfe_u32 v3, v18, 20, 1
	v_add_u32_e32 v3, -1, v3
	v_cmp_eq_u64_e32 vcc, v[10:11], v[16:17]
	v_cndmask_b32_e32 v3, 0, v3, vcc
	v_add_u32_e32 v3, v3, v18
	v_and_b32_e32 v3, 0xfffff, v3
	v_add_co_u32_e32 v10, vcc, v3, v18
	v_add_u32_e32 v4, 6, v14
	v_addc_co_u32_e32 v11, vcc, 0, v19, vcc
	v_cmp_ne_u32_e32 vcc, 0, v4
                                        ; implicit-def: $vgpr3
	s_and_saveexec_b64 s[18:19], vcc
	s_xor_b64 s[18:19], exec, s[18:19]
; %bb.3641:                             ;   in Loop: Header=BB6_3191 Depth=2
	v_add_u32_e32 v3, 7, v14
	v_cmp_lt_u64_e32 vcc, s[44:45], v[10:11]
	v_cndmask_b32_e32 v3, v4, v3, vcc
	v_cndmask_b32_e64 v4, 0, 1, vcc
	v_lshrrev_b64 v[10:11], v4, v[10:11]
; %bb.3642:                             ;   in Loop: Header=BB6_3191 Depth=2
	s_andn2_saveexec_b64 s[18:19], s[18:19]
; %bb.3643:                             ;   in Loop: Header=BB6_3191 Depth=2
	v_bfe_u32 v3, v10, 23, 1
; %bb.3644:                             ;   in Loop: Header=BB6_3191 Depth=2
	s_or_b64 exec, exec, s[18:19]
	v_lshrrev_b64 v[10:11], 20, v[10:11]
	v_cmp_gt_i32_e32 vcc, 16, v3
	v_cndmask_b32_e32 v11, 0, v11, vcc
	v_cndmask_b32_e32 v10, 7, v10, vcc
	v_cmp_eq_u32_e32 vcc, 0, v3
	v_min_i32_e32 v3, 15, v3
	v_cmp_eq_u64_e64 s[18:19], 0, v[10:11]
	v_lshlrev_b32_e32 v3, 3, v3
	v_and_or_b32 v3, v10, 7, v3
	s_and_b64 s[18:19], vcc, s[18:19]
	v_cndmask_b32_e64 v3, v3, 0, s[18:19]
	v_or_b32_e32 v18, v3, v1
.LBB6_3645:                             ;   in Loop: Header=BB6_3191 Depth=2
	s_or_b64 exec, exec, s[56:57]
.LBB6_3646:                             ;   in Loop: Header=BB6_3191 Depth=2
	s_or_b64 exec, exec, s[54:55]
                                        ; implicit-def: $vgpr3
.LBB6_3647:                             ;   in Loop: Header=BB6_3191 Depth=2
	s_andn2_saveexec_b64 s[18:19], s[52:53]
; %bb.3648:                             ;   in Loop: Header=BB6_3191 Depth=2
	v_or_b32_sdwa v1, v3, s69 dst_sel:DWORD dst_unused:UNUSED_PAD src0_sel:BYTE_3 src1_sel:DWORD
	v_cmp_eq_u64_e32 vcc, 0, v[36:37]
	v_cndmask_b32_e32 v18, v1, v18, vcc
; %bb.3649:                             ;   in Loop: Header=BB6_3191 Depth=2
	s_or_b64 exec, exec, s[18:19]
	v_lshrrev_b16_e32 v10, 8, v12
	v_cmp_ne_u16_e32 vcc, 0, v10
	v_mov_b32_e32 v1, 0
	s_and_saveexec_b64 s[18:19], vcc
	s_cbranch_execz .LBB6_3655
; %bb.3650:                             ;   in Loop: Header=BB6_3191 Depth=2
	v_cmp_ne_u16_e32 vcc, s71, v10
	v_bfrev_b32_e32 v1, 1
	s_and_saveexec_b64 s[52:53], vcc
	s_cbranch_execz .LBB6_3654
; %bb.3651:                             ;   in Loop: Header=BB6_3191 Depth=2
	v_and_b32_e32 v3, 0x7f, v10
	v_cmp_ne_u32_e32 vcc, s69, v3
	v_mov_b32_e32 v1, 0x7f800001
	s_and_saveexec_b64 s[54:55], vcc
	s_cbranch_execz .LBB6_3653
; %bb.3652:                             ;   in Loop: Header=BB6_3191 Depth=2
	v_and_b32_e32 v1, 7, v10
	v_ffbh_u32_e32 v11, v1
	v_min_u32_e32 v14, 32, v11
	v_subrev_u32_e32 v11, 28, v14
	v_lshlrev_b64 v[10:11], v11, v[10:11]
	v_lshrrev_b32_e32 v4, 3, v3
	v_sub_u32_e32 v11, 29, v14
	v_and_b32_e32 v10, 7, v10
	v_cmp_gt_u32_e32 vcc, 8, v3
	v_cndmask_b32_e32 v3, v4, v11, vcc
	v_cndmask_b32_e32 v1, v1, v10, vcc
	v_lshlrev_b32_e32 v4, 16, v12
	v_lshlrev_b32_e32 v1, 20, v1
	v_and_b32_e32 v4, 0x80000000, v4
	v_lshl_add_u32 v3, v3, 23, v21
	v_or3_b32 v1, v4, v3, v1
.LBB6_3653:                             ;   in Loop: Header=BB6_3191 Depth=2
	s_or_b64 exec, exec, s[54:55]
.LBB6_3654:                             ;   in Loop: Header=BB6_3191 Depth=2
	s_or_b64 exec, exec, s[52:53]
.LBB6_3655:                             ;   in Loop: Header=BB6_3191 Depth=2
	s_or_b64 exec, exec, s[18:19]
	v_mul_f32_e32 v3, v5, v1
	v_and_b32_sdwa v1, v3, s71 dst_sel:DWORD dst_unused:UNUSED_PAD src0_sel:BYTE_3 src1_sel:DWORD
	v_and_b32_e32 v10, 0x7f800000, v3
	v_mov_b32_e32 v11, v37
	v_and_b32_e32 v36, 0x7fffff, v3
	v_or_b32_e32 v33, 0x7e, v1
	v_cmp_ne_u64_e32 vcc, s[38:39], v[10:11]
	s_and_saveexec_b64 s[18:19], vcc
	s_xor_b64 s[52:53], exec, s[18:19]
	s_cbranch_execz .LBB6_3665
; %bb.3656:                             ;   in Loop: Header=BB6_3191 Depth=2
	v_and_b32_e32 v10, 0x7fffffff, v3
	v_mov_b32_e32 v11, v37
	v_cmp_gt_u64_e32 vcc, s[40:41], v[10:11]
	s_and_saveexec_b64 s[54:55], vcc
	s_cbranch_execz .LBB6_3664
; %bb.3657:                             ;   in Loop: Header=BB6_3191 Depth=2
	v_cmp_ne_u32_e32 vcc, 0, v3
	v_mov_b32_e32 v33, 0
	s_and_saveexec_b64 s[56:57], vcc
	s_cbranch_execz .LBB6_3663
; %bb.3658:                             ;   in Loop: Header=BB6_3191 Depth=2
	v_bfe_u32 v3, v3, 23, 8
	v_sub_u32_e32 v10, 0x79, v3
	v_cmp_gt_u32_e32 vcc, s72, v3
	v_add_u32_e32 v4, 0xffffff81, v3
	v_cndmask_b32_e32 v10, 0, v10, vcc
	v_cmp_eq_u32_e32 vcc, 0, v3
	v_mov_b32_e32 v3, 0xffffff82
	v_cndmask_b32_e32 v3, v4, v3, vcc
	v_mov_b32_e32 v4, 0x78
	v_or_b32_e32 v11, 0x800000, v36
	v_cndmask_b32_e32 v4, v10, v4, vcc
	v_cndmask_b32_e32 v36, v11, v36, vcc
	v_add_u32_e32 v10, 20, v4
	v_lshlrev_b64 v[10:11], v10, -1
	v_add_u32_e32 v14, 19, v4
	v_lshrrev_b64 v[22:23], v4, v[36:37]
	v_not_b32_e32 v11, v11
	v_not_b32_e32 v10, v10
	v_lshlrev_b64 v[16:17], v14, 1
	v_lshrrev_b32_e32 v14, 23, v22
	v_and_b32_e32 v11, 0, v11
	v_and_b32_e32 v10, v36, v10
	v_add3_u32 v14, v4, v3, v14
	v_bfe_u32 v3, v22, 20, 1
	v_add_u32_e32 v3, -1, v3
	v_cmp_eq_u64_e32 vcc, v[10:11], v[16:17]
	v_cndmask_b32_e32 v3, 0, v3, vcc
	v_add_u32_e32 v3, v3, v22
	v_and_b32_e32 v3, 0xfffff, v3
	v_add_co_u32_e32 v10, vcc, v3, v22
	v_add_u32_e32 v4, 6, v14
	v_addc_co_u32_e32 v11, vcc, 0, v23, vcc
	v_cmp_ne_u32_e32 vcc, 0, v4
                                        ; implicit-def: $vgpr3
	s_and_saveexec_b64 s[18:19], vcc
	s_xor_b64 s[18:19], exec, s[18:19]
; %bb.3659:                             ;   in Loop: Header=BB6_3191 Depth=2
	v_add_u32_e32 v3, 7, v14
	v_cmp_lt_u64_e32 vcc, s[44:45], v[10:11]
	v_cndmask_b32_e32 v3, v4, v3, vcc
	v_cndmask_b32_e64 v4, 0, 1, vcc
	v_lshrrev_b64 v[10:11], v4, v[10:11]
; %bb.3660:                             ;   in Loop: Header=BB6_3191 Depth=2
	s_andn2_saveexec_b64 s[18:19], s[18:19]
; %bb.3661:                             ;   in Loop: Header=BB6_3191 Depth=2
	v_bfe_u32 v3, v10, 23, 1
; %bb.3662:                             ;   in Loop: Header=BB6_3191 Depth=2
	s_or_b64 exec, exec, s[18:19]
	v_lshrrev_b64 v[10:11], 20, v[10:11]
	v_cmp_gt_i32_e32 vcc, 16, v3
	v_cndmask_b32_e32 v11, 0, v11, vcc
	v_cndmask_b32_e32 v10, 7, v10, vcc
	v_cmp_eq_u32_e32 vcc, 0, v3
	v_min_i32_e32 v3, 15, v3
	v_cmp_eq_u64_e64 s[18:19], 0, v[10:11]
	v_lshlrev_b32_e32 v3, 3, v3
	v_and_or_b32 v3, v10, 7, v3
	s_and_b64 s[18:19], vcc, s[18:19]
	v_cndmask_b32_e64 v3, v3, 0, s[18:19]
	v_or_b32_e32 v33, v3, v1
.LBB6_3663:                             ;   in Loop: Header=BB6_3191 Depth=2
	s_or_b64 exec, exec, s[56:57]
.LBB6_3664:                             ;   in Loop: Header=BB6_3191 Depth=2
	s_or_b64 exec, exec, s[54:55]
                                        ; implicit-def: $vgpr3
.LBB6_3665:                             ;   in Loop: Header=BB6_3191 Depth=2
	s_andn2_saveexec_b64 s[18:19], s[52:53]
; %bb.3666:                             ;   in Loop: Header=BB6_3191 Depth=2
	v_or_b32_sdwa v1, v3, s69 dst_sel:DWORD dst_unused:UNUSED_PAD src0_sel:BYTE_3 src1_sel:DWORD
	v_cmp_eq_u64_e32 vcc, 0, v[36:37]
	v_cndmask_b32_e32 v33, v1, v33, vcc
; %bb.3667:                             ;   in Loop: Header=BB6_3191 Depth=2
	s_or_b64 exec, exec, s[18:19]
	v_lshrrev_b32_e32 v10, 16, v12
	v_cmp_ne_u16_sdwa vcc, v10, v37 src0_sel:BYTE_0 src1_sel:DWORD
	v_mov_b32_e32 v1, 0
	s_and_saveexec_b64 s[18:19], vcc
	s_cbranch_execz .LBB6_3673
; %bb.3668:                             ;   in Loop: Header=BB6_3191 Depth=2
	v_cmp_ne_u16_sdwa vcc, v10, s71 src0_sel:BYTE_0 src1_sel:DWORD
	v_bfrev_b32_e32 v1, 1
	s_and_saveexec_b64 s[52:53], vcc
	s_cbranch_execz .LBB6_3672
; %bb.3669:                             ;   in Loop: Header=BB6_3191 Depth=2
	v_bfe_u32 v3, v12, 16, 7
	v_cmp_ne_u32_e32 vcc, s69, v3
	v_mov_b32_e32 v1, 0x7f800001
	s_and_saveexec_b64 s[54:55], vcc
	s_cbranch_execz .LBB6_3671
; %bb.3670:                             ;   in Loop: Header=BB6_3191 Depth=2
	v_and_b32_e32 v1, 7, v10
	v_ffbh_u32_e32 v11, v1
	v_min_u32_e32 v11, 32, v11
	v_subrev_u32_e32 v14, 28, v11
	v_lshlrev_b64 v[14:15], v14, v[10:11]
	v_lshrrev_b32_e32 v4, 3, v3
	v_sub_u32_e32 v11, 29, v11
	v_and_b32_e32 v14, 7, v14
	v_cmp_gt_u32_e32 vcc, 8, v3
	v_cndmask_b32_e32 v3, v4, v11, vcc
	v_cndmask_b32_e32 v1, v1, v14, vcc
	v_lshlrev_b32_e32 v4, 24, v10
	v_lshlrev_b32_e32 v1, 20, v1
	v_and_b32_e32 v4, 0x80000000, v4
	v_lshl_add_u32 v3, v3, 23, v21
	v_or3_b32 v1, v4, v3, v1
.LBB6_3671:                             ;   in Loop: Header=BB6_3191 Depth=2
	s_or_b64 exec, exec, s[54:55]
.LBB6_3672:                             ;   in Loop: Header=BB6_3191 Depth=2
	s_or_b64 exec, exec, s[52:53]
.LBB6_3673:                             ;   in Loop: Header=BB6_3191 Depth=2
	s_or_b64 exec, exec, s[18:19]
	v_mul_f32_e32 v3, v5, v1
	v_and_b32_sdwa v1, v3, s71 dst_sel:DWORD dst_unused:UNUSED_PAD src0_sel:BYTE_3 src1_sel:DWORD
	v_and_b32_e32 v10, 0x7f800000, v3
	v_mov_b32_e32 v11, v37
	v_and_b32_e32 v36, 0x7fffff, v3
	v_or_b32_e32 v46, 0x7e, v1
	v_cmp_ne_u64_e32 vcc, s[38:39], v[10:11]
	s_and_saveexec_b64 s[18:19], vcc
	s_xor_b64 s[52:53], exec, s[18:19]
	s_cbranch_execz .LBB6_3683
; %bb.3674:                             ;   in Loop: Header=BB6_3191 Depth=2
	v_and_b32_e32 v10, 0x7fffffff, v3
	v_mov_b32_e32 v11, v37
	v_cmp_gt_u64_e32 vcc, s[40:41], v[10:11]
	s_and_saveexec_b64 s[54:55], vcc
	s_cbranch_execz .LBB6_3682
; %bb.3675:                             ;   in Loop: Header=BB6_3191 Depth=2
	v_cmp_ne_u32_e32 vcc, 0, v3
	v_mov_b32_e32 v46, 0
	s_and_saveexec_b64 s[56:57], vcc
	s_cbranch_execz .LBB6_3681
; %bb.3676:                             ;   in Loop: Header=BB6_3191 Depth=2
	v_bfe_u32 v3, v3, 23, 8
	v_sub_u32_e32 v10, 0x79, v3
	v_cmp_gt_u32_e32 vcc, s72, v3
	v_add_u32_e32 v4, 0xffffff81, v3
	v_cndmask_b32_e32 v10, 0, v10, vcc
	v_cmp_eq_u32_e32 vcc, 0, v3
	v_mov_b32_e32 v3, 0xffffff82
	v_cndmask_b32_e32 v3, v4, v3, vcc
	v_mov_b32_e32 v4, 0x78
	v_or_b32_e32 v11, 0x800000, v36
	v_cndmask_b32_e32 v4, v10, v4, vcc
	v_cndmask_b32_e32 v36, v11, v36, vcc
	v_add_u32_e32 v10, 20, v4
	v_lshlrev_b64 v[10:11], v10, -1
	v_add_u32_e32 v14, 19, v4
	v_lshrrev_b64 v[22:23], v4, v[36:37]
	v_not_b32_e32 v11, v11
	v_not_b32_e32 v10, v10
	v_lshlrev_b64 v[16:17], v14, 1
	v_lshrrev_b32_e32 v14, 23, v22
	v_and_b32_e32 v11, 0, v11
	v_and_b32_e32 v10, v36, v10
	v_add3_u32 v14, v4, v3, v14
	v_bfe_u32 v3, v22, 20, 1
	v_add_u32_e32 v3, -1, v3
	v_cmp_eq_u64_e32 vcc, v[10:11], v[16:17]
	v_cndmask_b32_e32 v3, 0, v3, vcc
	v_add_u32_e32 v3, v3, v22
	v_and_b32_e32 v3, 0xfffff, v3
	v_add_co_u32_e32 v10, vcc, v3, v22
	v_add_u32_e32 v4, 6, v14
	v_addc_co_u32_e32 v11, vcc, 0, v23, vcc
	v_cmp_ne_u32_e32 vcc, 0, v4
                                        ; implicit-def: $vgpr3
	s_and_saveexec_b64 s[18:19], vcc
	s_xor_b64 s[18:19], exec, s[18:19]
; %bb.3677:                             ;   in Loop: Header=BB6_3191 Depth=2
	v_add_u32_e32 v3, 7, v14
	v_cmp_lt_u64_e32 vcc, s[44:45], v[10:11]
	v_cndmask_b32_e32 v3, v4, v3, vcc
	v_cndmask_b32_e64 v4, 0, 1, vcc
	v_lshrrev_b64 v[10:11], v4, v[10:11]
; %bb.3678:                             ;   in Loop: Header=BB6_3191 Depth=2
	s_andn2_saveexec_b64 s[18:19], s[18:19]
; %bb.3679:                             ;   in Loop: Header=BB6_3191 Depth=2
	v_bfe_u32 v3, v10, 23, 1
; %bb.3680:                             ;   in Loop: Header=BB6_3191 Depth=2
	s_or_b64 exec, exec, s[18:19]
	v_lshrrev_b64 v[10:11], 20, v[10:11]
	v_cmp_gt_i32_e32 vcc, 16, v3
	v_cndmask_b32_e32 v11, 0, v11, vcc
	v_cndmask_b32_e32 v10, 7, v10, vcc
	v_cmp_eq_u32_e32 vcc, 0, v3
	v_min_i32_e32 v3, 15, v3
	v_cmp_eq_u64_e64 s[18:19], 0, v[10:11]
	v_lshlrev_b32_e32 v3, 3, v3
	v_and_or_b32 v3, v10, 7, v3
	s_and_b64 s[18:19], vcc, s[18:19]
	v_cndmask_b32_e64 v3, v3, 0, s[18:19]
	v_or_b32_e32 v46, v3, v1
.LBB6_3681:                             ;   in Loop: Header=BB6_3191 Depth=2
	s_or_b64 exec, exec, s[56:57]
.LBB6_3682:                             ;   in Loop: Header=BB6_3191 Depth=2
	s_or_b64 exec, exec, s[54:55]
                                        ; implicit-def: $vgpr3
.LBB6_3683:                             ;   in Loop: Header=BB6_3191 Depth=2
	s_andn2_saveexec_b64 s[18:19], s[52:53]
; %bb.3684:                             ;   in Loop: Header=BB6_3191 Depth=2
	v_or_b32_sdwa v1, v3, s69 dst_sel:DWORD dst_unused:UNUSED_PAD src0_sel:BYTE_3 src1_sel:DWORD
	v_cmp_eq_u64_e32 vcc, 0, v[36:37]
	v_cndmask_b32_e32 v46, v1, v46, vcc
; %bb.3685:                             ;   in Loop: Header=BB6_3191 Depth=2
	s_or_b64 exec, exec, s[18:19]
	v_cmp_lt_u32_e32 vcc, s43, v12
	v_mov_b32_e32 v1, 0
	s_and_saveexec_b64 s[18:19], vcc
	s_cbranch_execz .LBB6_3691
; %bb.3686:                             ;   in Loop: Header=BB6_3191 Depth=2
	v_lshrrev_b32_e32 v10, 24, v12
	v_cmp_ne_u32_e32 vcc, s71, v10
	v_bfrev_b32_e32 v1, 1
	s_and_saveexec_b64 s[52:53], vcc
	s_cbranch_execz .LBB6_3690
; %bb.3687:                             ;   in Loop: Header=BB6_3191 Depth=2
	v_bfe_u32 v3, v12, 24, 7
	v_cmp_ne_u32_e32 vcc, s69, v3
	v_mov_b32_e32 v1, 0x7f800001
	s_and_saveexec_b64 s[54:55], vcc
	s_cbranch_execz .LBB6_3689
; %bb.3688:                             ;   in Loop: Header=BB6_3191 Depth=2
	v_and_b32_e32 v1, 7, v10
	v_ffbh_u32_e32 v11, v1
	v_min_u32_e32 v11, 32, v11
	v_subrev_u32_e32 v14, 28, v11
	v_lshlrev_b64 v[14:15], v14, v[10:11]
	v_lshrrev_b32_e32 v4, 3, v3
	v_sub_u32_e32 v11, 29, v11
	v_and_b32_e32 v14, 7, v14
	v_cmp_gt_u32_e32 vcc, 8, v3
	v_cndmask_b32_e32 v3, v4, v11, vcc
	v_cndmask_b32_e32 v1, v1, v14, vcc
	v_lshlrev_b32_e32 v4, 24, v10
	v_lshlrev_b32_e32 v1, 20, v1
	v_and_b32_e32 v4, 0x80000000, v4
	v_lshl_add_u32 v3, v3, 23, v21
	v_or3_b32 v1, v4, v3, v1
.LBB6_3689:                             ;   in Loop: Header=BB6_3191 Depth=2
	s_or_b64 exec, exec, s[54:55]
.LBB6_3690:                             ;   in Loop: Header=BB6_3191 Depth=2
	s_or_b64 exec, exec, s[52:53]
.LBB6_3691:                             ;   in Loop: Header=BB6_3191 Depth=2
	s_or_b64 exec, exec, s[18:19]
	v_mul_f32_e32 v3, v5, v1
	v_and_b32_sdwa v1, v3, s71 dst_sel:DWORD dst_unused:UNUSED_PAD src0_sel:BYTE_3 src1_sel:DWORD
	v_and_b32_e32 v10, 0x7f800000, v3
	v_mov_b32_e32 v11, v37
	v_and_b32_e32 v36, 0x7fffff, v3
	v_or_b32_e32 v59, 0x7e, v1
	v_cmp_ne_u64_e32 vcc, s[38:39], v[10:11]
	s_and_saveexec_b64 s[18:19], vcc
	s_xor_b64 s[52:53], exec, s[18:19]
	s_cbranch_execz .LBB6_3701
; %bb.3692:                             ;   in Loop: Header=BB6_3191 Depth=2
	v_and_b32_e32 v10, 0x7fffffff, v3
	v_mov_b32_e32 v11, v37
	v_cmp_gt_u64_e32 vcc, s[40:41], v[10:11]
	s_and_saveexec_b64 s[54:55], vcc
	s_cbranch_execz .LBB6_3700
; %bb.3693:                             ;   in Loop: Header=BB6_3191 Depth=2
	v_cmp_ne_u32_e32 vcc, 0, v3
	v_mov_b32_e32 v59, 0
	s_and_saveexec_b64 s[56:57], vcc
	s_cbranch_execz .LBB6_3699
; %bb.3694:                             ;   in Loop: Header=BB6_3191 Depth=2
	v_bfe_u32 v3, v3, 23, 8
	v_sub_u32_e32 v10, 0x79, v3
	v_cmp_gt_u32_e32 vcc, s72, v3
	v_add_u32_e32 v4, 0xffffff81, v3
	v_cndmask_b32_e32 v10, 0, v10, vcc
	v_cmp_eq_u32_e32 vcc, 0, v3
	v_mov_b32_e32 v3, 0xffffff82
	v_cndmask_b32_e32 v3, v4, v3, vcc
	v_mov_b32_e32 v4, 0x78
	v_or_b32_e32 v11, 0x800000, v36
	v_cndmask_b32_e32 v4, v10, v4, vcc
	v_cndmask_b32_e32 v36, v11, v36, vcc
	v_add_u32_e32 v10, 20, v4
	v_lshlrev_b64 v[10:11], v10, -1
	v_add_u32_e32 v14, 19, v4
	v_lshrrev_b64 v[22:23], v4, v[36:37]
	v_not_b32_e32 v11, v11
	v_not_b32_e32 v10, v10
	v_lshlrev_b64 v[16:17], v14, 1
	v_lshrrev_b32_e32 v14, 23, v22
	v_and_b32_e32 v11, 0, v11
	v_and_b32_e32 v10, v36, v10
	v_add3_u32 v14, v4, v3, v14
	v_bfe_u32 v3, v22, 20, 1
	v_add_u32_e32 v3, -1, v3
	v_cmp_eq_u64_e32 vcc, v[10:11], v[16:17]
	v_cndmask_b32_e32 v3, 0, v3, vcc
	v_add_u32_e32 v3, v3, v22
	v_and_b32_e32 v3, 0xfffff, v3
	v_add_co_u32_e32 v10, vcc, v3, v22
	v_add_u32_e32 v4, 6, v14
	v_addc_co_u32_e32 v11, vcc, 0, v23, vcc
	v_cmp_ne_u32_e32 vcc, 0, v4
                                        ; implicit-def: $vgpr3
	s_and_saveexec_b64 s[18:19], vcc
	s_xor_b64 s[18:19], exec, s[18:19]
; %bb.3695:                             ;   in Loop: Header=BB6_3191 Depth=2
	v_add_u32_e32 v3, 7, v14
	v_cmp_lt_u64_e32 vcc, s[44:45], v[10:11]
	v_cndmask_b32_e32 v3, v4, v3, vcc
	v_cndmask_b32_e64 v4, 0, 1, vcc
	v_lshrrev_b64 v[10:11], v4, v[10:11]
; %bb.3696:                             ;   in Loop: Header=BB6_3191 Depth=2
	s_andn2_saveexec_b64 s[18:19], s[18:19]
; %bb.3697:                             ;   in Loop: Header=BB6_3191 Depth=2
	v_bfe_u32 v3, v10, 23, 1
; %bb.3698:                             ;   in Loop: Header=BB6_3191 Depth=2
	s_or_b64 exec, exec, s[18:19]
	v_lshrrev_b64 v[10:11], 20, v[10:11]
	v_cmp_gt_i32_e32 vcc, 16, v3
	v_cndmask_b32_e32 v11, 0, v11, vcc
	v_cndmask_b32_e32 v10, 7, v10, vcc
	v_cmp_eq_u32_e32 vcc, 0, v3
	v_min_i32_e32 v3, 15, v3
	v_cmp_eq_u64_e64 s[18:19], 0, v[10:11]
	v_lshlrev_b32_e32 v3, 3, v3
	v_and_or_b32 v3, v10, 7, v3
	s_and_b64 s[18:19], vcc, s[18:19]
	v_cndmask_b32_e64 v3, v3, 0, s[18:19]
	v_or_b32_e32 v59, v3, v1
.LBB6_3699:                             ;   in Loop: Header=BB6_3191 Depth=2
	s_or_b64 exec, exec, s[56:57]
.LBB6_3700:                             ;   in Loop: Header=BB6_3191 Depth=2
	s_or_b64 exec, exec, s[54:55]
                                        ; implicit-def: $vgpr3
.LBB6_3701:                             ;   in Loop: Header=BB6_3191 Depth=2
	s_andn2_saveexec_b64 s[18:19], s[52:53]
; %bb.3702:                             ;   in Loop: Header=BB6_3191 Depth=2
	v_or_b32_sdwa v1, v3, s69 dst_sel:DWORD dst_unused:UNUSED_PAD src0_sel:BYTE_3 src1_sel:DWORD
	v_cmp_eq_u64_e32 vcc, 0, v[36:37]
	v_cndmask_b32_e32 v59, v1, v59, vcc
; %bb.3703:                             ;   in Loop: Header=BB6_3191 Depth=2
	s_or_b64 exec, exec, s[18:19]
	v_mov_b32_e32 v36, v13
	v_cmp_ne_u16_sdwa vcc, v13, v37 src0_sel:BYTE_0 src1_sel:DWORD
	v_mov_b32_e32 v1, 0
	s_and_saveexec_b64 s[18:19], vcc
	s_cbranch_execz .LBB6_3709
; %bb.3704:                             ;   in Loop: Header=BB6_3191 Depth=2
	v_cmp_ne_u16_sdwa vcc, v13, s71 src0_sel:BYTE_0 src1_sel:DWORD
	v_bfrev_b32_e32 v1, 1
	s_and_saveexec_b64 s[52:53], vcc
	s_cbranch_execz .LBB6_3708
; %bb.3705:                             ;   in Loop: Header=BB6_3191 Depth=2
	v_and_b32_e32 v3, 0x7f, v13
	v_cmp_ne_u32_e32 vcc, s69, v3
	v_mov_b32_e32 v1, 0x7f800001
	s_and_saveexec_b64 s[54:55], vcc
	s_cbranch_execz .LBB6_3707
; %bb.3706:                             ;   in Loop: Header=BB6_3191 Depth=2
	v_and_b32_e32 v1, 7, v13
	v_ffbh_u32_e32 v1, v1
	v_min_u32_e32 v1, 32, v1
	v_subrev_u32_e32 v10, 28, v1
	v_cmp_gt_u32_e32 vcc, 8, v3
	v_lshrrev_b32_e32 v4, 3, v3
	v_cndmask_b32_e32 v3, 0, v10, vcc
	v_sub_u32_e32 v1, 29, v1
	v_lshlrev_b64 v[10:11], v3, v[36:37]
	v_cndmask_b32_e32 v1, v4, v1, vcc
	v_lshlrev_b32_e32 v3, 20, v10
	v_lshlrev_b32_e32 v4, 24, v36
	v_and_b32_e32 v3, 0x700000, v3
	v_and_b32_e32 v4, 0x80000000, v4
	v_lshl_add_u32 v1, v1, 23, v21
	v_or3_b32 v1, v4, v1, v3
.LBB6_3707:                             ;   in Loop: Header=BB6_3191 Depth=2
	s_or_b64 exec, exec, s[54:55]
.LBB6_3708:                             ;   in Loop: Header=BB6_3191 Depth=2
	s_or_b64 exec, exec, s[52:53]
.LBB6_3709:                             ;   in Loop: Header=BB6_3191 Depth=2
	s_or_b64 exec, exec, s[18:19]
	v_mul_f32_e32 v14, v5, v1
	v_and_b32_sdwa v3, v14, s71 dst_sel:DWORD dst_unused:UNUSED_PAD src0_sel:BYTE_3 src1_sel:DWORD
	v_and_b32_e32 v16, 0x7f800000, v14
	v_mov_b32_e32 v17, v37
	v_and_b32_e32 v10, 0x7fffff, v14
	v_mov_b32_e32 v11, v37
	v_or_b32_e32 v1, 0x7e, v3
	v_cmp_ne_u64_e32 vcc, s[38:39], v[16:17]
	s_and_saveexec_b64 s[18:19], vcc
	s_xor_b64 s[52:53], exec, s[18:19]
	s_cbranch_execz .LBB6_3719
; %bb.3710:                             ;   in Loop: Header=BB6_3191 Depth=2
	v_and_b32_e32 v16, 0x7fffffff, v14
	v_mov_b32_e32 v17, v37
	v_cmp_gt_u64_e32 vcc, s[40:41], v[16:17]
	s_and_saveexec_b64 s[54:55], vcc
	s_cbranch_execz .LBB6_3718
; %bb.3711:                             ;   in Loop: Header=BB6_3191 Depth=2
	v_cmp_ne_u32_e32 vcc, 0, v14
	v_mov_b32_e32 v1, 0
	s_and_saveexec_b64 s[56:57], vcc
	s_cbranch_execz .LBB6_3717
; %bb.3712:                             ;   in Loop: Header=BB6_3191 Depth=2
	v_bfe_u32 v1, v14, 23, 8
	v_sub_u32_e32 v14, 0x79, v1
	v_cmp_gt_u32_e32 vcc, s72, v1
	v_add_u32_e32 v4, 0xffffff81, v1
	v_cndmask_b32_e32 v14, 0, v14, vcc
	v_cmp_eq_u32_e32 vcc, 0, v1
	v_mov_b32_e32 v1, 0xffffff82
	v_cndmask_b32_e32 v1, v4, v1, vcc
	v_mov_b32_e32 v4, 0x78
	v_cndmask_b32_e32 v4, v14, v4, vcc
	v_or_b32_e32 v15, 0x800000, v10
	v_add_u32_e32 v14, 20, v4
	v_cndmask_b32_e32 v10, v15, v10, vcc
	v_lshlrev_b64 v[14:15], v14, -1
	v_not_b32_e32 v14, v14
	v_and_b32_e32 v16, v10, v14
	v_add_u32_e32 v14, 19, v4
	v_lshrrev_b64 v[10:11], v4, v[10:11]
	v_not_b32_e32 v15, v15
	v_lshlrev_b64 v[22:23], v14, 1
	v_lshrrev_b32_e32 v14, 23, v10
	v_and_b32_e32 v17, 0, v15
	v_add3_u32 v15, v4, v1, v14
	v_bfe_u32 v1, v10, 20, 1
	v_add_u32_e32 v1, -1, v1
	v_cmp_eq_u64_e32 vcc, v[16:17], v[22:23]
	v_cndmask_b32_e32 v1, 0, v1, vcc
	v_add_u32_e32 v1, v1, v10
	v_and_b32_e32 v1, 0xfffff, v1
	v_add_co_u32_e32 v10, vcc, v1, v10
	v_add_u32_e32 v14, 6, v15
	v_addc_co_u32_e32 v11, vcc, 0, v11, vcc
	v_cmp_ne_u32_e32 vcc, 0, v14
                                        ; implicit-def: $vgpr1
	s_and_saveexec_b64 s[18:19], vcc
	s_xor_b64 s[18:19], exec, s[18:19]
; %bb.3713:                             ;   in Loop: Header=BB6_3191 Depth=2
	v_cmp_lt_u64_e32 vcc, s[44:45], v[10:11]
	v_add_u32_e32 v1, 7, v15
	v_cndmask_b32_e64 v4, 0, 1, vcc
	v_cndmask_b32_e32 v1, v14, v1, vcc
	v_lshrrev_b64 v[10:11], v4, v[10:11]
; %bb.3714:                             ;   in Loop: Header=BB6_3191 Depth=2
	s_andn2_saveexec_b64 s[18:19], s[18:19]
; %bb.3715:                             ;   in Loop: Header=BB6_3191 Depth=2
	v_bfe_u32 v1, v10, 23, 1
; %bb.3716:                             ;   in Loop: Header=BB6_3191 Depth=2
	s_or_b64 exec, exec, s[18:19]
	v_lshrrev_b64 v[10:11], 20, v[10:11]
	v_cmp_gt_i32_e32 vcc, 16, v1
	v_cndmask_b32_e32 v11, 0, v11, vcc
	v_cndmask_b32_e32 v10, 7, v10, vcc
	v_cmp_eq_u32_e32 vcc, 0, v1
	v_min_i32_e32 v1, 15, v1
	v_cmp_eq_u64_e64 s[18:19], 0, v[10:11]
	v_lshlrev_b32_e32 v1, 3, v1
	v_and_or_b32 v1, v10, 7, v1
	s_and_b64 s[18:19], vcc, s[18:19]
	v_cndmask_b32_e64 v1, v1, 0, s[18:19]
	v_or_b32_e32 v1, v1, v3
.LBB6_3717:                             ;   in Loop: Header=BB6_3191 Depth=2
	s_or_b64 exec, exec, s[56:57]
.LBB6_3718:                             ;   in Loop: Header=BB6_3191 Depth=2
	s_or_b64 exec, exec, s[54:55]
                                        ; implicit-def: $vgpr14
                                        ; implicit-def: $vgpr10_vgpr11
.LBB6_3719:                             ;   in Loop: Header=BB6_3191 Depth=2
	s_andn2_saveexec_b64 s[18:19], s[52:53]
; %bb.3720:                             ;   in Loop: Header=BB6_3191 Depth=2
	v_or_b32_sdwa v3, v14, s69 dst_sel:DWORD dst_unused:UNUSED_PAD src0_sel:BYTE_3 src1_sel:DWORD
	v_cmp_eq_u64_e32 vcc, 0, v[10:11]
	v_cndmask_b32_e32 v1, v3, v1, vcc
; %bb.3721:                             ;   in Loop: Header=BB6_3191 Depth=2
	s_or_b64 exec, exec, s[18:19]
	v_lshrrev_b16_e32 v10, 8, v36
	v_cmp_ne_u16_e32 vcc, 0, v10
	v_mov_b32_e32 v3, 0
	s_and_saveexec_b64 s[18:19], vcc
	s_cbranch_execz .LBB6_3727
; %bb.3722:                             ;   in Loop: Header=BB6_3191 Depth=2
	v_cmp_ne_u16_e32 vcc, s71, v10
	v_bfrev_b32_e32 v3, 1
	s_and_saveexec_b64 s[52:53], vcc
	s_cbranch_execz .LBB6_3726
; %bb.3723:                             ;   in Loop: Header=BB6_3191 Depth=2
	v_and_b32_e32 v11, 0x7f, v10
	v_cmp_ne_u32_e32 vcc, s69, v11
	v_mov_b32_e32 v3, 0x7f800001
	s_and_saveexec_b64 s[54:55], vcc
	s_cbranch_execz .LBB6_3725
; %bb.3724:                             ;   in Loop: Header=BB6_3191 Depth=2
	v_and_b32_e32 v3, 7, v10
	v_ffbh_u32_e32 v14, v3
	v_min_u32_e32 v16, 32, v14
	v_subrev_u32_e32 v14, 28, v16
	v_lshlrev_b64 v[14:15], v14, v[10:11]
	v_lshrrev_b32_e32 v4, 3, v11
	v_sub_u32_e32 v10, 29, v16
	v_and_b32_e32 v14, 7, v14
	v_cmp_gt_u32_e32 vcc, 8, v11
	v_cndmask_b32_e32 v4, v4, v10, vcc
	v_cndmask_b32_e32 v3, v3, v14, vcc
	v_lshlrev_b32_e32 v10, 16, v36
	v_lshlrev_b32_e32 v3, 20, v3
	v_and_b32_e32 v10, 0x80000000, v10
	v_lshl_add_u32 v4, v4, 23, v21
	v_or3_b32 v3, v10, v4, v3
.LBB6_3725:                             ;   in Loop: Header=BB6_3191 Depth=2
	s_or_b64 exec, exec, s[54:55]
.LBB6_3726:                             ;   in Loop: Header=BB6_3191 Depth=2
	s_or_b64 exec, exec, s[52:53]
.LBB6_3727:                             ;   in Loop: Header=BB6_3191 Depth=2
	s_or_b64 exec, exec, s[18:19]
	v_mul_f32_e32 v10, v5, v3
	v_and_b32_sdwa v3, v10, s71 dst_sel:DWORD dst_unused:UNUSED_PAD src0_sel:BYTE_3 src1_sel:DWORD
	v_and_b32_e32 v14, 0x7f800000, v10
	v_mov_b32_e32 v15, v37
	v_and_b32_e32 v36, 0x7fffff, v10
	v_or_b32_e32 v19, 0x7e, v3
	v_cmp_ne_u64_e32 vcc, s[38:39], v[14:15]
	s_and_saveexec_b64 s[18:19], vcc
	s_xor_b64 s[52:53], exec, s[18:19]
	s_cbranch_execz .LBB6_3737
; %bb.3728:                             ;   in Loop: Header=BB6_3191 Depth=2
	v_and_b32_e32 v14, 0x7fffffff, v10
	v_mov_b32_e32 v15, v37
	v_cmp_gt_u64_e32 vcc, s[40:41], v[14:15]
	s_and_saveexec_b64 s[54:55], vcc
	s_cbranch_execz .LBB6_3736
; %bb.3729:                             ;   in Loop: Header=BB6_3191 Depth=2
	v_cmp_ne_u32_e32 vcc, 0, v10
	v_mov_b32_e32 v19, 0
	s_and_saveexec_b64 s[56:57], vcc
	s_cbranch_execz .LBB6_3735
; %bb.3730:                             ;   in Loop: Header=BB6_3191 Depth=2
	v_bfe_u32 v4, v10, 23, 8
	v_sub_u32_e32 v11, 0x79, v4
	v_cmp_gt_u32_e32 vcc, s72, v4
	v_add_u32_e32 v10, 0xffffff81, v4
	v_cndmask_b32_e32 v11, 0, v11, vcc
	v_cmp_eq_u32_e32 vcc, 0, v4
	v_mov_b32_e32 v4, 0xffffff82
	v_cndmask_b32_e32 v4, v10, v4, vcc
	v_mov_b32_e32 v10, 0x78
	v_or_b32_e32 v14, 0x800000, v36
	v_cndmask_b32_e32 v15, v11, v10, vcc
	v_cndmask_b32_e32 v36, v14, v36, vcc
	v_add_u32_e32 v10, 20, v15
	v_lshlrev_b64 v[10:11], v10, -1
	v_add_u32_e32 v14, 19, v15
	v_lshrrev_b64 v[28:29], v15, v[36:37]
	v_not_b32_e32 v11, v11
	v_not_b32_e32 v10, v10
	v_lshlrev_b64 v[22:23], v14, 1
	v_lshrrev_b32_e32 v14, 23, v28
	v_and_b32_e32 v11, 0, v11
	v_and_b32_e32 v10, v36, v10
	v_add3_u32 v16, v15, v4, v14
	v_bfe_u32 v4, v28, 20, 1
	v_add_u32_e32 v4, -1, v4
	v_cmp_eq_u64_e32 vcc, v[10:11], v[22:23]
	v_cndmask_b32_e32 v4, 0, v4, vcc
	v_add_u32_e32 v4, v4, v28
	v_and_b32_e32 v4, 0xfffff, v4
	v_add_co_u32_e32 v10, vcc, v4, v28
	v_add_u32_e32 v15, 6, v16
	v_addc_co_u32_e32 v11, vcc, 0, v29, vcc
	v_cmp_ne_u32_e32 vcc, 0, v15
                                        ; implicit-def: $vgpr14
	s_and_saveexec_b64 s[18:19], vcc
	s_xor_b64 s[18:19], exec, s[18:19]
; %bb.3731:                             ;   in Loop: Header=BB6_3191 Depth=2
	v_add_u32_e32 v4, 7, v16
	v_cmp_lt_u64_e32 vcc, s[44:45], v[10:11]
	v_cndmask_b32_e32 v14, v15, v4, vcc
	v_cndmask_b32_e64 v4, 0, 1, vcc
	v_lshrrev_b64 v[10:11], v4, v[10:11]
; %bb.3732:                             ;   in Loop: Header=BB6_3191 Depth=2
	s_andn2_saveexec_b64 s[18:19], s[18:19]
; %bb.3733:                             ;   in Loop: Header=BB6_3191 Depth=2
	v_bfe_u32 v14, v10, 23, 1
; %bb.3734:                             ;   in Loop: Header=BB6_3191 Depth=2
	s_or_b64 exec, exec, s[18:19]
	v_lshrrev_b64 v[10:11], 20, v[10:11]
	v_cmp_gt_i32_e32 vcc, 16, v14
	v_min_i32_e32 v4, 15, v14
	v_cndmask_b32_e32 v11, 0, v11, vcc
	v_cndmask_b32_e32 v10, 7, v10, vcc
	v_lshlrev_b32_e32 v4, 3, v4
	v_cmp_eq_u32_e32 vcc, 0, v14
	v_cmp_eq_u64_e64 s[18:19], 0, v[10:11]
	v_and_b32_e32 v4, 0xf8, v4
	v_and_or_b32 v4, v10, 7, v4
	s_and_b64 s[18:19], vcc, s[18:19]
	v_cndmask_b32_e64 v4, v4, 0, s[18:19]
	v_or_b32_e32 v19, v4, v3
.LBB6_3735:                             ;   in Loop: Header=BB6_3191 Depth=2
	s_or_b64 exec, exec, s[56:57]
.LBB6_3736:                             ;   in Loop: Header=BB6_3191 Depth=2
	s_or_b64 exec, exec, s[54:55]
                                        ; implicit-def: $vgpr10
.LBB6_3737:                             ;   in Loop: Header=BB6_3191 Depth=2
	s_andn2_saveexec_b64 s[18:19], s[52:53]
; %bb.3738:                             ;   in Loop: Header=BB6_3191 Depth=2
	v_or_b32_sdwa v3, v10, s69 dst_sel:DWORD dst_unused:UNUSED_PAD src0_sel:BYTE_3 src1_sel:DWORD
	v_cmp_eq_u64_e32 vcc, 0, v[36:37]
	v_cndmask_b32_e32 v19, v3, v19, vcc
; %bb.3739:                             ;   in Loop: Header=BB6_3191 Depth=2
	s_or_b64 exec, exec, s[18:19]
	v_lshrrev_b32_e32 v10, 16, v13
	v_cmp_ne_u16_sdwa vcc, v10, v37 src0_sel:BYTE_0 src1_sel:DWORD
	v_mov_b32_e32 v3, 0
	s_and_saveexec_b64 s[18:19], vcc
	s_cbranch_execz .LBB6_3745
; %bb.3740:                             ;   in Loop: Header=BB6_3191 Depth=2
	v_cmp_ne_u16_sdwa vcc, v10, s71 src0_sel:BYTE_0 src1_sel:DWORD
	v_bfrev_b32_e32 v3, 1
	s_and_saveexec_b64 s[52:53], vcc
	s_cbranch_execz .LBB6_3744
; %bb.3741:                             ;   in Loop: Header=BB6_3191 Depth=2
	v_bfe_u32 v11, v13, 16, 7
	v_cmp_ne_u32_e32 vcc, s69, v11
	v_mov_b32_e32 v3, 0x7f800001
	s_and_saveexec_b64 s[54:55], vcc
	s_cbranch_execz .LBB6_3743
; %bb.3742:                             ;   in Loop: Header=BB6_3191 Depth=2
	v_and_b32_e32 v3, 7, v10
	v_ffbh_u32_e32 v14, v3
	v_min_u32_e32 v16, 32, v14
	v_subrev_u32_e32 v14, 28, v16
	v_lshlrev_b64 v[14:15], v14, v[10:11]
	v_lshrrev_b32_e32 v4, 3, v11
	v_sub_u32_e32 v15, 29, v16
	v_and_b32_e32 v14, 7, v14
	v_cmp_gt_u32_e32 vcc, 8, v11
	v_cndmask_b32_e32 v4, v4, v15, vcc
	v_cndmask_b32_e32 v3, v3, v14, vcc
	v_lshlrev_b32_e32 v10, 24, v10
	v_lshlrev_b32_e32 v3, 20, v3
	v_and_b32_e32 v10, 0x80000000, v10
	v_lshl_add_u32 v4, v4, 23, v21
	v_or3_b32 v3, v10, v4, v3
.LBB6_3743:                             ;   in Loop: Header=BB6_3191 Depth=2
	s_or_b64 exec, exec, s[54:55]
.LBB6_3744:                             ;   in Loop: Header=BB6_3191 Depth=2
	s_or_b64 exec, exec, s[52:53]
.LBB6_3745:                             ;   in Loop: Header=BB6_3191 Depth=2
	s_or_b64 exec, exec, s[18:19]
	v_mul_f32_e32 v10, v5, v3
	v_and_b32_sdwa v3, v10, s71 dst_sel:DWORD dst_unused:UNUSED_PAD src0_sel:BYTE_3 src1_sel:DWORD
	v_and_b32_e32 v14, 0x7f800000, v10
	v_mov_b32_e32 v15, v37
	v_and_b32_e32 v36, 0x7fffff, v10
	v_or_b32_e32 v32, 0x7e, v3
	v_cmp_ne_u64_e32 vcc, s[38:39], v[14:15]
	s_and_saveexec_b64 s[18:19], vcc
	s_xor_b64 s[52:53], exec, s[18:19]
	s_cbranch_execz .LBB6_3755
; %bb.3746:                             ;   in Loop: Header=BB6_3191 Depth=2
	v_and_b32_e32 v14, 0x7fffffff, v10
	v_mov_b32_e32 v15, v37
	v_cmp_gt_u64_e32 vcc, s[40:41], v[14:15]
	s_and_saveexec_b64 s[54:55], vcc
	s_cbranch_execz .LBB6_3754
; %bb.3747:                             ;   in Loop: Header=BB6_3191 Depth=2
	v_cmp_ne_u32_e32 vcc, 0, v10
	v_mov_b32_e32 v32, 0
	s_and_saveexec_b64 s[56:57], vcc
	s_cbranch_execz .LBB6_3753
; %bb.3748:                             ;   in Loop: Header=BB6_3191 Depth=2
	v_bfe_u32 v4, v10, 23, 8
	v_sub_u32_e32 v11, 0x79, v4
	v_cmp_gt_u32_e32 vcc, s72, v4
	v_add_u32_e32 v10, 0xffffff81, v4
	v_cndmask_b32_e32 v11, 0, v11, vcc
	v_cmp_eq_u32_e32 vcc, 0, v4
	v_mov_b32_e32 v4, 0xffffff82
	v_cndmask_b32_e32 v4, v10, v4, vcc
	v_mov_b32_e32 v10, 0x78
	v_or_b32_e32 v14, 0x800000, v36
	v_cndmask_b32_e32 v15, v11, v10, vcc
	v_cndmask_b32_e32 v36, v14, v36, vcc
	v_add_u32_e32 v10, 20, v15
	v_lshlrev_b64 v[10:11], v10, -1
	v_add_u32_e32 v14, 19, v15
	v_lshrrev_b64 v[28:29], v15, v[36:37]
	v_not_b32_e32 v11, v11
	v_not_b32_e32 v10, v10
	v_lshlrev_b64 v[22:23], v14, 1
	v_lshrrev_b32_e32 v14, 23, v28
	v_and_b32_e32 v11, 0, v11
	v_and_b32_e32 v10, v36, v10
	v_add3_u32 v16, v15, v4, v14
	v_bfe_u32 v4, v28, 20, 1
	v_add_u32_e32 v4, -1, v4
	v_cmp_eq_u64_e32 vcc, v[10:11], v[22:23]
	v_cndmask_b32_e32 v4, 0, v4, vcc
	v_add_u32_e32 v4, v4, v28
	v_and_b32_e32 v4, 0xfffff, v4
	v_add_co_u32_e32 v10, vcc, v4, v28
	v_add_u32_e32 v15, 6, v16
	v_addc_co_u32_e32 v11, vcc, 0, v29, vcc
	v_cmp_ne_u32_e32 vcc, 0, v15
                                        ; implicit-def: $vgpr14
	s_and_saveexec_b64 s[18:19], vcc
	s_xor_b64 s[18:19], exec, s[18:19]
; %bb.3749:                             ;   in Loop: Header=BB6_3191 Depth=2
	v_add_u32_e32 v4, 7, v16
	v_cmp_lt_u64_e32 vcc, s[44:45], v[10:11]
	v_cndmask_b32_e32 v14, v15, v4, vcc
	v_cndmask_b32_e64 v4, 0, 1, vcc
	v_lshrrev_b64 v[10:11], v4, v[10:11]
; %bb.3750:                             ;   in Loop: Header=BB6_3191 Depth=2
	s_andn2_saveexec_b64 s[18:19], s[18:19]
; %bb.3751:                             ;   in Loop: Header=BB6_3191 Depth=2
	v_bfe_u32 v14, v10, 23, 1
; %bb.3752:                             ;   in Loop: Header=BB6_3191 Depth=2
	s_or_b64 exec, exec, s[18:19]
	v_lshrrev_b64 v[10:11], 20, v[10:11]
	v_cmp_gt_i32_e32 vcc, 16, v14
	v_min_i32_e32 v4, 15, v14
	v_cndmask_b32_e32 v11, 0, v11, vcc
	v_cndmask_b32_e32 v10, 7, v10, vcc
	v_lshlrev_b32_e32 v4, 3, v4
	v_cmp_eq_u32_e32 vcc, 0, v14
	v_cmp_eq_u64_e64 s[18:19], 0, v[10:11]
	v_and_b32_e32 v4, 0xf8, v4
	v_and_or_b32 v4, v10, 7, v4
	s_and_b64 s[18:19], vcc, s[18:19]
	v_cndmask_b32_e64 v4, v4, 0, s[18:19]
	v_or_b32_e32 v32, v4, v3
.LBB6_3753:                             ;   in Loop: Header=BB6_3191 Depth=2
	s_or_b64 exec, exec, s[56:57]
.LBB6_3754:                             ;   in Loop: Header=BB6_3191 Depth=2
	s_or_b64 exec, exec, s[54:55]
                                        ; implicit-def: $vgpr10
.LBB6_3755:                             ;   in Loop: Header=BB6_3191 Depth=2
	s_andn2_saveexec_b64 s[18:19], s[52:53]
; %bb.3756:                             ;   in Loop: Header=BB6_3191 Depth=2
	v_or_b32_sdwa v3, v10, s69 dst_sel:DWORD dst_unused:UNUSED_PAD src0_sel:BYTE_3 src1_sel:DWORD
	v_cmp_eq_u64_e32 vcc, 0, v[36:37]
	v_cndmask_b32_e32 v32, v3, v32, vcc
; %bb.3757:                             ;   in Loop: Header=BB6_3191 Depth=2
	s_or_b64 exec, exec, s[18:19]
	v_cmp_lt_u64_e32 vcc, s[42:43], v[12:13]
	v_mov_b32_e32 v3, 0
	s_and_saveexec_b64 s[18:19], vcc
	s_cbranch_execz .LBB6_3763
; %bb.3758:                             ;   in Loop: Header=BB6_3191 Depth=2
	v_lshrrev_b32_e32 v10, 24, v13
	v_cmp_ne_u32_e32 vcc, s71, v10
	v_bfrev_b32_e32 v3, 1
	s_and_saveexec_b64 s[52:53], vcc
	s_cbranch_execz .LBB6_3762
; %bb.3759:                             ;   in Loop: Header=BB6_3191 Depth=2
	v_bfe_u32 v11, v13, 24, 7
	v_cmp_ne_u32_e32 vcc, s69, v11
	v_mov_b32_e32 v3, 0x7f800001
	s_and_saveexec_b64 s[54:55], vcc
	s_cbranch_execz .LBB6_3761
; %bb.3760:                             ;   in Loop: Header=BB6_3191 Depth=2
	v_and_b32_e32 v3, 7, v10
	v_ffbh_u32_e32 v12, v3
	v_min_u32_e32 v14, 32, v12
	v_subrev_u32_e32 v12, 28, v14
	v_lshlrev_b64 v[12:13], v12, v[10:11]
	v_lshrrev_b32_e32 v4, 3, v11
	v_sub_u32_e32 v13, 29, v14
	v_and_b32_e32 v12, 7, v12
	v_cmp_gt_u32_e32 vcc, 8, v11
	v_cndmask_b32_e32 v4, v4, v13, vcc
	v_cndmask_b32_e32 v3, v3, v12, vcc
	v_lshlrev_b32_e32 v10, 24, v10
	v_lshlrev_b32_e32 v3, 20, v3
	v_and_b32_e32 v10, 0x80000000, v10
	v_lshl_add_u32 v4, v4, 23, v21
	v_or3_b32 v3, v10, v4, v3
.LBB6_3761:                             ;   in Loop: Header=BB6_3191 Depth=2
	s_or_b64 exec, exec, s[54:55]
.LBB6_3762:                             ;   in Loop: Header=BB6_3191 Depth=2
	s_or_b64 exec, exec, s[52:53]
.LBB6_3763:                             ;   in Loop: Header=BB6_3191 Depth=2
	s_or_b64 exec, exec, s[18:19]
	v_mul_f32_e32 v5, v5, v3
	v_and_b32_sdwa v3, v5, s71 dst_sel:DWORD dst_unused:UNUSED_PAD src0_sel:BYTE_3 src1_sel:DWORD
	v_and_b32_e32 v10, 0x7f800000, v5
	v_mov_b32_e32 v11, v37
	v_and_b32_e32 v36, 0x7fffff, v5
	v_or_b32_e32 v53, 0x7e, v3
	v_cmp_ne_u64_e32 vcc, s[38:39], v[10:11]
	s_and_saveexec_b64 s[18:19], vcc
	s_xor_b64 s[52:53], exec, s[18:19]
	s_cbranch_execz .LBB6_3773
; %bb.3764:                             ;   in Loop: Header=BB6_3191 Depth=2
	v_and_b32_e32 v10, 0x7fffffff, v5
	v_mov_b32_e32 v11, v37
	v_cmp_gt_u64_e32 vcc, s[40:41], v[10:11]
	s_and_saveexec_b64 s[54:55], vcc
	s_cbranch_execz .LBB6_3772
; %bb.3765:                             ;   in Loop: Header=BB6_3191 Depth=2
	v_cmp_ne_u32_e32 vcc, 0, v5
	v_mov_b32_e32 v53, 0
	s_and_saveexec_b64 s[56:57], vcc
	s_cbranch_execz .LBB6_3771
; %bb.3766:                             ;   in Loop: Header=BB6_3191 Depth=2
	v_bfe_u32 v4, v5, 23, 8
	v_sub_u32_e32 v10, 0x79, v4
	v_cmp_gt_u32_e32 vcc, s72, v4
	v_add_u32_e32 v5, 0xffffff81, v4
	v_cndmask_b32_e32 v10, 0, v10, vcc
	v_cmp_eq_u32_e32 vcc, 0, v4
	v_mov_b32_e32 v4, 0xffffff82
	v_cndmask_b32_e32 v4, v5, v4, vcc
	v_mov_b32_e32 v5, 0x78
	v_or_b32_e32 v11, 0x800000, v36
	v_cndmask_b32_e32 v5, v10, v5, vcc
	v_cndmask_b32_e32 v36, v11, v36, vcc
	v_add_u32_e32 v10, 20, v5
	v_lshlrev_b64 v[10:11], v10, -1
	v_add_u32_e32 v12, 19, v5
	v_lshrrev_b64 v[16:17], v5, v[36:37]
	v_not_b32_e32 v11, v11
	v_not_b32_e32 v10, v10
	v_lshlrev_b64 v[14:15], v12, 1
	v_lshrrev_b32_e32 v12, 23, v16
	v_and_b32_e32 v11, 0, v11
	v_and_b32_e32 v10, v36, v10
	v_add3_u32 v13, v5, v4, v12
	v_bfe_u32 v4, v16, 20, 1
	v_add_u32_e32 v4, -1, v4
	v_cmp_eq_u64_e32 vcc, v[10:11], v[14:15]
	v_cndmask_b32_e32 v4, 0, v4, vcc
	v_add_u32_e32 v4, v4, v16
	v_and_b32_e32 v4, 0xfffff, v4
	v_add_co_u32_e32 v10, vcc, v4, v16
	v_add_u32_e32 v12, 6, v13
	v_addc_co_u32_e32 v11, vcc, 0, v17, vcc
	v_cmp_ne_u32_e32 vcc, 0, v12
                                        ; implicit-def: $vgpr5
	s_and_saveexec_b64 s[18:19], vcc
	s_xor_b64 s[18:19], exec, s[18:19]
; %bb.3767:                             ;   in Loop: Header=BB6_3191 Depth=2
	v_add_u32_e32 v4, 7, v13
	v_cmp_lt_u64_e32 vcc, s[44:45], v[10:11]
	v_cndmask_b32_e32 v5, v12, v4, vcc
	v_cndmask_b32_e64 v4, 0, 1, vcc
	v_lshrrev_b64 v[10:11], v4, v[10:11]
; %bb.3768:                             ;   in Loop: Header=BB6_3191 Depth=2
	s_andn2_saveexec_b64 s[18:19], s[18:19]
; %bb.3769:                             ;   in Loop: Header=BB6_3191 Depth=2
	v_bfe_u32 v5, v10, 23, 1
; %bb.3770:                             ;   in Loop: Header=BB6_3191 Depth=2
	s_or_b64 exec, exec, s[18:19]
	v_lshrrev_b64 v[10:11], 20, v[10:11]
	v_cmp_gt_i32_e32 vcc, 16, v5
	v_min_i32_e32 v4, 15, v5
	v_cndmask_b32_e32 v11, 0, v11, vcc
	v_cndmask_b32_e32 v10, 7, v10, vcc
	v_lshlrev_b32_e32 v4, 3, v4
	v_cmp_eq_u32_e32 vcc, 0, v5
	v_cmp_eq_u64_e64 s[18:19], 0, v[10:11]
	v_and_b32_e32 v4, 0xf8, v4
	v_and_or_b32 v4, v10, 7, v4
	s_and_b64 s[18:19], vcc, s[18:19]
	v_cndmask_b32_e64 v4, v4, 0, s[18:19]
	v_or_b32_e32 v53, v4, v3
.LBB6_3771:                             ;   in Loop: Header=BB6_3191 Depth=2
	s_or_b64 exec, exec, s[56:57]
.LBB6_3772:                             ;   in Loop: Header=BB6_3191 Depth=2
	s_or_b64 exec, exec, s[54:55]
                                        ; implicit-def: $vgpr5
.LBB6_3773:                             ;   in Loop: Header=BB6_3191 Depth=2
	s_andn2_saveexec_b64 s[18:19], s[52:53]
; %bb.3774:                             ;   in Loop: Header=BB6_3191 Depth=2
	v_or_b32_sdwa v3, v5, s69 dst_sel:DWORD dst_unused:UNUSED_PAD src0_sel:BYTE_3 src1_sel:DWORD
	v_cmp_eq_u64_e32 vcc, 0, v[36:37]
	v_cndmask_b32_e32 v53, v3, v53, vcc
; %bb.3775:                             ;   in Loop: Header=BB6_3191 Depth=2
	s_or_b64 exec, exec, s[18:19]
	global_load_dwordx4 v[14:17], v[42:43], off glc slc
	global_load_dwordx4 v[10:13], v[42:43], off offset:1024 glc slc
	v_lshlrev_b32_e32 v3, 8, v24
	v_cmp_ne_u16_sdwa vcc, v0, v37 src0_sel:BYTE_0 src1_sel:DWORD
	v_mov_b32_e32 v5, 0
	v_mov_b32_e32 v22, 0
	s_and_saveexec_b64 s[18:19], vcc
	s_cbranch_execz .LBB6_3781
; %bb.3776:                             ;   in Loop: Header=BB6_3191 Depth=2
	v_cmp_ne_u16_sdwa vcc, v0, s71 src0_sel:BYTE_0 src1_sel:DWORD
	v_bfrev_b32_e32 v22, 1
	s_and_saveexec_b64 s[52:53], vcc
	s_cbranch_execz .LBB6_3780
; %bb.3777:                             ;   in Loop: Header=BB6_3191 Depth=2
	v_and_b32_e32 v23, 0x7f, v0
	v_cmp_ne_u32_e32 vcc, s69, v23
	v_mov_b32_e32 v22, 0x7f800001
	s_and_saveexec_b64 s[54:55], vcc
	s_cbranch_execz .LBB6_3779
; %bb.3778:                             ;   in Loop: Header=BB6_3191 Depth=2
	v_and_b32_e32 v4, 7, v0
	v_ffbh_u32_e32 v4, v4
	v_min_u32_e32 v4, 32, v4
	v_subrev_u32_e32 v26, 28, v4
	v_cmp_gt_u32_e32 vcc, 8, v23
	v_lshrrev_b32_e32 v24, 3, v23
	v_perm_b32 v22, v3, v0, s73
	v_cndmask_b32_e32 v23, 0, v26, vcc
	v_sub_u32_e32 v4, 29, v4
	v_lshlrev_b64 v[22:23], v23, v[22:23]
	v_cndmask_b32_e32 v4, v24, v4, vcc
	v_lshlrev_b32_e32 v22, 20, v22
	v_lshlrev_b32_e32 v0, 24, v0
	v_and_b32_e32 v22, 0x700000, v22
	v_and_b32_e32 v0, 0x80000000, v0
	v_lshl_add_u32 v4, v4, 23, v21
	v_or3_b32 v22, v0, v4, v22
.LBB6_3779:                             ;   in Loop: Header=BB6_3191 Depth=2
	s_or_b64 exec, exec, s[54:55]
.LBB6_3780:                             ;   in Loop: Header=BB6_3191 Depth=2
	s_or_b64 exec, exec, s[52:53]
.LBB6_3781:                             ;   in Loop: Header=BB6_3191 Depth=2
	s_or_b64 exec, exec, s[18:19]
	s_waitcnt vmcnt(1)
	v_cmp_ne_u16_sdwa vcc, v14, v37 src0_sel:BYTE_0 src1_sel:DWORD
	s_and_saveexec_b64 s[18:19], vcc
	s_cbranch_execz .LBB6_3787
; %bb.3782:                             ;   in Loop: Header=BB6_3191 Depth=2
	v_cmp_ne_u16_sdwa vcc, v14, s71 src0_sel:BYTE_0 src1_sel:DWORD
	v_bfrev_b32_e32 v5, 1
	s_and_saveexec_b64 s[52:53], vcc
	s_cbranch_execz .LBB6_3786
; %bb.3783:                             ;   in Loop: Header=BB6_3191 Depth=2
	v_and_b32_e32 v0, 0x7f, v14
	v_cmp_ne_u32_e32 vcc, s69, v0
	v_mov_b32_e32 v5, 0x7f800001
	s_and_saveexec_b64 s[54:55], vcc
	s_cbranch_execz .LBB6_3785
; %bb.3784:                             ;   in Loop: Header=BB6_3191 Depth=2
	v_and_b32_e32 v4, 7, v14
	v_ffbh_u32_e32 v4, v4
	v_min_u32_e32 v4, 32, v4
	v_lshrrev_b32_e32 v5, 3, v0
	v_subrev_u32_e32 v23, 28, v4
	v_sub_u32_e32 v4, 29, v4
	v_cmp_gt_u32_e32 vcc, 8, v0
	v_cndmask_b32_e32 v0, v5, v4, vcc
	v_cndmask_b32_e32 v4, 0, v23, vcc
	v_lshlrev_b64 v[28:29], v4, v[14:15]
	v_lshlrev_b32_e32 v4, 20, v28
	v_lshlrev_b32_e32 v5, 24, v14
	v_and_b32_e32 v4, 0x700000, v4
	v_and_b32_e32 v5, 0x80000000, v5
	v_lshl_add_u32 v0, v0, 23, v21
	v_or3_b32 v5, v5, v0, v4
.LBB6_3785:                             ;   in Loop: Header=BB6_3191 Depth=2
	s_or_b64 exec, exec, s[54:55]
.LBB6_3786:                             ;   in Loop: Header=BB6_3191 Depth=2
	s_or_b64 exec, exec, s[52:53]
.LBB6_3787:                             ;   in Loop: Header=BB6_3191 Depth=2
	s_or_b64 exec, exec, s[18:19]
	v_add_f32_e32 v22, v22, v5
	v_and_b32_sdwa v5, v22, s71 dst_sel:DWORD dst_unused:UNUSED_PAD src0_sel:BYTE_3 src1_sel:DWORD
	v_and_b32_e32 v28, 0x7f800000, v22
	v_mov_b32_e32 v29, v37
	v_and_b32_e32 v36, 0x7fffff, v22
	v_or_b32_e32 v0, 0x7e, v5
	v_cmp_ne_u64_e32 vcc, s[38:39], v[28:29]
	s_and_saveexec_b64 s[18:19], vcc
	s_xor_b64 s[52:53], exec, s[18:19]
	s_cbranch_execz .LBB6_3797
; %bb.3788:                             ;   in Loop: Header=BB6_3191 Depth=2
	v_and_b32_e32 v28, 0x7fffffff, v22
	v_mov_b32_e32 v29, v37
	v_cmp_gt_u64_e32 vcc, s[40:41], v[28:29]
	s_and_saveexec_b64 s[54:55], vcc
	s_cbranch_execz .LBB6_3796
; %bb.3789:                             ;   in Loop: Header=BB6_3191 Depth=2
	v_cmp_ne_u32_e32 vcc, 0, v22
	v_mov_b32_e32 v0, 0
	s_and_saveexec_b64 s[56:57], vcc
	s_cbranch_execz .LBB6_3795
; %bb.3790:                             ;   in Loop: Header=BB6_3191 Depth=2
	v_bfe_u32 v0, v22, 23, 8
	v_sub_u32_e32 v22, 0x79, v0
	v_cmp_gt_u32_e32 vcc, s72, v0
	v_add_u32_e32 v4, 0xffffff81, v0
	v_cndmask_b32_e32 v22, 0, v22, vcc
	v_cmp_eq_u32_e32 vcc, 0, v0
	v_mov_b32_e32 v0, 0xffffff82
	v_cndmask_b32_e32 v0, v4, v0, vcc
	v_mov_b32_e32 v4, 0x78
	v_cndmask_b32_e32 v4, v22, v4, vcc
	v_or_b32_e32 v23, 0x800000, v36
	v_add_u32_e32 v22, 20, v4
	v_cndmask_b32_e32 v36, v23, v36, vcc
	v_lshlrev_b64 v[22:23], v22, -1
	v_not_b32_e32 v22, v22
	v_and_b32_e32 v28, v36, v22
	v_add_u32_e32 v22, 19, v4
	v_lshrrev_b64 v[50:51], v4, v[36:37]
	v_not_b32_e32 v23, v23
	v_lshlrev_b64 v[60:61], v22, 1
	v_lshrrev_b32_e32 v22, 23, v50
	v_and_b32_e32 v29, 0, v23
	v_add3_u32 v23, v4, v0, v22
	v_bfe_u32 v0, v50, 20, 1
	v_add_u32_e32 v0, -1, v0
	v_cmp_eq_u64_e32 vcc, v[28:29], v[60:61]
	v_cndmask_b32_e32 v0, 0, v0, vcc
	v_add_u32_e32 v0, v0, v50
	v_and_b32_e32 v0, 0xfffff, v0
	v_add_co_u32_e32 v60, vcc, v0, v50
	v_add_u32_e32 v22, 6, v23
	v_addc_co_u32_e32 v61, vcc, 0, v51, vcc
	v_cmp_ne_u32_e32 vcc, 0, v22
                                        ; implicit-def: $vgpr0
	s_and_saveexec_b64 s[18:19], vcc
	s_xor_b64 s[18:19], exec, s[18:19]
; %bb.3791:                             ;   in Loop: Header=BB6_3191 Depth=2
	v_cmp_lt_u64_e32 vcc, s[44:45], v[60:61]
	v_add_u32_e32 v0, 7, v23
	v_cndmask_b32_e64 v4, 0, 1, vcc
	v_cndmask_b32_e32 v0, v22, v0, vcc
	v_lshrrev_b64 v[60:61], v4, v[60:61]
; %bb.3792:                             ;   in Loop: Header=BB6_3191 Depth=2
	s_andn2_saveexec_b64 s[18:19], s[18:19]
; %bb.3793:                             ;   in Loop: Header=BB6_3191 Depth=2
	v_bfe_u32 v0, v60, 23, 1
; %bb.3794:                             ;   in Loop: Header=BB6_3191 Depth=2
	s_or_b64 exec, exec, s[18:19]
	v_lshrrev_b64 v[22:23], 20, v[60:61]
	v_cmp_gt_i32_e32 vcc, 16, v0
	v_cndmask_b32_e32 v23, 0, v23, vcc
	v_cndmask_b32_e32 v22, 7, v22, vcc
	v_cmp_eq_u32_e32 vcc, 0, v0
	v_min_i32_e32 v0, 15, v0
	v_cmp_eq_u64_e64 s[18:19], 0, v[22:23]
	v_lshlrev_b32_e32 v0, 3, v0
	v_and_or_b32 v0, v22, 7, v0
	s_and_b64 s[18:19], vcc, s[18:19]
	v_cndmask_b32_e64 v0, v0, 0, s[18:19]
	v_or_b32_e32 v0, v0, v5
.LBB6_3795:                             ;   in Loop: Header=BB6_3191 Depth=2
	s_or_b64 exec, exec, s[56:57]
.LBB6_3796:                             ;   in Loop: Header=BB6_3191 Depth=2
	s_or_b64 exec, exec, s[54:55]
                                        ; implicit-def: $vgpr22
.LBB6_3797:                             ;   in Loop: Header=BB6_3191 Depth=2
	s_andn2_saveexec_b64 s[18:19], s[52:53]
; %bb.3798:                             ;   in Loop: Header=BB6_3191 Depth=2
	v_or_b32_sdwa v4, v22, s69 dst_sel:DWORD dst_unused:UNUSED_PAD src0_sel:BYTE_3 src1_sel:DWORD
	v_cmp_eq_u64_e32 vcc, 0, v[36:37]
	v_cndmask_b32_e32 v0, v4, v0, vcc
; %bb.3799:                             ;   in Loop: Header=BB6_3191 Depth=2
	s_or_b64 exec, exec, s[18:19]
	v_lshrrev_b16_e32 v24, 8, v3
	v_cmp_ne_u16_e32 vcc, 0, v24
	v_mov_b32_e32 v5, 0
	v_mov_b32_e32 v22, 0
	s_and_saveexec_b64 s[18:19], vcc
	s_cbranch_execz .LBB6_3805
; %bb.3800:                             ;   in Loop: Header=BB6_3191 Depth=2
	v_cmp_ne_u16_e32 vcc, s71, v24
	v_bfrev_b32_e32 v22, 1
	s_and_saveexec_b64 s[52:53], vcc
	s_cbranch_execz .LBB6_3804
; %bb.3801:                             ;   in Loop: Header=BB6_3191 Depth=2
	v_and_b32_e32 v23, 0x7f, v24
	v_cmp_ne_u32_e32 vcc, s69, v23
	v_mov_b32_e32 v22, 0x7f800001
	s_and_saveexec_b64 s[54:55], vcc
	s_cbranch_execz .LBB6_3803
; %bb.3802:                             ;   in Loop: Header=BB6_3191 Depth=2
	v_and_b32_e32 v4, 7, v24
	v_ffbh_u32_e32 v26, v4
	v_min_u32_e32 v26, 32, v26
	v_subrev_u32_e32 v28, 28, v26
	v_lshlrev_b64 v[28:29], v28, v[24:25]
	v_lshrrev_b32_e32 v22, 3, v23
	v_sub_u32_e32 v24, 29, v26
	v_and_b32_e32 v26, 7, v28
	v_cmp_gt_u32_e32 vcc, 8, v23
	v_cndmask_b32_e32 v22, v22, v24, vcc
	v_cndmask_b32_e32 v4, v4, v26, vcc
	v_lshlrev_b32_e32 v3, 16, v3
	v_lshlrev_b32_e32 v4, 20, v4
	v_and_b32_e32 v3, 0x80000000, v3
	v_lshl_add_u32 v22, v22, 23, v21
	v_or3_b32 v22, v3, v22, v4
.LBB6_3803:                             ;   in Loop: Header=BB6_3191 Depth=2
	s_or_b64 exec, exec, s[54:55]
.LBB6_3804:                             ;   in Loop: Header=BB6_3191 Depth=2
	s_or_b64 exec, exec, s[52:53]
.LBB6_3805:                             ;   in Loop: Header=BB6_3191 Depth=2
	s_or_b64 exec, exec, s[18:19]
	v_lshrrev_b16_e32 v24, 8, v14
	v_cmp_ne_u16_e32 vcc, 0, v24
	s_and_saveexec_b64 s[18:19], vcc
	s_cbranch_execz .LBB6_3811
; %bb.3806:                             ;   in Loop: Header=BB6_3191 Depth=2
	v_cmp_ne_u16_e32 vcc, s71, v24
	v_bfrev_b32_e32 v5, 1
	s_and_saveexec_b64 s[52:53], vcc
	s_cbranch_execz .LBB6_3810
; %bb.3807:                             ;   in Loop: Header=BB6_3191 Depth=2
	v_and_b32_e32 v3, 0x7f, v24
	v_cmp_ne_u32_e32 vcc, s69, v3
	v_mov_b32_e32 v5, 0x7f800001
	s_and_saveexec_b64 s[54:55], vcc
	s_cbranch_execz .LBB6_3809
; %bb.3808:                             ;   in Loop: Header=BB6_3191 Depth=2
	v_and_b32_e32 v4, 7, v24
	v_ffbh_u32_e32 v23, v4
	v_min_u32_e32 v23, 32, v23
	v_subrev_u32_e32 v26, 28, v23
	v_lshlrev_b64 v[28:29], v26, v[24:25]
	v_lshrrev_b32_e32 v5, 3, v3
	v_sub_u32_e32 v23, 29, v23
	v_and_b32_e32 v24, 7, v28
	v_cmp_gt_u32_e32 vcc, 8, v3
	v_cndmask_b32_e32 v3, v5, v23, vcc
	v_cndmask_b32_e32 v4, v4, v24, vcc
	v_lshlrev_b32_e32 v5, 16, v14
	v_lshlrev_b32_e32 v4, 20, v4
	v_and_b32_e32 v5, 0x80000000, v5
	v_lshl_add_u32 v3, v3, 23, v21
	v_or3_b32 v5, v5, v3, v4
.LBB6_3809:                             ;   in Loop: Header=BB6_3191 Depth=2
	s_or_b64 exec, exec, s[54:55]
.LBB6_3810:                             ;   in Loop: Header=BB6_3191 Depth=2
	s_or_b64 exec, exec, s[52:53]
.LBB6_3811:                             ;   in Loop: Header=BB6_3191 Depth=2
	s_or_b64 exec, exec, s[18:19]
	v_add_f32_e32 v22, v22, v5
	v_and_b32_sdwa v3, v22, s71 dst_sel:DWORD dst_unused:UNUSED_PAD src0_sel:BYTE_3 src1_sel:DWORD
	v_and_b32_e32 v28, 0x7f800000, v22
	v_mov_b32_e32 v29, v37
	v_and_b32_e32 v36, 0x7fffff, v22
	v_or_b32_e32 v38, 0x7e, v3
	v_cmp_ne_u64_e32 vcc, s[38:39], v[28:29]
	s_and_saveexec_b64 s[18:19], vcc
	s_xor_b64 s[52:53], exec, s[18:19]
	s_cbranch_execz .LBB6_3821
; %bb.3812:                             ;   in Loop: Header=BB6_3191 Depth=2
	v_and_b32_e32 v28, 0x7fffffff, v22
	v_mov_b32_e32 v29, v37
	v_cmp_gt_u64_e32 vcc, s[40:41], v[28:29]
	s_and_saveexec_b64 s[54:55], vcc
	s_cbranch_execz .LBB6_3820
; %bb.3813:                             ;   in Loop: Header=BB6_3191 Depth=2
	v_cmp_ne_u32_e32 vcc, 0, v22
	v_mov_b32_e32 v38, 0
	s_and_saveexec_b64 s[56:57], vcc
	s_cbranch_execz .LBB6_3819
; %bb.3814:                             ;   in Loop: Header=BB6_3191 Depth=2
	v_bfe_u32 v4, v22, 23, 8
	v_sub_u32_e32 v22, 0x79, v4
	v_cmp_gt_u32_e32 vcc, s72, v4
	v_add_u32_e32 v5, 0xffffff81, v4
	v_cndmask_b32_e32 v22, 0, v22, vcc
	v_cmp_eq_u32_e32 vcc, 0, v4
	v_mov_b32_e32 v4, 0xffffff82
	v_cndmask_b32_e32 v4, v5, v4, vcc
	v_mov_b32_e32 v5, 0x78
	v_cndmask_b32_e32 v5, v22, v5, vcc
	v_or_b32_e32 v23, 0x800000, v36
	v_add_u32_e32 v22, 20, v5
	v_cndmask_b32_e32 v36, v23, v36, vcc
	v_lshlrev_b64 v[22:23], v22, -1
	v_not_b32_e32 v22, v22
	v_and_b32_e32 v28, v36, v22
	v_add_u32_e32 v22, 19, v5
	v_lshrrev_b64 v[60:61], v5, v[36:37]
	v_not_b32_e32 v23, v23
	v_lshlrev_b64 v[50:51], v22, 1
	v_lshrrev_b32_e32 v22, 23, v60
	v_and_b32_e32 v29, 0, v23
	v_add3_u32 v23, v5, v4, v22
	v_bfe_u32 v4, v60, 20, 1
	v_add_u32_e32 v4, -1, v4
	v_cmp_eq_u64_e32 vcc, v[28:29], v[50:51]
	v_cndmask_b32_e32 v4, 0, v4, vcc
	v_add_u32_e32 v4, v4, v60
	v_and_b32_e32 v4, 0xfffff, v4
	v_add_co_u32_e32 v60, vcc, v4, v60
	v_add_u32_e32 v22, 6, v23
	v_addc_co_u32_e32 v61, vcc, 0, v61, vcc
	v_cmp_ne_u32_e32 vcc, 0, v22
                                        ; implicit-def: $vgpr5
	s_and_saveexec_b64 s[18:19], vcc
	s_xor_b64 s[18:19], exec, s[18:19]
; %bb.3815:                             ;   in Loop: Header=BB6_3191 Depth=2
	v_add_u32_e32 v4, 7, v23
	v_cmp_lt_u64_e32 vcc, s[44:45], v[60:61]
	v_cndmask_b32_e32 v5, v22, v4, vcc
	v_cndmask_b32_e64 v4, 0, 1, vcc
	v_lshrrev_b64 v[60:61], v4, v[60:61]
; %bb.3816:                             ;   in Loop: Header=BB6_3191 Depth=2
	s_andn2_saveexec_b64 s[18:19], s[18:19]
; %bb.3817:                             ;   in Loop: Header=BB6_3191 Depth=2
	v_bfe_u32 v5, v60, 23, 1
; %bb.3818:                             ;   in Loop: Header=BB6_3191 Depth=2
	s_or_b64 exec, exec, s[18:19]
	v_lshrrev_b64 v[22:23], 20, v[60:61]
	v_cmp_gt_i32_e32 vcc, 16, v5
	v_cndmask_b32_e32 v23, 0, v23, vcc
	v_cndmask_b32_e32 v22, 7, v22, vcc
	v_min_i32_e32 v4, 15, v5
	v_cmp_eq_u32_e32 vcc, 0, v5
	v_cmp_eq_u64_e64 s[18:19], 0, v[22:23]
	v_lshlrev_b32_e32 v4, 3, v4
	v_and_or_b32 v4, v22, 7, v4
	s_and_b64 s[18:19], vcc, s[18:19]
	v_cndmask_b32_e64 v4, v4, 0, s[18:19]
	v_or_b32_e32 v38, v4, v3
.LBB6_3819:                             ;   in Loop: Header=BB6_3191 Depth=2
	s_or_b64 exec, exec, s[56:57]
.LBB6_3820:                             ;   in Loop: Header=BB6_3191 Depth=2
	s_or_b64 exec, exec, s[54:55]
                                        ; implicit-def: $vgpr22
.LBB6_3821:                             ;   in Loop: Header=BB6_3191 Depth=2
	s_andn2_saveexec_b64 s[18:19], s[52:53]
; %bb.3822:                             ;   in Loop: Header=BB6_3191 Depth=2
	v_or_b32_sdwa v3, v22, s69 dst_sel:DWORD dst_unused:UNUSED_PAD src0_sel:BYTE_3 src1_sel:DWORD
	v_cmp_eq_u64_e32 vcc, 0, v[36:37]
	v_cndmask_b32_e32 v38, v3, v38, vcc
; %bb.3823:                             ;   in Loop: Header=BB6_3191 Depth=2
	s_or_b64 exec, exec, s[18:19]
	v_cmp_ne_u16_sdwa vcc, v2, v37 src0_sel:BYTE_0 src1_sel:DWORD
	v_mov_b32_e32 v3, 0
	v_mov_b32_e32 v22, 0
	s_and_saveexec_b64 s[18:19], vcc
	s_cbranch_execz .LBB6_3829
; %bb.3824:                             ;   in Loop: Header=BB6_3191 Depth=2
	v_cmp_ne_u16_sdwa vcc, v2, s71 src0_sel:BYTE_0 src1_sel:DWORD
	v_bfrev_b32_e32 v22, 1
	s_and_saveexec_b64 s[52:53], vcc
	s_cbranch_execz .LBB6_3828
; %bb.3825:                             ;   in Loop: Header=BB6_3191 Depth=2
	v_and_b32_e32 v23, 0x7f, v2
	v_cmp_ne_u32_e32 vcc, s69, v23
	v_mov_b32_e32 v22, 0x7f800001
	s_and_saveexec_b64 s[54:55], vcc
	s_cbranch_execz .LBB6_3827
; %bb.3826:                             ;   in Loop: Header=BB6_3191 Depth=2
	v_and_b32_e32 v4, 7, v2
	v_ffbh_u32_e32 v22, v4
	v_min_u32_e32 v22, 32, v22
	v_subrev_u32_e32 v24, 28, v22
	v_lshlrev_b64 v[28:29], v24, v[2:3]
	v_lshrrev_b32_e32 v5, 3, v23
	v_sub_u32_e32 v22, 29, v22
	v_and_b32_e32 v24, 7, v28
	v_cmp_gt_u32_e32 vcc, 8, v23
	v_cndmask_b32_e32 v5, v5, v22, vcc
	v_cndmask_b32_e32 v4, v4, v24, vcc
	v_lshlrev_b32_e32 v2, 24, v2
	v_lshlrev_b32_e32 v4, 20, v4
	v_and_b32_e32 v2, 0x80000000, v2
	v_lshl_add_u32 v5, v5, 23, v21
	v_or3_b32 v22, v2, v5, v4
.LBB6_3827:                             ;   in Loop: Header=BB6_3191 Depth=2
	s_or_b64 exec, exec, s[54:55]
.LBB6_3828:                             ;   in Loop: Header=BB6_3191 Depth=2
	s_or_b64 exec, exec, s[52:53]
.LBB6_3829:                             ;   in Loop: Header=BB6_3191 Depth=2
	s_or_b64 exec, exec, s[18:19]
	v_lshrrev_b32_e32 v2, 16, v14
	v_cmp_ne_u16_sdwa vcc, v2, v37 src0_sel:BYTE_0 src1_sel:DWORD
	s_and_saveexec_b64 s[18:19], vcc
	s_cbranch_execz .LBB6_3835
; %bb.3830:                             ;   in Loop: Header=BB6_3191 Depth=2
	v_cmp_ne_u16_sdwa vcc, v2, s71 src0_sel:BYTE_0 src1_sel:DWORD
	v_bfrev_b32_e32 v3, 1
	s_and_saveexec_b64 s[52:53], vcc
	s_cbranch_execz .LBB6_3834
; %bb.3831:                             ;   in Loop: Header=BB6_3191 Depth=2
	v_bfe_u32 v23, v14, 16, 7
	v_cmp_ne_u32_e32 vcc, s69, v23
	v_mov_b32_e32 v3, 0x7f800001
	s_and_saveexec_b64 s[54:55], vcc
	s_cbranch_execz .LBB6_3833
; %bb.3832:                             ;   in Loop: Header=BB6_3191 Depth=2
	v_and_b32_e32 v4, 7, v2
	v_ffbh_u32_e32 v3, v4
	v_min_u32_e32 v24, 32, v3
	v_subrev_u32_e32 v3, 28, v24
	v_lshlrev_b64 v[2:3], v3, v[2:3]
	v_lshrrev_b32_e32 v5, 3, v23
	v_sub_u32_e32 v3, 29, v24
	v_and_b32_e32 v2, 7, v2
	v_cmp_gt_u32_e32 vcc, 8, v23
	v_cndmask_b32_e32 v3, v5, v3, vcc
	v_cndmask_b32_e32 v2, v4, v2, vcc
	v_lshlrev_b32_e32 v4, 8, v14
	v_lshlrev_b32_e32 v2, 20, v2
	v_and_b32_e32 v4, 0x80000000, v4
	v_lshl_add_u32 v3, v3, 23, v21
	v_or3_b32 v3, v4, v3, v2
.LBB6_3833:                             ;   in Loop: Header=BB6_3191 Depth=2
	s_or_b64 exec, exec, s[54:55]
.LBB6_3834:                             ;   in Loop: Header=BB6_3191 Depth=2
	s_or_b64 exec, exec, s[52:53]
.LBB6_3835:                             ;   in Loop: Header=BB6_3191 Depth=2
	s_or_b64 exec, exec, s[18:19]
	v_add_f32_e32 v2, v22, v3
	v_and_b32_sdwa v22, v2, s71 dst_sel:DWORD dst_unused:UNUSED_PAD src0_sel:BYTE_3 src1_sel:DWORD
	v_and_b32_e32 v28, 0x7f800000, v2
	v_mov_b32_e32 v29, v37
	v_and_b32_e32 v36, 0x7fffff, v2
	v_or_b32_e32 v26, 0x7e, v22
	v_cmp_ne_u64_e32 vcc, s[38:39], v[28:29]
	s_and_saveexec_b64 s[18:19], vcc
	s_xor_b64 s[52:53], exec, s[18:19]
	s_cbranch_execz .LBB6_3845
; %bb.3836:                             ;   in Loop: Header=BB6_3191 Depth=2
	v_and_b32_e32 v28, 0x7fffffff, v2
	v_mov_b32_e32 v29, v37
	v_cmp_gt_u64_e32 vcc, s[40:41], v[28:29]
	s_and_saveexec_b64 s[54:55], vcc
	s_cbranch_execz .LBB6_3844
; %bb.3837:                             ;   in Loop: Header=BB6_3191 Depth=2
	v_cmp_ne_u32_e32 vcc, 0, v2
	v_mov_b32_e32 v26, 0
	s_and_saveexec_b64 s[56:57], vcc
	s_cbranch_execz .LBB6_3843
; %bb.3838:                             ;   in Loop: Header=BB6_3191 Depth=2
	v_bfe_u32 v2, v2, 23, 8
	v_sub_u32_e32 v4, 0x79, v2
	v_cmp_gt_u32_e32 vcc, s72, v2
	v_add_u32_e32 v3, 0xffffff81, v2
	v_cndmask_b32_e32 v4, 0, v4, vcc
	v_cmp_eq_u32_e32 vcc, 0, v2
	v_mov_b32_e32 v2, 0xffffff82
	v_cndmask_b32_e32 v23, v3, v2, vcc
	v_mov_b32_e32 v2, 0x78
	v_or_b32_e32 v5, 0x800000, v36
	v_cndmask_b32_e32 v4, v4, v2, vcc
	v_cndmask_b32_e32 v36, v5, v36, vcc
	v_add_u32_e32 v2, 20, v4
	v_lshlrev_b64 v[2:3], v2, -1
	v_add_u32_e32 v5, 19, v4
	v_lshrrev_b64 v[50:51], v4, v[36:37]
	v_not_b32_e32 v3, v3
	v_not_b32_e32 v2, v2
	v_lshlrev_b64 v[28:29], v5, 1
	v_lshrrev_b32_e32 v5, 23, v50
	v_and_b32_e32 v3, 0, v3
	v_and_b32_e32 v2, v36, v2
	v_add3_u32 v26, v4, v23, v5
	v_bfe_u32 v4, v50, 20, 1
	v_add_u32_e32 v4, -1, v4
	v_cmp_eq_u64_e32 vcc, v[2:3], v[28:29]
	v_cndmask_b32_e32 v2, 0, v4, vcc
	v_add_u32_e32 v2, v2, v50
	v_and_b32_e32 v2, 0xfffff, v2
	v_add_co_u32_e32 v2, vcc, v2, v50
	v_add_u32_e32 v24, 6, v26
	v_addc_co_u32_e32 v3, vcc, 0, v51, vcc
	v_cmp_ne_u32_e32 vcc, 0, v24
                                        ; implicit-def: $vgpr23
	s_and_saveexec_b64 s[18:19], vcc
	s_xor_b64 s[18:19], exec, s[18:19]
; %bb.3839:                             ;   in Loop: Header=BB6_3191 Depth=2
	v_add_u32_e32 v4, 7, v26
	v_cmp_lt_u64_e32 vcc, s[44:45], v[2:3]
	v_cndmask_b32_e32 v23, v24, v4, vcc
	v_cndmask_b32_e64 v4, 0, 1, vcc
	v_lshrrev_b64 v[2:3], v4, v[2:3]
; %bb.3840:                             ;   in Loop: Header=BB6_3191 Depth=2
	s_andn2_saveexec_b64 s[18:19], s[18:19]
; %bb.3841:                             ;   in Loop: Header=BB6_3191 Depth=2
	v_bfe_u32 v23, v2, 23, 1
; %bb.3842:                             ;   in Loop: Header=BB6_3191 Depth=2
	s_or_b64 exec, exec, s[18:19]
	v_lshrrev_b64 v[2:3], 20, v[2:3]
	v_cmp_gt_i32_e32 vcc, 16, v23
	v_cndmask_b32_e32 v3, 0, v3, vcc
	v_cndmask_b32_e32 v2, 7, v2, vcc
	v_cmp_eq_u64_e64 s[18:19], 0, v[2:3]
	v_min_i32_e32 v3, 15, v23
	v_cmp_eq_u32_e32 vcc, 0, v23
	v_lshlrev_b32_e32 v3, 3, v3
	v_and_or_b32 v2, v2, 7, v3
	s_and_b64 s[18:19], vcc, s[18:19]
	v_cndmask_b32_e64 v2, v2, 0, s[18:19]
	v_or_b32_e32 v26, v2, v22
.LBB6_3843:                             ;   in Loop: Header=BB6_3191 Depth=2
	s_or_b64 exec, exec, s[56:57]
.LBB6_3844:                             ;   in Loop: Header=BB6_3191 Depth=2
	s_or_b64 exec, exec, s[54:55]
                                        ; implicit-def: $vgpr2
.LBB6_3845:                             ;   in Loop: Header=BB6_3191 Depth=2
	s_andn2_saveexec_b64 s[18:19], s[52:53]
; %bb.3846:                             ;   in Loop: Header=BB6_3191 Depth=2
	v_or_b32_sdwa v2, v2, s69 dst_sel:DWORD dst_unused:UNUSED_PAD src0_sel:BYTE_3 src1_sel:DWORD
	v_cmp_eq_u64_e32 vcc, 0, v[36:37]
	v_cndmask_b32_e32 v26, v2, v26, vcc
; %bb.3847:                             ;   in Loop: Header=BB6_3191 Depth=2
	s_or_b64 exec, exec, s[18:19]
	v_lshlrev_b32_e32 v2, 8, v49
	v_and_b32_e32 v2, 0xff00, v2
	v_cmp_ne_u32_e32 vcc, 0, v2
	v_mov_b32_e32 v3, 0
	v_mov_b32_e32 v22, 0
	s_and_saveexec_b64 s[18:19], vcc
	s_cbranch_execz .LBB6_3853
; %bb.3848:                             ;   in Loop: Header=BB6_3191 Depth=2
	v_cmp_ne_u32_e32 vcc, s74, v2
	v_bfrev_b32_e32 v22, 1
	s_and_saveexec_b64 s[52:53], vcc
	s_cbranch_execz .LBB6_3852
; %bb.3849:                             ;   in Loop: Header=BB6_3191 Depth=2
	v_bfe_u32 v23, v2, 8, 7
	v_cmp_ne_u32_e32 vcc, s69, v23
	v_mov_b32_e32 v22, 0x7f800001
	s_and_saveexec_b64 s[54:55], vcc
	s_cbranch_execz .LBB6_3851
; %bb.3850:                             ;   in Loop: Header=BB6_3191 Depth=2
	v_lshrrev_b32_e32 v22, 8, v2
	v_and_b32_e32 v4, 7, v22
	v_ffbh_u32_e32 v24, v4
	v_min_u32_e32 v24, 32, v24
	v_subrev_u32_e32 v28, 28, v24
	v_lshlrev_b64 v[28:29], v28, v[22:23]
	v_lshrrev_b32_e32 v5, 3, v23
	v_sub_u32_e32 v22, 29, v24
	v_and_b32_e32 v24, 7, v28
	v_cmp_gt_u32_e32 vcc, 8, v23
	v_cndmask_b32_e32 v5, v5, v22, vcc
	v_cndmask_b32_e32 v4, v4, v24, vcc
	v_lshlrev_b32_e32 v2, 16, v2
	v_lshlrev_b32_e32 v4, 20, v4
	v_and_b32_e32 v2, 0x80000000, v2
	v_lshl_add_u32 v5, v5, 23, v21
	v_or3_b32 v22, v2, v5, v4
.LBB6_3851:                             ;   in Loop: Header=BB6_3191 Depth=2
	s_or_b64 exec, exec, s[54:55]
.LBB6_3852:                             ;   in Loop: Header=BB6_3191 Depth=2
	s_or_b64 exec, exec, s[52:53]
.LBB6_3853:                             ;   in Loop: Header=BB6_3191 Depth=2
	s_or_b64 exec, exec, s[18:19]
	v_cmp_lt_u32_e32 vcc, s43, v14
	s_and_saveexec_b64 s[18:19], vcc
	s_cbranch_execz .LBB6_3859
; %bb.3854:                             ;   in Loop: Header=BB6_3191 Depth=2
	v_lshrrev_b32_e32 v2, 24, v14
	v_cmp_ne_u32_e32 vcc, s71, v2
	v_bfrev_b32_e32 v3, 1
	s_and_saveexec_b64 s[52:53], vcc
	s_cbranch_execz .LBB6_3858
; %bb.3855:                             ;   in Loop: Header=BB6_3191 Depth=2
	v_bfe_u32 v23, v14, 24, 7
	v_cmp_ne_u32_e32 vcc, s69, v23
	v_mov_b32_e32 v3, 0x7f800001
	s_and_saveexec_b64 s[54:55], vcc
	s_cbranch_execz .LBB6_3857
; %bb.3856:                             ;   in Loop: Header=BB6_3191 Depth=2
	v_and_b32_e32 v3, 7, v2
	v_ffbh_u32_e32 v5, v3
	v_min_u32_e32 v5, 32, v5
	v_subrev_u32_e32 v24, 28, v5
	v_lshlrev_b64 v[28:29], v24, v[2:3]
	v_lshrrev_b32_e32 v4, 3, v23
	v_sub_u32_e32 v5, 29, v5
	v_and_b32_e32 v24, 7, v28
	v_cmp_gt_u32_e32 vcc, 8, v23
	v_cndmask_b32_e32 v4, v4, v5, vcc
	v_cndmask_b32_e32 v3, v3, v24, vcc
	v_lshlrev_b32_e32 v2, 24, v2
	v_lshlrev_b32_e32 v3, 20, v3
	v_and_b32_e32 v2, 0x80000000, v2
	v_lshl_add_u32 v4, v4, 23, v21
	v_or3_b32 v3, v2, v4, v3
.LBB6_3857:                             ;   in Loop: Header=BB6_3191 Depth=2
	s_or_b64 exec, exec, s[54:55]
.LBB6_3858:                             ;   in Loop: Header=BB6_3191 Depth=2
	s_or_b64 exec, exec, s[52:53]
.LBB6_3859:                             ;   in Loop: Header=BB6_3191 Depth=2
	s_or_b64 exec, exec, s[18:19]
	v_add_f32_e32 v2, v22, v3
	v_and_b32_sdwa v22, v2, s71 dst_sel:DWORD dst_unused:UNUSED_PAD src0_sel:BYTE_3 src1_sel:DWORD
	v_and_b32_e32 v28, 0x7f800000, v2
	v_mov_b32_e32 v29, v37
	v_and_b32_e32 v36, 0x7fffff, v2
	v_or_b32_e32 v60, 0x7e, v22
	v_cmp_ne_u64_e32 vcc, s[38:39], v[28:29]
	s_and_saveexec_b64 s[18:19], vcc
	s_xor_b64 s[52:53], exec, s[18:19]
	s_cbranch_execz .LBB6_3869
; %bb.3860:                             ;   in Loop: Header=BB6_3191 Depth=2
	v_and_b32_e32 v28, 0x7fffffff, v2
	v_mov_b32_e32 v29, v37
	v_cmp_gt_u64_e32 vcc, s[40:41], v[28:29]
	s_and_saveexec_b64 s[54:55], vcc
	s_cbranch_execz .LBB6_3868
; %bb.3861:                             ;   in Loop: Header=BB6_3191 Depth=2
	v_cmp_ne_u32_e32 vcc, 0, v2
	v_mov_b32_e32 v60, 0
	s_and_saveexec_b64 s[56:57], vcc
	s_cbranch_execz .LBB6_3867
; %bb.3862:                             ;   in Loop: Header=BB6_3191 Depth=2
	v_bfe_u32 v2, v2, 23, 8
	v_sub_u32_e32 v4, 0x79, v2
	v_cmp_gt_u32_e32 vcc, s72, v2
	v_add_u32_e32 v3, 0xffffff81, v2
	v_cndmask_b32_e32 v4, 0, v4, vcc
	v_cmp_eq_u32_e32 vcc, 0, v2
	v_mov_b32_e32 v2, 0xffffff82
	v_cndmask_b32_e32 v23, v3, v2, vcc
	v_mov_b32_e32 v2, 0x78
	v_or_b32_e32 v5, 0x800000, v36
	v_cndmask_b32_e32 v4, v4, v2, vcc
	v_cndmask_b32_e32 v36, v5, v36, vcc
	v_add_u32_e32 v2, 20, v4
	v_lshlrev_b64 v[2:3], v2, -1
	v_add_u32_e32 v5, 19, v4
	v_lshrrev_b64 v[60:61], v4, v[36:37]
	v_not_b32_e32 v3, v3
	v_not_b32_e32 v2, v2
	v_lshlrev_b64 v[50:51], v5, 1
	v_lshrrev_b32_e32 v5, 23, v60
	v_and_b32_e32 v3, 0, v3
	v_and_b32_e32 v2, v36, v2
	v_add3_u32 v28, v4, v23, v5
	v_bfe_u32 v4, v60, 20, 1
	v_add_u32_e32 v4, -1, v4
	v_cmp_eq_u64_e32 vcc, v[2:3], v[50:51]
	v_cndmask_b32_e32 v2, 0, v4, vcc
	v_add_u32_e32 v2, v2, v60
	v_and_b32_e32 v2, 0xfffff, v2
	v_add_co_u32_e32 v2, vcc, v2, v60
	v_add_u32_e32 v24, 6, v28
	v_addc_co_u32_e32 v3, vcc, 0, v61, vcc
	v_cmp_ne_u32_e32 vcc, 0, v24
                                        ; implicit-def: $vgpr23
	s_and_saveexec_b64 s[18:19], vcc
	s_xor_b64 s[18:19], exec, s[18:19]
; %bb.3863:                             ;   in Loop: Header=BB6_3191 Depth=2
	v_add_u32_e32 v4, 7, v28
	v_cmp_lt_u64_e32 vcc, s[44:45], v[2:3]
	v_cndmask_b32_e32 v23, v24, v4, vcc
	v_cndmask_b32_e64 v4, 0, 1, vcc
	v_lshrrev_b64 v[2:3], v4, v[2:3]
; %bb.3864:                             ;   in Loop: Header=BB6_3191 Depth=2
	s_andn2_saveexec_b64 s[18:19], s[18:19]
; %bb.3865:                             ;   in Loop: Header=BB6_3191 Depth=2
	v_bfe_u32 v23, v2, 23, 1
; %bb.3866:                             ;   in Loop: Header=BB6_3191 Depth=2
	s_or_b64 exec, exec, s[18:19]
	v_lshrrev_b64 v[2:3], 20, v[2:3]
	v_cmp_gt_i32_e32 vcc, 16, v23
	v_cndmask_b32_e32 v3, 0, v3, vcc
	v_cndmask_b32_e32 v2, 7, v2, vcc
	v_cmp_eq_u64_e64 s[18:19], 0, v[2:3]
	v_min_i32_e32 v3, 15, v23
	v_cmp_eq_u32_e32 vcc, 0, v23
	v_lshlrev_b32_e32 v3, 3, v3
	v_and_or_b32 v2, v2, 7, v3
	s_and_b64 s[18:19], vcc, s[18:19]
	v_cndmask_b32_e64 v2, v2, 0, s[18:19]
	v_or_b32_e32 v60, v2, v22
.LBB6_3867:                             ;   in Loop: Header=BB6_3191 Depth=2
	s_or_b64 exec, exec, s[56:57]
.LBB6_3868:                             ;   in Loop: Header=BB6_3191 Depth=2
	s_or_b64 exec, exec, s[54:55]
                                        ; implicit-def: $vgpr2
.LBB6_3869:                             ;   in Loop: Header=BB6_3191 Depth=2
	s_andn2_saveexec_b64 s[18:19], s[52:53]
; %bb.3870:                             ;   in Loop: Header=BB6_3191 Depth=2
	v_or_b32_sdwa v2, v2, s69 dst_sel:DWORD dst_unused:UNUSED_PAD src0_sel:BYTE_3 src1_sel:DWORD
	v_cmp_eq_u64_e32 vcc, 0, v[36:37]
	v_cndmask_b32_e32 v60, v2, v60, vcc
; %bb.3871:                             ;   in Loop: Header=BB6_3191 Depth=2
	s_or_b64 exec, exec, s[18:19]
	v_lshlrev_b32_e32 v22, 8, v57
	v_lshlrev_b32_e32 v2, 24, v25
	v_perm_b32 v3, v62, v6, s75
	v_or3_b32 v36, v3, v2, v22
	v_cmp_ne_u16_sdwa vcc, v6, v37 src0_sel:BYTE_0 src1_sel:DWORD
	v_mov_b32_e32 v3, 0
	v_mov_b32_e32 v2, 0
	s_and_saveexec_b64 s[18:19], vcc
	s_cbranch_execz .LBB6_3877
; %bb.3872:                             ;   in Loop: Header=BB6_3191 Depth=2
	v_cmp_ne_u16_sdwa vcc, v6, s71 src0_sel:BYTE_0 src1_sel:DWORD
	v_bfrev_b32_e32 v2, 1
	s_and_saveexec_b64 s[52:53], vcc
	s_cbranch_execz .LBB6_3876
; %bb.3873:                             ;   in Loop: Header=BB6_3191 Depth=2
	v_and_b32_e32 v23, 0x7f, v6
	v_cmp_ne_u32_e32 vcc, s69, v23
	v_mov_b32_e32 v2, 0x7f800001
	s_and_saveexec_b64 s[54:55], vcc
	s_cbranch_execz .LBB6_3875
; %bb.3874:                             ;   in Loop: Header=BB6_3191 Depth=2
	v_and_b32_e32 v2, 7, v6
	v_ffbh_u32_e32 v2, v2
	v_min_u32_e32 v2, 32, v2
	v_lshrrev_b32_e32 v4, 3, v23
	v_subrev_u32_e32 v5, 28, v2
	v_sub_u32_e32 v2, 29, v2
	v_cmp_gt_u32_e32 vcc, 8, v23
	v_cndmask_b32_e32 v2, v4, v2, vcc
	v_cndmask_b32_e32 v4, 0, v5, vcc
	v_lshlrev_b64 v[24:25], v4, v[36:37]
	v_lshlrev_b32_e32 v4, 20, v24
	v_lshlrev_b32_e32 v5, 24, v36
	v_and_b32_e32 v4, 0x700000, v4
	v_and_b32_e32 v5, 0x80000000, v5
	v_lshl_add_u32 v2, v2, 23, v21
	v_or3_b32 v2, v5, v2, v4
.LBB6_3875:                             ;   in Loop: Header=BB6_3191 Depth=2
	s_or_b64 exec, exec, s[54:55]
.LBB6_3876:                             ;   in Loop: Header=BB6_3191 Depth=2
	s_or_b64 exec, exec, s[52:53]
.LBB6_3877:                             ;   in Loop: Header=BB6_3191 Depth=2
	s_or_b64 exec, exec, s[18:19]
	v_cmp_ne_u16_sdwa vcc, v15, v37 src0_sel:BYTE_0 src1_sel:DWORD
	s_and_saveexec_b64 s[18:19], vcc
	s_cbranch_execz .LBB6_3883
; %bb.3878:                             ;   in Loop: Header=BB6_3191 Depth=2
	v_cmp_ne_u16_sdwa vcc, v15, s71 src0_sel:BYTE_0 src1_sel:DWORD
	v_bfrev_b32_e32 v3, 1
	s_and_saveexec_b64 s[52:53], vcc
	s_cbranch_execz .LBB6_3882
; %bb.3879:                             ;   in Loop: Header=BB6_3191 Depth=2
	v_and_b32_e32 v6, 0x7f, v15
	v_cmp_ne_u32_e32 vcc, s69, v6
	v_mov_b32_e32 v3, 0x7f800001
	s_and_saveexec_b64 s[54:55], vcc
	s_cbranch_execz .LBB6_3881
; %bb.3880:                             ;   in Loop: Header=BB6_3191 Depth=2
	v_and_b32_e32 v3, 7, v15
	v_ffbh_u32_e32 v3, v3
	v_min_u32_e32 v3, 32, v3
	v_lshrrev_b32_e32 v4, 3, v6
	v_subrev_u32_e32 v5, 28, v3
	v_sub_u32_e32 v3, 29, v3
	v_cmp_gt_u32_e32 vcc, 8, v6
	v_mov_b32_e32 v24, v15
	v_mov_b32_e32 v25, v37
	v_cndmask_b32_e32 v3, v4, v3, vcc
	v_cndmask_b32_e32 v4, 0, v5, vcc
	v_lshlrev_b64 v[28:29], v4, v[24:25]
	v_lshlrev_b32_e32 v4, 20, v28
	v_lshlrev_b32_e32 v5, 24, v24
	v_and_b32_e32 v4, 0x700000, v4
	v_and_b32_e32 v5, 0x80000000, v5
	v_lshl_add_u32 v3, v3, 23, v21
	v_or3_b32 v3, v5, v3, v4
.LBB6_3881:                             ;   in Loop: Header=BB6_3191 Depth=2
	s_or_b64 exec, exec, s[54:55]
.LBB6_3882:                             ;   in Loop: Header=BB6_3191 Depth=2
	s_or_b64 exec, exec, s[52:53]
.LBB6_3883:                             ;   in Loop: Header=BB6_3191 Depth=2
	s_or_b64 exec, exec, s[18:19]
	v_add_f32_e32 v24, v2, v3
	v_and_b32_sdwa v23, v24, s71 dst_sel:DWORD dst_unused:UNUSED_PAD src0_sel:BYTE_3 src1_sel:DWORD
	v_and_b32_e32 v28, 0x7f800000, v24
	v_mov_b32_e32 v29, v37
	v_and_b32_e32 v2, 0x7fffff, v24
	v_mov_b32_e32 v3, v37
	v_or_b32_e32 v6, 0x7e, v23
	v_cmp_ne_u64_e32 vcc, s[38:39], v[28:29]
	s_and_saveexec_b64 s[18:19], vcc
	s_xor_b64 s[52:53], exec, s[18:19]
	s_cbranch_execz .LBB6_3893
; %bb.3884:                             ;   in Loop: Header=BB6_3191 Depth=2
	v_and_b32_e32 v28, 0x7fffffff, v24
	v_mov_b32_e32 v29, v37
	v_cmp_gt_u64_e32 vcc, s[40:41], v[28:29]
	s_and_saveexec_b64 s[54:55], vcc
	s_cbranch_execz .LBB6_3892
; %bb.3885:                             ;   in Loop: Header=BB6_3191 Depth=2
	v_cmp_ne_u32_e32 vcc, 0, v24
	v_mov_b32_e32 v6, 0
	s_and_saveexec_b64 s[56:57], vcc
	s_cbranch_execz .LBB6_3891
; %bb.3886:                             ;   in Loop: Header=BB6_3191 Depth=2
	v_bfe_u32 v4, v24, 23, 8
	v_sub_u32_e32 v6, 0x79, v4
	v_cmp_gt_u32_e32 vcc, s72, v4
	v_add_u32_e32 v5, 0xffffff81, v4
	v_cndmask_b32_e32 v6, 0, v6, vcc
	v_cmp_eq_u32_e32 vcc, 0, v4
	v_mov_b32_e32 v4, 0xffffff82
	v_cndmask_b32_e32 v4, v5, v4, vcc
	v_mov_b32_e32 v5, 0x78
	v_cndmask_b32_e32 v5, v6, v5, vcc
	v_or_b32_e32 v24, 0x800000, v2
	v_add_u32_e32 v6, 20, v5
	v_cndmask_b32_e32 v2, v24, v2, vcc
	v_lshlrev_b64 v[24:25], v6, -1
	v_not_b32_e32 v6, v25
	v_not_b32_e32 v24, v24
	v_and_b32_e32 v29, 0, v6
	v_and_b32_e32 v28, v2, v24
	v_add_u32_e32 v6, 19, v5
	v_lshrrev_b64 v[2:3], v5, v[2:3]
	v_lshlrev_b64 v[50:51], v6, 1
	v_lshrrev_b32_e32 v6, 23, v2
	v_add3_u32 v25, v5, v4, v6
	v_bfe_u32 v4, v2, 20, 1
	v_add_u32_e32 v4, -1, v4
	v_cmp_eq_u64_e32 vcc, v[28:29], v[50:51]
	v_cndmask_b32_e32 v4, 0, v4, vcc
	v_add_u32_e32 v4, v4, v2
	v_and_b32_e32 v4, 0xfffff, v4
	v_add_co_u32_e32 v2, vcc, v4, v2
	v_add_u32_e32 v24, 6, v25
	v_addc_co_u32_e32 v3, vcc, 0, v3, vcc
	v_cmp_ne_u32_e32 vcc, 0, v24
                                        ; implicit-def: $vgpr6
	s_and_saveexec_b64 s[18:19], vcc
	s_xor_b64 s[18:19], exec, s[18:19]
; %bb.3887:                             ;   in Loop: Header=BB6_3191 Depth=2
	v_add_u32_e32 v4, 7, v25
	v_cmp_lt_u64_e32 vcc, s[44:45], v[2:3]
	v_cndmask_b32_e32 v6, v24, v4, vcc
	v_cndmask_b32_e64 v4, 0, 1, vcc
	v_lshrrev_b64 v[2:3], v4, v[2:3]
; %bb.3888:                             ;   in Loop: Header=BB6_3191 Depth=2
	s_andn2_saveexec_b64 s[18:19], s[18:19]
; %bb.3889:                             ;   in Loop: Header=BB6_3191 Depth=2
	v_bfe_u32 v6, v2, 23, 1
; %bb.3890:                             ;   in Loop: Header=BB6_3191 Depth=2
	s_or_b64 exec, exec, s[18:19]
	v_lshrrev_b64 v[2:3], 20, v[2:3]
	v_cmp_gt_i32_e32 vcc, 16, v6
	v_cndmask_b32_e32 v3, 0, v3, vcc
	v_cndmask_b32_e32 v2, 7, v2, vcc
	v_cmp_eq_u64_e64 s[18:19], 0, v[2:3]
	v_min_i32_e32 v3, 15, v6
	v_cmp_eq_u32_e32 vcc, 0, v6
	v_lshlrev_b32_e32 v3, 3, v3
	v_and_or_b32 v2, v2, 7, v3
	s_and_b64 s[18:19], vcc, s[18:19]
	v_cndmask_b32_e64 v2, v2, 0, s[18:19]
	v_or_b32_e32 v6, v2, v23
.LBB6_3891:                             ;   in Loop: Header=BB6_3191 Depth=2
	s_or_b64 exec, exec, s[56:57]
.LBB6_3892:                             ;   in Loop: Header=BB6_3191 Depth=2
	s_or_b64 exec, exec, s[54:55]
                                        ; implicit-def: $vgpr24
                                        ; implicit-def: $vgpr2_vgpr3
.LBB6_3893:                             ;   in Loop: Header=BB6_3191 Depth=2
	s_andn2_saveexec_b64 s[18:19], s[52:53]
; %bb.3894:                             ;   in Loop: Header=BB6_3191 Depth=2
	v_or_b32_sdwa v4, v24, s69 dst_sel:DWORD dst_unused:UNUSED_PAD src0_sel:BYTE_3 src1_sel:DWORD
	v_cmp_eq_u64_e32 vcc, 0, v[2:3]
	v_cndmask_b32_e32 v6, v4, v6, vcc
; %bb.3895:                             ;   in Loop: Header=BB6_3191 Depth=2
	s_or_b64 exec, exec, s[18:19]
	v_lshrrev_b16_e32 v2, 8, v22
	v_cmp_ne_u16_e32 vcc, 0, v2
	v_mov_b32_e32 v3, 0
	v_mov_b32_e32 v23, 0
	s_and_saveexec_b64 s[18:19], vcc
	s_cbranch_execz .LBB6_3901
; %bb.3896:                             ;   in Loop: Header=BB6_3191 Depth=2
	v_cmp_ne_u16_e32 vcc, s71, v2
	v_bfrev_b32_e32 v23, 1
	s_and_saveexec_b64 s[52:53], vcc
	s_cbranch_execz .LBB6_3900
; %bb.3897:                             ;   in Loop: Header=BB6_3191 Depth=2
	v_and_b32_e32 v24, 0x7f, v2
	v_cmp_ne_u32_e32 vcc, s69, v24
	v_mov_b32_e32 v23, 0x7f800001
	s_and_saveexec_b64 s[54:55], vcc
	s_cbranch_execz .LBB6_3899
; %bb.3898:                             ;   in Loop: Header=BB6_3191 Depth=2
	v_and_b32_e32 v4, 7, v2
	v_ffbh_u32_e32 v23, v4
	v_min_u32_e32 v23, 32, v23
	v_subrev_u32_e32 v25, 28, v23
	v_lshlrev_b64 v[28:29], v25, v[2:3]
	v_lshrrev_b32_e32 v5, 3, v24
	v_sub_u32_e32 v2, 29, v23
	v_and_b32_e32 v23, 7, v28
	v_cmp_gt_u32_e32 vcc, 8, v24
	v_cndmask_b32_e32 v2, v5, v2, vcc
	v_cndmask_b32_e32 v4, v4, v23, vcc
	v_lshlrev_b32_e32 v5, 16, v22
	v_lshlrev_b32_e32 v4, 20, v4
	v_and_b32_e32 v5, 0x80000000, v5
	v_lshl_add_u32 v2, v2, 23, v21
	v_or3_b32 v23, v5, v2, v4
.LBB6_3899:                             ;   in Loop: Header=BB6_3191 Depth=2
	s_or_b64 exec, exec, s[54:55]
.LBB6_3900:                             ;   in Loop: Header=BB6_3191 Depth=2
	s_or_b64 exec, exec, s[52:53]
.LBB6_3901:                             ;   in Loop: Header=BB6_3191 Depth=2
	s_or_b64 exec, exec, s[18:19]
	v_mov_b32_e32 v2, v15
	v_lshrrev_b16_e32 v24, 8, v2
	v_cmp_ne_u16_e32 vcc, 0, v24
	s_and_saveexec_b64 s[18:19], vcc
	s_cbranch_execz .LBB6_3907
; %bb.3902:                             ;   in Loop: Header=BB6_3191 Depth=2
	v_cmp_ne_u16_e32 vcc, s71, v24
	v_bfrev_b32_e32 v3, 1
	s_and_saveexec_b64 s[52:53], vcc
	s_cbranch_execz .LBB6_3906
; %bb.3903:                             ;   in Loop: Header=BB6_3191 Depth=2
	v_and_b32_e32 v22, 0x7f, v24
	v_cmp_ne_u32_e32 vcc, s69, v22
	v_mov_b32_e32 v3, 0x7f800001
	s_and_saveexec_b64 s[54:55], vcc
	s_cbranch_execz .LBB6_3905
; %bb.3904:                             ;   in Loop: Header=BB6_3191 Depth=2
	v_and_b32_e32 v3, 7, v24
	v_ffbh_u32_e32 v5, v3
	v_min_u32_e32 v5, 32, v5
	v_subrev_u32_e32 v25, 28, v5
	v_lshlrev_b64 v[24:25], v25, v[24:25]
	v_lshrrev_b32_e32 v4, 3, v22
	v_sub_u32_e32 v5, 29, v5
	v_and_b32_e32 v24, 7, v24
	v_cmp_gt_u32_e32 vcc, 8, v22
	v_cndmask_b32_e32 v4, v4, v5, vcc
	v_cndmask_b32_e32 v3, v3, v24, vcc
	v_lshlrev_b32_e32 v2, 16, v2
	v_lshlrev_b32_e32 v3, 20, v3
	v_and_b32_e32 v2, 0x80000000, v2
	v_lshl_add_u32 v4, v4, 23, v21
	v_or3_b32 v3, v2, v4, v3
.LBB6_3905:                             ;   in Loop: Header=BB6_3191 Depth=2
	s_or_b64 exec, exec, s[54:55]
.LBB6_3906:                             ;   in Loop: Header=BB6_3191 Depth=2
	s_or_b64 exec, exec, s[52:53]
.LBB6_3907:                             ;   in Loop: Header=BB6_3191 Depth=2
	s_or_b64 exec, exec, s[18:19]
	v_add_f32_e32 v23, v23, v3
	v_and_b32_sdwa v22, v23, s71 dst_sel:DWORD dst_unused:UNUSED_PAD src0_sel:BYTE_3 src1_sel:DWORD
	v_and_b32_e32 v28, 0x7f800000, v23
	v_mov_b32_e32 v29, v37
	v_and_b32_e32 v2, 0x7fffff, v23
	v_mov_b32_e32 v3, v37
	v_or_b32_e32 v24, 0x7e, v22
	v_cmp_ne_u64_e32 vcc, s[38:39], v[28:29]
	s_and_saveexec_b64 s[18:19], vcc
	s_xor_b64 s[52:53], exec, s[18:19]
	s_cbranch_execz .LBB6_3917
; %bb.3908:                             ;   in Loop: Header=BB6_3191 Depth=2
	v_and_b32_e32 v28, 0x7fffffff, v23
	v_mov_b32_e32 v29, v37
	v_cmp_gt_u64_e32 vcc, s[40:41], v[28:29]
	s_and_saveexec_b64 s[54:55], vcc
	s_cbranch_execz .LBB6_3916
; %bb.3909:                             ;   in Loop: Header=BB6_3191 Depth=2
	v_cmp_ne_u32_e32 vcc, 0, v23
	v_mov_b32_e32 v24, 0
	s_and_saveexec_b64 s[56:57], vcc
	s_cbranch_execz .LBB6_3915
; %bb.3910:                             ;   in Loop: Header=BB6_3191 Depth=2
	v_bfe_u32 v4, v23, 23, 8
	v_sub_u32_e32 v23, 0x79, v4
	v_cmp_gt_u32_e32 vcc, s72, v4
	v_add_u32_e32 v5, 0xffffff81, v4
	v_cndmask_b32_e32 v23, 0, v23, vcc
	v_cmp_eq_u32_e32 vcc, 0, v4
	v_mov_b32_e32 v4, 0xffffff82
	v_cndmask_b32_e32 v4, v5, v4, vcc
	v_mov_b32_e32 v5, 0x78
	v_cndmask_b32_e32 v5, v23, v5, vcc
	v_or_b32_e32 v24, 0x800000, v2
	v_add_u32_e32 v23, 20, v5
	v_cndmask_b32_e32 v2, v24, v2, vcc
	v_lshlrev_b64 v[24:25], v23, -1
	v_not_b32_e32 v23, v25
	v_not_b32_e32 v24, v24
	v_and_b32_e32 v29, 0, v23
	v_and_b32_e32 v28, v2, v24
	v_add_u32_e32 v23, 19, v5
	v_lshrrev_b64 v[2:3], v5, v[2:3]
	v_lshlrev_b64 v[50:51], v23, 1
	v_lshrrev_b32_e32 v23, 23, v2
	v_add3_u32 v25, v5, v4, v23
	v_bfe_u32 v4, v2, 20, 1
	v_add_u32_e32 v4, -1, v4
	v_cmp_eq_u64_e32 vcc, v[28:29], v[50:51]
	v_cndmask_b32_e32 v4, 0, v4, vcc
	v_add_u32_e32 v4, v4, v2
	v_and_b32_e32 v4, 0xfffff, v4
	v_add_co_u32_e32 v2, vcc, v4, v2
	v_add_u32_e32 v24, 6, v25
	v_addc_co_u32_e32 v3, vcc, 0, v3, vcc
	v_cmp_ne_u32_e32 vcc, 0, v24
                                        ; implicit-def: $vgpr23
	s_and_saveexec_b64 s[18:19], vcc
	s_xor_b64 s[18:19], exec, s[18:19]
; %bb.3911:                             ;   in Loop: Header=BB6_3191 Depth=2
	v_add_u32_e32 v4, 7, v25
	v_cmp_lt_u64_e32 vcc, s[44:45], v[2:3]
	v_cndmask_b32_e32 v23, v24, v4, vcc
	v_cndmask_b32_e64 v4, 0, 1, vcc
	v_lshrrev_b64 v[2:3], v4, v[2:3]
; %bb.3912:                             ;   in Loop: Header=BB6_3191 Depth=2
	s_andn2_saveexec_b64 s[18:19], s[18:19]
; %bb.3913:                             ;   in Loop: Header=BB6_3191 Depth=2
	v_bfe_u32 v23, v2, 23, 1
; %bb.3914:                             ;   in Loop: Header=BB6_3191 Depth=2
	s_or_b64 exec, exec, s[18:19]
	v_lshrrev_b64 v[2:3], 20, v[2:3]
	v_cmp_gt_i32_e32 vcc, 16, v23
	v_cndmask_b32_e32 v3, 0, v3, vcc
	v_cndmask_b32_e32 v2, 7, v2, vcc
	v_cmp_eq_u64_e64 s[18:19], 0, v[2:3]
	v_min_i32_e32 v3, 15, v23
	v_cmp_eq_u32_e32 vcc, 0, v23
	v_lshlrev_b32_e32 v3, 3, v3
	v_and_or_b32 v2, v2, 7, v3
	s_and_b64 s[18:19], vcc, s[18:19]
	v_cndmask_b32_e64 v2, v2, 0, s[18:19]
	v_or_b32_e32 v24, v2, v22
.LBB6_3915:                             ;   in Loop: Header=BB6_3191 Depth=2
	s_or_b64 exec, exec, s[56:57]
.LBB6_3916:                             ;   in Loop: Header=BB6_3191 Depth=2
	s_or_b64 exec, exec, s[54:55]
                                        ; implicit-def: $vgpr23
                                        ; implicit-def: $vgpr2_vgpr3
.LBB6_3917:                             ;   in Loop: Header=BB6_3191 Depth=2
	s_andn2_saveexec_b64 s[18:19], s[52:53]
; %bb.3918:                             ;   in Loop: Header=BB6_3191 Depth=2
	v_or_b32_sdwa v4, v23, s69 dst_sel:DWORD dst_unused:UNUSED_PAD src0_sel:BYTE_3 src1_sel:DWORD
	v_cmp_eq_u64_e32 vcc, 0, v[2:3]
	v_cndmask_b32_e32 v24, v4, v24, vcc
; %bb.3919:                             ;   in Loop: Header=BB6_3191 Depth=2
	s_or_b64 exec, exec, s[18:19]
	v_lshrrev_b32_e32 v2, 16, v36
	v_cmp_ne_u16_sdwa vcc, v2, v37 src0_sel:BYTE_0 src1_sel:DWORD
	v_mov_b32_e32 v3, 0
	v_mov_b32_e32 v22, 0
	s_and_saveexec_b64 s[18:19], vcc
	s_cbranch_execz .LBB6_3925
; %bb.3920:                             ;   in Loop: Header=BB6_3191 Depth=2
	v_cmp_ne_u16_sdwa vcc, v2, s71 src0_sel:BYTE_0 src1_sel:DWORD
	v_bfrev_b32_e32 v22, 1
	s_and_saveexec_b64 s[52:53], vcc
	s_cbranch_execz .LBB6_3924
; %bb.3921:                             ;   in Loop: Header=BB6_3191 Depth=2
	v_bfe_u32 v23, v36, 16, 7
	v_cmp_ne_u32_e32 vcc, s69, v23
	v_mov_b32_e32 v22, 0x7f800001
	s_and_saveexec_b64 s[54:55], vcc
	s_cbranch_execz .LBB6_3923
; %bb.3922:                             ;   in Loop: Header=BB6_3191 Depth=2
	v_and_b32_e32 v4, 7, v2
	v_ffbh_u32_e32 v22, v4
	v_min_u32_e32 v22, 32, v22
	v_subrev_u32_e32 v25, 28, v22
	v_lshlrev_b64 v[28:29], v25, v[2:3]
	v_lshrrev_b32_e32 v5, 3, v23
	v_sub_u32_e32 v22, 29, v22
	v_and_b32_e32 v25, 7, v28
	v_cmp_gt_u32_e32 vcc, 8, v23
	v_cndmask_b32_e32 v5, v5, v22, vcc
	v_cndmask_b32_e32 v4, v4, v25, vcc
	v_lshlrev_b32_e32 v2, 24, v2
	v_lshlrev_b32_e32 v4, 20, v4
	v_and_b32_e32 v2, 0x80000000, v2
	v_lshl_add_u32 v5, v5, 23, v21
	v_or3_b32 v22, v2, v5, v4
.LBB6_3923:                             ;   in Loop: Header=BB6_3191 Depth=2
	s_or_b64 exec, exec, s[54:55]
.LBB6_3924:                             ;   in Loop: Header=BB6_3191 Depth=2
	s_or_b64 exec, exec, s[52:53]
.LBB6_3925:                             ;   in Loop: Header=BB6_3191 Depth=2
	s_or_b64 exec, exec, s[18:19]
	v_lshrrev_b32_e32 v2, 16, v15
	v_cmp_ne_u16_sdwa vcc, v2, v37 src0_sel:BYTE_0 src1_sel:DWORD
	s_and_saveexec_b64 s[18:19], vcc
	s_cbranch_execz .LBB6_3931
; %bb.3926:                             ;   in Loop: Header=BB6_3191 Depth=2
	v_cmp_ne_u16_sdwa vcc, v2, s71 src0_sel:BYTE_0 src1_sel:DWORD
	v_bfrev_b32_e32 v3, 1
	s_and_saveexec_b64 s[52:53], vcc
	s_cbranch_execz .LBB6_3930
; %bb.3927:                             ;   in Loop: Header=BB6_3191 Depth=2
	v_bfe_u32 v23, v15, 16, 7
	v_cmp_ne_u32_e32 vcc, s69, v23
	v_mov_b32_e32 v3, 0x7f800001
	s_and_saveexec_b64 s[54:55], vcc
	s_cbranch_execz .LBB6_3929
; %bb.3928:                             ;   in Loop: Header=BB6_3191 Depth=2
	v_and_b32_e32 v4, 7, v2
	v_ffbh_u32_e32 v3, v4
	v_min_u32_e32 v25, 32, v3
	v_subrev_u32_e32 v3, 28, v25
	v_lshlrev_b64 v[2:3], v3, v[2:3]
	v_lshrrev_b32_e32 v5, 3, v23
	v_sub_u32_e32 v3, 29, v25
	v_and_b32_e32 v2, 7, v2
	v_cmp_gt_u32_e32 vcc, 8, v23
	v_cndmask_b32_e32 v3, v5, v3, vcc
	v_cndmask_b32_e32 v2, v4, v2, vcc
	v_lshlrev_b32_e32 v4, 8, v15
	v_lshlrev_b32_e32 v2, 20, v2
	v_and_b32_e32 v4, 0x80000000, v4
	v_lshl_add_u32 v3, v3, 23, v21
	v_or3_b32 v3, v4, v3, v2
.LBB6_3929:                             ;   in Loop: Header=BB6_3191 Depth=2
	s_or_b64 exec, exec, s[54:55]
.LBB6_3930:                             ;   in Loop: Header=BB6_3191 Depth=2
	s_or_b64 exec, exec, s[52:53]
.LBB6_3931:                             ;   in Loop: Header=BB6_3191 Depth=2
	s_or_b64 exec, exec, s[18:19]
	v_add_f32_e32 v23, v22, v3
	v_and_b32_sdwa v22, v23, s71 dst_sel:DWORD dst_unused:UNUSED_PAD src0_sel:BYTE_3 src1_sel:DWORD
	v_and_b32_e32 v28, 0x7f800000, v23
	v_mov_b32_e32 v29, v37
	v_and_b32_e32 v2, 0x7fffff, v23
	v_mov_b32_e32 v3, v37
	v_or_b32_e32 v49, 0x7e, v22
	v_cmp_ne_u64_e32 vcc, s[38:39], v[28:29]
	s_and_saveexec_b64 s[18:19], vcc
	s_xor_b64 s[52:53], exec, s[18:19]
	s_cbranch_execz .LBB6_3941
; %bb.3932:                             ;   in Loop: Header=BB6_3191 Depth=2
	v_and_b32_e32 v28, 0x7fffffff, v23
	v_mov_b32_e32 v29, v37
	v_cmp_gt_u64_e32 vcc, s[40:41], v[28:29]
	s_and_saveexec_b64 s[54:55], vcc
	s_cbranch_execz .LBB6_3940
; %bb.3933:                             ;   in Loop: Header=BB6_3191 Depth=2
	v_cmp_ne_u32_e32 vcc, 0, v23
	v_mov_b32_e32 v49, 0
	s_and_saveexec_b64 s[56:57], vcc
	s_cbranch_execz .LBB6_3939
; %bb.3934:                             ;   in Loop: Header=BB6_3191 Depth=2
	v_bfe_u32 v4, v23, 23, 8
	v_sub_u32_e32 v23, 0x79, v4
	v_cmp_gt_u32_e32 vcc, s72, v4
	v_add_u32_e32 v5, 0xffffff81, v4
	v_cndmask_b32_e32 v23, 0, v23, vcc
	v_cmp_eq_u32_e32 vcc, 0, v4
	v_mov_b32_e32 v4, 0xffffff82
	v_cndmask_b32_e32 v49, v5, v4, vcc
	v_mov_b32_e32 v4, 0x78
	v_cndmask_b32_e32 v23, v23, v4, vcc
	v_add_u32_e32 v4, 20, v23
	v_or_b32_e32 v25, 0x800000, v2
	v_lshlrev_b64 v[28:29], v4, -1
	v_cndmask_b32_e32 v2, v25, v2, vcc
	v_not_b32_e32 v5, v28
	v_not_b32_e32 v4, v29
	v_and_b32_e32 v50, v2, v5
	v_lshrrev_b64 v[2:3], v23, v[2:3]
	v_and_b32_e32 v51, 0, v4
	v_add_u32_e32 v4, 19, v23
	v_lshrrev_b32_e32 v25, 23, v2
	v_lshlrev_b64 v[4:5], v4, 1
	v_add3_u32 v28, v23, v49, v25
	v_bfe_u32 v23, v2, 20, 1
	v_add_u32_e32 v23, -1, v23
	v_cmp_eq_u64_e32 vcc, v[50:51], v[4:5]
	v_cndmask_b32_e32 v4, 0, v23, vcc
	v_add_u32_e32 v4, v4, v2
	v_and_b32_e32 v4, 0xfffff, v4
	v_add_co_u32_e32 v2, vcc, v4, v2
	v_add_u32_e32 v25, 6, v28
	v_addc_co_u32_e32 v3, vcc, 0, v3, vcc
	v_cmp_ne_u32_e32 vcc, 0, v25
                                        ; implicit-def: $vgpr23
	s_and_saveexec_b64 s[18:19], vcc
	s_xor_b64 s[18:19], exec, s[18:19]
; %bb.3935:                             ;   in Loop: Header=BB6_3191 Depth=2
	v_add_u32_e32 v4, 7, v28
	v_cmp_lt_u64_e32 vcc, s[44:45], v[2:3]
	v_cndmask_b32_e32 v23, v25, v4, vcc
	v_cndmask_b32_e64 v4, 0, 1, vcc
	v_lshrrev_b64 v[2:3], v4, v[2:3]
; %bb.3936:                             ;   in Loop: Header=BB6_3191 Depth=2
	s_andn2_saveexec_b64 s[18:19], s[18:19]
; %bb.3937:                             ;   in Loop: Header=BB6_3191 Depth=2
	v_bfe_u32 v23, v2, 23, 1
; %bb.3938:                             ;   in Loop: Header=BB6_3191 Depth=2
	s_or_b64 exec, exec, s[18:19]
	v_lshrrev_b64 v[2:3], 20, v[2:3]
	v_cmp_gt_i32_e32 vcc, 16, v23
	v_cndmask_b32_e32 v3, 0, v3, vcc
	v_cndmask_b32_e32 v2, 7, v2, vcc
	v_cmp_eq_u64_e64 s[18:19], 0, v[2:3]
	v_min_i32_e32 v3, 15, v23
	v_lshlrev_b32_e32 v3, 3, v3
	v_cmp_eq_u32_e32 vcc, 0, v23
	v_and_b32_e32 v3, 0xf8, v3
	v_and_or_b32 v2, v2, 7, v3
	s_and_b64 s[18:19], vcc, s[18:19]
	v_cndmask_b32_e64 v2, v2, 0, s[18:19]
	v_or_b32_e32 v49, v2, v22
.LBB6_3939:                             ;   in Loop: Header=BB6_3191 Depth=2
	s_or_b64 exec, exec, s[56:57]
.LBB6_3940:                             ;   in Loop: Header=BB6_3191 Depth=2
	s_or_b64 exec, exec, s[54:55]
                                        ; implicit-def: $vgpr23
                                        ; implicit-def: $vgpr2_vgpr3
.LBB6_3941:                             ;   in Loop: Header=BB6_3191 Depth=2
	s_andn2_saveexec_b64 s[18:19], s[52:53]
; %bb.3942:                             ;   in Loop: Header=BB6_3191 Depth=2
	v_or_b32_sdwa v4, v23, s69 dst_sel:DWORD dst_unused:UNUSED_PAD src0_sel:BYTE_3 src1_sel:DWORD
	v_cmp_eq_u64_e32 vcc, 0, v[2:3]
	v_cndmask_b32_e32 v49, v4, v49, vcc
; %bb.3943:                             ;   in Loop: Header=BB6_3191 Depth=2
	s_or_b64 exec, exec, s[18:19]
	v_cmp_lt_u32_e32 vcc, s43, v36
	v_mov_b32_e32 v3, 0
	v_mov_b32_e32 v22, 0
	s_and_saveexec_b64 s[18:19], vcc
	s_cbranch_execz .LBB6_3949
; %bb.3944:                             ;   in Loop: Header=BB6_3191 Depth=2
	v_lshrrev_b32_e32 v2, 24, v36
	v_cmp_ne_u32_sdwa vcc, v36, s71 src0_sel:BYTE_3 src1_sel:DWORD
	v_bfrev_b32_e32 v22, 1
	s_and_saveexec_b64 s[52:53], vcc
	s_cbranch_execz .LBB6_3948
; %bb.3945:                             ;   in Loop: Header=BB6_3191 Depth=2
	v_bfe_u32 v23, v36, 24, 7
	v_cmp_ne_u32_e32 vcc, s69, v23
	v_mov_b32_e32 v22, 0x7f800001
	s_and_saveexec_b64 s[54:55], vcc
	s_cbranch_execz .LBB6_3947
; %bb.3946:                             ;   in Loop: Header=BB6_3191 Depth=2
	v_and_b32_e32 v22, 7, v2
	v_ffbh_u32_e32 v4, v22
	v_min_u32_e32 v28, 32, v4
	v_subrev_u32_e32 v4, 28, v28
	v_lshlrev_b64 v[4:5], v4, v[2:3]
	v_lshrrev_b32_e32 v25, 3, v23
	v_sub_u32_e32 v2, 29, v28
	v_and_b32_e32 v4, 7, v4
	v_cmp_gt_u32_e32 vcc, 8, v23
	v_mov_b32_e32 v5, 24
	v_cndmask_b32_e32 v2, v25, v2, vcc
	v_cndmask_b32_e32 v4, v22, v4, vcc
	v_lshlrev_b32_sdwa v5, v5, v36 dst_sel:DWORD dst_unused:UNUSED_PAD src0_sel:DWORD src1_sel:BYTE_3
	v_lshlrev_b32_e32 v4, 20, v4
	v_and_b32_e32 v5, 0x80000000, v5
	v_lshl_add_u32 v2, v2, 23, v21
	v_or3_b32 v22, v5, v2, v4
.LBB6_3947:                             ;   in Loop: Header=BB6_3191 Depth=2
	s_or_b64 exec, exec, s[54:55]
.LBB6_3948:                             ;   in Loop: Header=BB6_3191 Depth=2
	s_or_b64 exec, exec, s[52:53]
.LBB6_3949:                             ;   in Loop: Header=BB6_3191 Depth=2
	s_or_b64 exec, exec, s[18:19]
	v_cmp_lt_u64_e32 vcc, s[42:43], v[14:15]
	s_and_saveexec_b64 s[18:19], vcc
	s_cbranch_execz .LBB6_3955
; %bb.3950:                             ;   in Loop: Header=BB6_3191 Depth=2
	v_lshrrev_b32_e32 v2, 24, v15
	v_cmp_ne_u32_e32 vcc, s71, v2
	v_bfrev_b32_e32 v3, 1
	s_and_saveexec_b64 s[52:53], vcc
	s_cbranch_execz .LBB6_3954
; %bb.3951:                             ;   in Loop: Header=BB6_3191 Depth=2
	v_bfe_u32 v14, v15, 24, 7
	v_cmp_ne_u32_e32 vcc, s69, v14
	v_mov_b32_e32 v3, 0x7f800001
	s_and_saveexec_b64 s[54:55], vcc
	s_cbranch_execz .LBB6_3953
; %bb.3952:                             ;   in Loop: Header=BB6_3191 Depth=2
	v_and_b32_e32 v3, 7, v2
	v_ffbh_u32_e32 v4, v3
	v_min_u32_e32 v23, 32, v4
	v_subrev_u32_e32 v4, 28, v23
	v_lshlrev_b64 v[4:5], v4, v[2:3]
	v_lshrrev_b32_e32 v15, 3, v14
	v_sub_u32_e32 v5, 29, v23
	v_and_b32_e32 v4, 7, v4
	v_cmp_gt_u32_e32 vcc, 8, v14
	v_cndmask_b32_e32 v5, v15, v5, vcc
	v_cndmask_b32_e32 v3, v3, v4, vcc
	v_lshlrev_b32_e32 v2, 24, v2
	v_lshlrev_b32_e32 v3, 20, v3
	v_and_b32_e32 v2, 0x80000000, v2
	v_lshl_add_u32 v4, v5, 23, v21
	v_or3_b32 v3, v2, v4, v3
.LBB6_3953:                             ;   in Loop: Header=BB6_3191 Depth=2
	s_or_b64 exec, exec, s[54:55]
.LBB6_3954:                             ;   in Loop: Header=BB6_3191 Depth=2
	s_or_b64 exec, exec, s[52:53]
.LBB6_3955:                             ;   in Loop: Header=BB6_3191 Depth=2
	s_or_b64 exec, exec, s[18:19]
	v_add_f32_e32 v2, v22, v3
	v_and_b32_sdwa v14, v2, s71 dst_sel:DWORD dst_unused:UNUSED_PAD src0_sel:BYTE_3 src1_sel:DWORD
	v_and_b32_e32 v4, 0x7f800000, v2
	v_mov_b32_e32 v5, v37
	v_and_b32_e32 v36, 0x7fffff, v2
	v_or_b32_e32 v15, 0x7e, v14
	v_cmp_ne_u64_e32 vcc, s[38:39], v[4:5]
	s_and_saveexec_b64 s[18:19], vcc
	s_xor_b64 s[52:53], exec, s[18:19]
	s_cbranch_execz .LBB6_3965
; %bb.3956:                             ;   in Loop: Header=BB6_3191 Depth=2
	v_and_b32_e32 v4, 0x7fffffff, v2
	v_mov_b32_e32 v5, v37
	v_cmp_gt_u64_e32 vcc, s[40:41], v[4:5]
	s_and_saveexec_b64 s[54:55], vcc
	s_cbranch_execz .LBB6_3964
; %bb.3957:                             ;   in Loop: Header=BB6_3191 Depth=2
	v_cmp_ne_u32_e32 vcc, 0, v2
	v_mov_b32_e32 v15, 0
	s_and_saveexec_b64 s[56:57], vcc
	s_cbranch_execz .LBB6_3963
; %bb.3958:                             ;   in Loop: Header=BB6_3191 Depth=2
	v_bfe_u32 v2, v2, 23, 8
	v_sub_u32_e32 v4, 0x79, v2
	v_cmp_gt_u32_e32 vcc, s72, v2
	v_add_u32_e32 v3, 0xffffff81, v2
	v_cndmask_b32_e32 v4, 0, v4, vcc
	v_cmp_eq_u32_e32 vcc, 0, v2
	v_mov_b32_e32 v2, 0xffffff82
	v_cndmask_b32_e32 v15, v3, v2, vcc
	v_mov_b32_e32 v2, 0x78
	v_or_b32_e32 v5, 0x800000, v36
	v_cndmask_b32_e32 v22, v4, v2, vcc
	v_cndmask_b32_e32 v36, v5, v36, vcc
	v_add_u32_e32 v2, 20, v22
	v_lshlrev_b64 v[2:3], v2, -1
	v_lshrrev_b64 v[28:29], v22, v[36:37]
	v_not_b32_e32 v3, v3
	v_not_b32_e32 v2, v2
	v_add_u32_e32 v4, 19, v22
	v_lshrrev_b32_e32 v23, 23, v28
	v_and_b32_e32 v3, 0, v3
	v_and_b32_e32 v2, v36, v2
	v_lshlrev_b64 v[4:5], v4, 1
	v_add3_u32 v23, v22, v15, v23
	v_bfe_u32 v15, v28, 20, 1
	v_add_u32_e32 v15, -1, v15
	v_cmp_eq_u64_e32 vcc, v[2:3], v[4:5]
	v_cndmask_b32_e32 v2, 0, v15, vcc
	v_add_u32_e32 v2, v2, v28
	v_and_b32_e32 v2, 0xfffff, v2
	v_add_co_u32_e32 v2, vcc, v2, v28
	v_add_u32_e32 v22, 6, v23
	v_addc_co_u32_e32 v3, vcc, 0, v29, vcc
	v_cmp_ne_u32_e32 vcc, 0, v22
                                        ; implicit-def: $vgpr15
	s_and_saveexec_b64 s[18:19], vcc
	s_xor_b64 s[18:19], exec, s[18:19]
; %bb.3959:                             ;   in Loop: Header=BB6_3191 Depth=2
	v_add_u32_e32 v4, 7, v23
	v_cmp_lt_u64_e32 vcc, s[44:45], v[2:3]
	v_cndmask_b32_e32 v15, v22, v4, vcc
	v_cndmask_b32_e64 v4, 0, 1, vcc
	v_lshrrev_b64 v[2:3], v4, v[2:3]
; %bb.3960:                             ;   in Loop: Header=BB6_3191 Depth=2
	s_andn2_saveexec_b64 s[18:19], s[18:19]
; %bb.3961:                             ;   in Loop: Header=BB6_3191 Depth=2
	v_bfe_u32 v15, v2, 23, 1
; %bb.3962:                             ;   in Loop: Header=BB6_3191 Depth=2
	s_or_b64 exec, exec, s[18:19]
	v_lshrrev_b64 v[2:3], 20, v[2:3]
	v_cmp_gt_i32_e32 vcc, 16, v15
	v_cndmask_b32_e32 v3, 0, v3, vcc
	v_cndmask_b32_e32 v2, 7, v2, vcc
	v_cmp_eq_u64_e64 s[18:19], 0, v[2:3]
	v_min_i32_e32 v3, 15, v15
	v_lshlrev_b32_e32 v3, 3, v3
	v_cmp_eq_u32_e32 vcc, 0, v15
	v_and_b32_e32 v3, 0xf8, v3
	v_and_or_b32 v2, v2, 7, v3
	s_and_b64 s[18:19], vcc, s[18:19]
	v_cndmask_b32_e64 v2, v2, 0, s[18:19]
	v_or_b32_e32 v15, v2, v14
.LBB6_3963:                             ;   in Loop: Header=BB6_3191 Depth=2
	s_or_b64 exec, exec, s[56:57]
.LBB6_3964:                             ;   in Loop: Header=BB6_3191 Depth=2
	s_or_b64 exec, exec, s[54:55]
                                        ; implicit-def: $vgpr2
.LBB6_3965:                             ;   in Loop: Header=BB6_3191 Depth=2
	s_andn2_saveexec_b64 s[18:19], s[52:53]
; %bb.3966:                             ;   in Loop: Header=BB6_3191 Depth=2
	v_or_b32_sdwa v2, v2, s69 dst_sel:DWORD dst_unused:UNUSED_PAD src0_sel:BYTE_3 src1_sel:DWORD
	v_cmp_eq_u64_e32 vcc, 0, v[36:37]
	v_cndmask_b32_e32 v15, v2, v15, vcc
; %bb.3967:                             ;   in Loop: Header=BB6_3191 Depth=2
	s_or_b64 exec, exec, s[18:19]
	v_lshlrev_b32_e32 v14, 8, v31
	v_cmp_ne_u16_sdwa vcc, v8, v37 src0_sel:BYTE_0 src1_sel:DWORD
	v_mov_b32_e32 v2, 0
	v_mov_b32_e32 v3, 0
	s_and_saveexec_b64 s[18:19], vcc
	s_cbranch_execz .LBB6_3973
; %bb.3968:                             ;   in Loop: Header=BB6_3191 Depth=2
	v_cmp_ne_u16_sdwa vcc, v8, s71 src0_sel:BYTE_0 src1_sel:DWORD
	v_bfrev_b32_e32 v3, 1
	s_and_saveexec_b64 s[52:53], vcc
	s_cbranch_execz .LBB6_3972
; %bb.3969:                             ;   in Loop: Header=BB6_3191 Depth=2
	v_and_b32_e32 v22, 0x7f, v8
	v_cmp_ne_u32_e32 vcc, s69, v22
	v_mov_b32_e32 v3, 0x7f800001
	s_and_saveexec_b64 s[54:55], vcc
	s_cbranch_execz .LBB6_3971
; %bb.3970:                             ;   in Loop: Header=BB6_3191 Depth=2
	v_and_b32_e32 v3, 7, v8
	v_ffbh_u32_e32 v3, v3
	v_min_u32_e32 v3, 32, v3
	v_lshrrev_b32_e32 v5, 3, v22
	v_subrev_u32_e32 v23, 28, v3
	v_sub_u32_e32 v3, 29, v3
	v_cmp_gt_u32_e32 vcc, 8, v22
	v_perm_b32 v4, v14, v8, s73
	v_cndmask_b32_e32 v3, v5, v3, vcc
	v_cndmask_b32_e32 v5, 0, v23, vcc
	v_lshlrev_b64 v[4:5], v5, v[4:5]
	v_lshlrev_b32_e32 v4, 20, v4
	v_lshlrev_b32_e32 v5, 24, v8
	v_and_b32_e32 v4, 0x700000, v4
	v_and_b32_e32 v5, 0x80000000, v5
	v_lshl_add_u32 v3, v3, 23, v21
	v_or3_b32 v3, v5, v3, v4
.LBB6_3971:                             ;   in Loop: Header=BB6_3191 Depth=2
	s_or_b64 exec, exec, s[54:55]
.LBB6_3972:                             ;   in Loop: Header=BB6_3191 Depth=2
	s_or_b64 exec, exec, s[52:53]
.LBB6_3973:                             ;   in Loop: Header=BB6_3191 Depth=2
	s_or_b64 exec, exec, s[18:19]
	v_cmp_ne_u16_sdwa vcc, v16, v37 src0_sel:BYTE_0 src1_sel:DWORD
	s_and_saveexec_b64 s[18:19], vcc
	s_cbranch_execz .LBB6_3979
; %bb.3974:                             ;   in Loop: Header=BB6_3191 Depth=2
	v_cmp_ne_u16_sdwa vcc, v16, s71 src0_sel:BYTE_0 src1_sel:DWORD
	v_bfrev_b32_e32 v2, 1
	s_and_saveexec_b64 s[52:53], vcc
	s_cbranch_execz .LBB6_3978
; %bb.3975:                             ;   in Loop: Header=BB6_3191 Depth=2
	v_and_b32_e32 v8, 0x7f, v16
	v_cmp_ne_u32_e32 vcc, s69, v8
	v_mov_b32_e32 v2, 0x7f800001
	s_and_saveexec_b64 s[54:55], vcc
	s_cbranch_execz .LBB6_3977
; %bb.3976:                             ;   in Loop: Header=BB6_3191 Depth=2
	v_and_b32_e32 v2, 7, v16
	v_ffbh_u32_e32 v2, v2
	v_min_u32_e32 v2, 32, v2
	v_lshrrev_b32_e32 v4, 3, v8
	v_subrev_u32_e32 v5, 28, v2
	v_sub_u32_e32 v2, 29, v2
	v_cmp_gt_u32_e32 vcc, 8, v8
	v_cndmask_b32_e32 v2, v4, v2, vcc
	v_cndmask_b32_e32 v4, 0, v5, vcc
	v_lshlrev_b64 v[4:5], v4, v[16:17]
	v_lshlrev_b32_e32 v4, 20, v4
	v_lshlrev_b32_e32 v5, 24, v16
	v_and_b32_e32 v4, 0x700000, v4
	v_and_b32_e32 v5, 0x80000000, v5
	v_lshl_add_u32 v2, v2, 23, v21
	v_or3_b32 v2, v5, v2, v4
.LBB6_3977:                             ;   in Loop: Header=BB6_3191 Depth=2
	s_or_b64 exec, exec, s[54:55]
.LBB6_3978:                             ;   in Loop: Header=BB6_3191 Depth=2
	s_or_b64 exec, exec, s[52:53]
.LBB6_3979:                             ;   in Loop: Header=BB6_3191 Depth=2
	s_or_b64 exec, exec, s[18:19]
	v_add_f32_e32 v2, v3, v2
	v_and_b32_sdwa v22, v2, s71 dst_sel:DWORD dst_unused:UNUSED_PAD src0_sel:BYTE_3 src1_sel:DWORD
	v_and_b32_e32 v4, 0x7f800000, v2
	v_mov_b32_e32 v5, v37
	v_and_b32_e32 v36, 0x7fffff, v2
	v_or_b32_e32 v8, 0x7e, v22
	v_cmp_ne_u64_e32 vcc, s[38:39], v[4:5]
	s_and_saveexec_b64 s[18:19], vcc
	s_xor_b64 s[52:53], exec, s[18:19]
	s_cbranch_execz .LBB6_3989
; %bb.3980:                             ;   in Loop: Header=BB6_3191 Depth=2
	v_and_b32_e32 v4, 0x7fffffff, v2
	v_mov_b32_e32 v5, v37
	v_cmp_gt_u64_e32 vcc, s[40:41], v[4:5]
	s_and_saveexec_b64 s[54:55], vcc
	s_cbranch_execz .LBB6_3988
; %bb.3981:                             ;   in Loop: Header=BB6_3191 Depth=2
	v_cmp_ne_u32_e32 vcc, 0, v2
	v_mov_b32_e32 v8, 0
	s_and_saveexec_b64 s[56:57], vcc
	s_cbranch_execz .LBB6_3987
; %bb.3982:                             ;   in Loop: Header=BB6_3191 Depth=2
	v_bfe_u32 v2, v2, 23, 8
	v_sub_u32_e32 v4, 0x79, v2
	v_cmp_gt_u32_e32 vcc, s72, v2
	v_add_u32_e32 v3, 0xffffff81, v2
	v_cndmask_b32_e32 v4, 0, v4, vcc
	v_cmp_eq_u32_e32 vcc, 0, v2
	v_mov_b32_e32 v2, 0xffffff82
	v_cndmask_b32_e32 v8, v3, v2, vcc
	v_mov_b32_e32 v2, 0x78
	v_or_b32_e32 v5, 0x800000, v36
	v_cndmask_b32_e32 v23, v4, v2, vcc
	v_cndmask_b32_e32 v36, v5, v36, vcc
	v_add_u32_e32 v2, 20, v23
	v_lshlrev_b64 v[2:3], v2, -1
	v_lshrrev_b64 v[28:29], v23, v[36:37]
	v_not_b32_e32 v3, v3
	v_not_b32_e32 v2, v2
	v_add_u32_e32 v4, 19, v23
	v_lshrrev_b32_e32 v25, 23, v28
	v_and_b32_e32 v3, 0, v3
	v_and_b32_e32 v2, v36, v2
	v_lshlrev_b64 v[4:5], v4, 1
	v_add3_u32 v25, v23, v8, v25
	v_bfe_u32 v8, v28, 20, 1
	v_add_u32_e32 v8, -1, v8
	v_cmp_eq_u64_e32 vcc, v[2:3], v[4:5]
	v_cndmask_b32_e32 v2, 0, v8, vcc
	v_add_u32_e32 v2, v2, v28
	v_and_b32_e32 v2, 0xfffff, v2
	v_add_co_u32_e32 v2, vcc, v2, v28
	v_add_u32_e32 v23, 6, v25
	v_addc_co_u32_e32 v3, vcc, 0, v29, vcc
	v_cmp_ne_u32_e32 vcc, 0, v23
                                        ; implicit-def: $vgpr8
	s_and_saveexec_b64 s[18:19], vcc
	s_xor_b64 s[18:19], exec, s[18:19]
; %bb.3983:                             ;   in Loop: Header=BB6_3191 Depth=2
	v_add_u32_e32 v4, 7, v25
	v_cmp_lt_u64_e32 vcc, s[44:45], v[2:3]
	v_cndmask_b32_e32 v8, v23, v4, vcc
	v_cndmask_b32_e64 v4, 0, 1, vcc
	v_lshrrev_b64 v[2:3], v4, v[2:3]
; %bb.3984:                             ;   in Loop: Header=BB6_3191 Depth=2
	s_andn2_saveexec_b64 s[18:19], s[18:19]
; %bb.3985:                             ;   in Loop: Header=BB6_3191 Depth=2
	v_bfe_u32 v8, v2, 23, 1
; %bb.3986:                             ;   in Loop: Header=BB6_3191 Depth=2
	s_or_b64 exec, exec, s[18:19]
	v_lshrrev_b64 v[2:3], 20, v[2:3]
	v_cmp_gt_i32_e32 vcc, 16, v8
	v_cndmask_b32_e32 v3, 0, v3, vcc
	v_cndmask_b32_e32 v2, 7, v2, vcc
	v_cmp_eq_u64_e64 s[18:19], 0, v[2:3]
	v_min_i32_e32 v3, 15, v8
	v_cmp_eq_u32_e32 vcc, 0, v8
	v_lshlrev_b32_e32 v3, 3, v3
	v_and_or_b32 v2, v2, 7, v3
	s_and_b64 s[18:19], vcc, s[18:19]
	v_cndmask_b32_e64 v2, v2, 0, s[18:19]
	v_or_b32_e32 v8, v2, v22
.LBB6_3987:                             ;   in Loop: Header=BB6_3191 Depth=2
	s_or_b64 exec, exec, s[56:57]
.LBB6_3988:                             ;   in Loop: Header=BB6_3191 Depth=2
	s_or_b64 exec, exec, s[54:55]
                                        ; implicit-def: $vgpr2
.LBB6_3989:                             ;   in Loop: Header=BB6_3191 Depth=2
	s_andn2_saveexec_b64 s[18:19], s[52:53]
; %bb.3990:                             ;   in Loop: Header=BB6_3191 Depth=2
	v_or_b32_sdwa v2, v2, s69 dst_sel:DWORD dst_unused:UNUSED_PAD src0_sel:BYTE_3 src1_sel:DWORD
	v_cmp_eq_u64_e32 vcc, 0, v[36:37]
	v_cndmask_b32_e32 v8, v2, v8, vcc
; %bb.3991:                             ;   in Loop: Header=BB6_3191 Depth=2
	s_or_b64 exec, exec, s[18:19]
	v_lshrrev_b16_e32 v2, 8, v14
	v_cmp_ne_u16_e32 vcc, 0, v2
	v_mov_b32_e32 v3, 0
	v_mov_b32_e32 v22, 0
	s_and_saveexec_b64 s[18:19], vcc
	s_cbranch_execz .LBB6_3997
; %bb.3992:                             ;   in Loop: Header=BB6_3191 Depth=2
	v_cmp_ne_u16_e32 vcc, s71, v2
	v_bfrev_b32_e32 v22, 1
	s_and_saveexec_b64 s[52:53], vcc
	s_cbranch_execz .LBB6_3996
; %bb.3993:                             ;   in Loop: Header=BB6_3191 Depth=2
	v_and_b32_e32 v23, 0x7f, v2
	v_cmp_ne_u32_e32 vcc, s69, v23
	v_mov_b32_e32 v22, 0x7f800001
	s_and_saveexec_b64 s[54:55], vcc
	s_cbranch_execz .LBB6_3995
; %bb.3994:                             ;   in Loop: Header=BB6_3191 Depth=2
	v_and_b32_e32 v22, 7, v2
	v_ffbh_u32_e32 v4, v22
	v_min_u32_e32 v28, 32, v4
	v_subrev_u32_e32 v4, 28, v28
	v_lshlrev_b64 v[4:5], v4, v[2:3]
	v_lshrrev_b32_e32 v25, 3, v23
	v_sub_u32_e32 v2, 29, v28
	v_and_b32_e32 v4, 7, v4
	v_cmp_gt_u32_e32 vcc, 8, v23
	v_cndmask_b32_e32 v2, v25, v2, vcc
	v_cndmask_b32_e32 v4, v22, v4, vcc
	v_lshlrev_b32_e32 v5, 16, v14
	v_lshlrev_b32_e32 v4, 20, v4
	v_and_b32_e32 v5, 0x80000000, v5
	v_lshl_add_u32 v2, v2, 23, v21
	v_or3_b32 v22, v5, v2, v4
.LBB6_3995:                             ;   in Loop: Header=BB6_3191 Depth=2
	s_or_b64 exec, exec, s[54:55]
.LBB6_3996:                             ;   in Loop: Header=BB6_3191 Depth=2
	s_or_b64 exec, exec, s[52:53]
.LBB6_3997:                             ;   in Loop: Header=BB6_3191 Depth=2
	s_or_b64 exec, exec, s[18:19]
	v_lshrrev_b16_e32 v2, 8, v16
	v_cmp_ne_u16_e32 vcc, 0, v2
	s_and_saveexec_b64 s[18:19], vcc
	s_cbranch_execz .LBB6_4003
; %bb.3998:                             ;   in Loop: Header=BB6_3191 Depth=2
	v_cmp_ne_u16_e32 vcc, s71, v2
	v_bfrev_b32_e32 v3, 1
	s_and_saveexec_b64 s[52:53], vcc
	s_cbranch_execz .LBB6_4002
; %bb.3999:                             ;   in Loop: Header=BB6_3191 Depth=2
	v_and_b32_e32 v14, 0x7f, v2
	v_cmp_ne_u32_e32 vcc, s69, v14
	v_mov_b32_e32 v3, 0x7f800001
	s_and_saveexec_b64 s[54:55], vcc
	s_cbranch_execz .LBB6_4001
; %bb.4000:                             ;   in Loop: Header=BB6_3191 Depth=2
	v_and_b32_e32 v4, 7, v2
	v_ffbh_u32_e32 v3, v4
	v_min_u32_e32 v23, 32, v3
	v_subrev_u32_e32 v3, 28, v23
	v_lshlrev_b64 v[2:3], v3, v[2:3]
	v_lshrrev_b32_e32 v5, 3, v14
	v_sub_u32_e32 v3, 29, v23
	v_and_b32_e32 v2, 7, v2
	v_cmp_gt_u32_e32 vcc, 8, v14
	v_cndmask_b32_e32 v3, v5, v3, vcc
	v_cndmask_b32_e32 v2, v4, v2, vcc
	v_lshlrev_b32_e32 v4, 16, v16
	v_lshlrev_b32_e32 v2, 20, v2
	v_and_b32_e32 v4, 0x80000000, v4
	v_lshl_add_u32 v3, v3, 23, v21
	v_or3_b32 v3, v4, v3, v2
.LBB6_4001:                             ;   in Loop: Header=BB6_3191 Depth=2
	s_or_b64 exec, exec, s[54:55]
.LBB6_4002:                             ;   in Loop: Header=BB6_3191 Depth=2
	s_or_b64 exec, exec, s[52:53]
.LBB6_4003:                             ;   in Loop: Header=BB6_3191 Depth=2
	s_or_b64 exec, exec, s[18:19]
	v_add_f32_e32 v2, v22, v3
	v_and_b32_sdwa v14, v2, s71 dst_sel:DWORD dst_unused:UNUSED_PAD src0_sel:BYTE_3 src1_sel:DWORD
	v_and_b32_e32 v4, 0x7f800000, v2
	v_mov_b32_e32 v5, v37
	v_and_b32_e32 v36, 0x7fffff, v2
	v_or_b32_e32 v22, 0x7e, v14
	v_cmp_ne_u64_e32 vcc, s[38:39], v[4:5]
	s_and_saveexec_b64 s[18:19], vcc
	s_xor_b64 s[52:53], exec, s[18:19]
	s_cbranch_execz .LBB6_4013
; %bb.4004:                             ;   in Loop: Header=BB6_3191 Depth=2
	v_and_b32_e32 v4, 0x7fffffff, v2
	v_mov_b32_e32 v5, v37
	v_cmp_gt_u64_e32 vcc, s[40:41], v[4:5]
	s_and_saveexec_b64 s[54:55], vcc
	s_cbranch_execz .LBB6_4012
; %bb.4005:                             ;   in Loop: Header=BB6_3191 Depth=2
	v_cmp_ne_u32_e32 vcc, 0, v2
	v_mov_b32_e32 v22, 0
	s_and_saveexec_b64 s[56:57], vcc
	s_cbranch_execz .LBB6_4011
; %bb.4006:                             ;   in Loop: Header=BB6_3191 Depth=2
	v_bfe_u32 v2, v2, 23, 8
	v_sub_u32_e32 v4, 0x79, v2
	v_cmp_gt_u32_e32 vcc, s72, v2
	v_add_u32_e32 v3, 0xffffff81, v2
	v_cndmask_b32_e32 v4, 0, v4, vcc
	v_cmp_eq_u32_e32 vcc, 0, v2
	v_mov_b32_e32 v2, 0xffffff82
	v_cndmask_b32_e32 v22, v3, v2, vcc
	v_mov_b32_e32 v2, 0x78
	v_or_b32_e32 v5, 0x800000, v36
	v_cndmask_b32_e32 v23, v4, v2, vcc
	v_cndmask_b32_e32 v36, v5, v36, vcc
	v_add_u32_e32 v2, 20, v23
	v_lshlrev_b64 v[2:3], v2, -1
	v_lshrrev_b64 v[28:29], v23, v[36:37]
	v_not_b32_e32 v3, v3
	v_not_b32_e32 v2, v2
	v_add_u32_e32 v4, 19, v23
	v_lshrrev_b32_e32 v25, 23, v28
	v_and_b32_e32 v3, 0, v3
	v_and_b32_e32 v2, v36, v2
	v_lshlrev_b64 v[4:5], v4, 1
	v_add3_u32 v25, v23, v22, v25
	v_bfe_u32 v22, v28, 20, 1
	v_add_u32_e32 v22, -1, v22
	v_cmp_eq_u64_e32 vcc, v[2:3], v[4:5]
	v_cndmask_b32_e32 v2, 0, v22, vcc
	v_add_u32_e32 v2, v2, v28
	v_and_b32_e32 v2, 0xfffff, v2
	v_add_co_u32_e32 v2, vcc, v2, v28
	v_add_u32_e32 v23, 6, v25
	v_addc_co_u32_e32 v3, vcc, 0, v29, vcc
	v_cmp_ne_u32_e32 vcc, 0, v23
                                        ; implicit-def: $vgpr22
	s_and_saveexec_b64 s[18:19], vcc
	s_xor_b64 s[18:19], exec, s[18:19]
; %bb.4007:                             ;   in Loop: Header=BB6_3191 Depth=2
	v_add_u32_e32 v4, 7, v25
	v_cmp_lt_u64_e32 vcc, s[44:45], v[2:3]
	v_cndmask_b32_e32 v22, v23, v4, vcc
	v_cndmask_b32_e64 v4, 0, 1, vcc
	v_lshrrev_b64 v[2:3], v4, v[2:3]
; %bb.4008:                             ;   in Loop: Header=BB6_3191 Depth=2
	s_andn2_saveexec_b64 s[18:19], s[18:19]
; %bb.4009:                             ;   in Loop: Header=BB6_3191 Depth=2
	v_bfe_u32 v22, v2, 23, 1
; %bb.4010:                             ;   in Loop: Header=BB6_3191 Depth=2
	s_or_b64 exec, exec, s[18:19]
	v_lshrrev_b64 v[2:3], 20, v[2:3]
	v_cmp_gt_i32_e32 vcc, 16, v22
	v_cndmask_b32_e32 v3, 0, v3, vcc
	v_cndmask_b32_e32 v2, 7, v2, vcc
	v_cmp_eq_u64_e64 s[18:19], 0, v[2:3]
	v_min_i32_e32 v3, 15, v22
	v_cmp_eq_u32_e32 vcc, 0, v22
	v_lshlrev_b32_e32 v3, 3, v3
	v_and_or_b32 v2, v2, 7, v3
	s_and_b64 s[18:19], vcc, s[18:19]
	v_cndmask_b32_e64 v2, v2, 0, s[18:19]
	v_or_b32_e32 v22, v2, v14
.LBB6_4011:                             ;   in Loop: Header=BB6_3191 Depth=2
	s_or_b64 exec, exec, s[56:57]
.LBB6_4012:                             ;   in Loop: Header=BB6_3191 Depth=2
	s_or_b64 exec, exec, s[54:55]
                                        ; implicit-def: $vgpr2
.LBB6_4013:                             ;   in Loop: Header=BB6_3191 Depth=2
	s_andn2_saveexec_b64 s[18:19], s[52:53]
; %bb.4014:                             ;   in Loop: Header=BB6_3191 Depth=2
	v_or_b32_sdwa v2, v2, s69 dst_sel:DWORD dst_unused:UNUSED_PAD src0_sel:BYTE_3 src1_sel:DWORD
	v_cmp_eq_u64_e32 vcc, 0, v[36:37]
	v_cndmask_b32_e32 v22, v2, v22, vcc
; %bb.4015:                             ;   in Loop: Header=BB6_3191 Depth=2
	s_or_b64 exec, exec, s[18:19]
	v_cmp_ne_u16_sdwa vcc, v58, v37 src0_sel:BYTE_0 src1_sel:DWORD
	v_mov_b32_e32 v3, 0
	v_mov_b32_e32 v14, 0
	s_and_saveexec_b64 s[18:19], vcc
	s_cbranch_execz .LBB6_4021
; %bb.4016:                             ;   in Loop: Header=BB6_3191 Depth=2
	v_cmp_ne_u16_sdwa vcc, v58, s71 src0_sel:BYTE_0 src1_sel:DWORD
	v_bfrev_b32_e32 v14, 1
	s_and_saveexec_b64 s[52:53], vcc
	s_cbranch_execz .LBB6_4020
; %bb.4017:                             ;   in Loop: Header=BB6_3191 Depth=2
	v_and_b32_e32 v2, 0x7f, v58
	v_cmp_ne_u32_e32 vcc, s69, v2
	v_mov_b32_e32 v14, 0x7f800001
	s_and_saveexec_b64 s[54:55], vcc
	s_cbranch_execz .LBB6_4019
; %bb.4018:                             ;   in Loop: Header=BB6_3191 Depth=2
	v_and_b32_e32 v14, 7, v58
	v_ffbh_u32_e32 v4, v14
	v_min_u32_e32 v25, 32, v4
	v_subrev_u32_e32 v4, 28, v25
	v_lshlrev_b64 v[4:5], v4, v[58:59]
	v_lshrrev_b32_e32 v23, 3, v2
	v_sub_u32_e32 v5, 29, v25
	v_and_b32_e32 v4, 7, v4
	v_cmp_gt_u32_e32 vcc, 8, v2
	v_cndmask_b32_e32 v2, v23, v5, vcc
	v_cndmask_b32_e32 v4, v14, v4, vcc
	v_lshlrev_b32_e32 v5, 24, v58
	v_lshlrev_b32_e32 v4, 20, v4
	v_and_b32_e32 v5, 0x80000000, v5
	v_lshl_add_u32 v2, v2, 23, v21
	v_or3_b32 v14, v5, v2, v4
.LBB6_4019:                             ;   in Loop: Header=BB6_3191 Depth=2
	s_or_b64 exec, exec, s[54:55]
.LBB6_4020:                             ;   in Loop: Header=BB6_3191 Depth=2
	s_or_b64 exec, exec, s[52:53]
.LBB6_4021:                             ;   in Loop: Header=BB6_3191 Depth=2
	s_or_b64 exec, exec, s[18:19]
	v_lshrrev_b32_e32 v2, 16, v16
	v_cmp_ne_u16_sdwa vcc, v2, v37 src0_sel:BYTE_0 src1_sel:DWORD
	s_and_saveexec_b64 s[18:19], vcc
	s_cbranch_execz .LBB6_4027
; %bb.4022:                             ;   in Loop: Header=BB6_3191 Depth=2
	v_cmp_ne_u16_sdwa vcc, v2, s71 src0_sel:BYTE_0 src1_sel:DWORD
	v_bfrev_b32_e32 v3, 1
	s_and_saveexec_b64 s[52:53], vcc
	s_cbranch_execz .LBB6_4026
; %bb.4023:                             ;   in Loop: Header=BB6_3191 Depth=2
	v_bfe_u32 v23, v16, 16, 7
	v_cmp_ne_u32_e32 vcc, s69, v23
	v_mov_b32_e32 v3, 0x7f800001
	s_and_saveexec_b64 s[54:55], vcc
	s_cbranch_execz .LBB6_4025
; %bb.4024:                             ;   in Loop: Header=BB6_3191 Depth=2
	v_and_b32_e32 v4, 7, v2
	v_ffbh_u32_e32 v3, v4
	v_min_u32_e32 v25, 32, v3
	v_subrev_u32_e32 v3, 28, v25
	v_lshlrev_b64 v[2:3], v3, v[2:3]
	v_lshrrev_b32_e32 v5, 3, v23
	v_sub_u32_e32 v3, 29, v25
	v_and_b32_e32 v2, 7, v2
	v_cmp_gt_u32_e32 vcc, 8, v23
	v_cndmask_b32_e32 v3, v5, v3, vcc
	v_cndmask_b32_e32 v2, v4, v2, vcc
	v_lshlrev_b32_e32 v4, 8, v16
	v_lshlrev_b32_e32 v2, 20, v2
	v_and_b32_e32 v4, 0x80000000, v4
	v_lshl_add_u32 v3, v3, 23, v21
	v_or3_b32 v3, v4, v3, v2
.LBB6_4025:                             ;   in Loop: Header=BB6_3191 Depth=2
	s_or_b64 exec, exec, s[54:55]
.LBB6_4026:                             ;   in Loop: Header=BB6_3191 Depth=2
	s_or_b64 exec, exec, s[52:53]
.LBB6_4027:                             ;   in Loop: Header=BB6_3191 Depth=2
	s_or_b64 exec, exec, s[18:19]
	v_add_f32_e32 v2, v14, v3
	v_and_b32_sdwa v14, v2, s71 dst_sel:DWORD dst_unused:UNUSED_PAD src0_sel:BYTE_3 src1_sel:DWORD
	v_and_b32_e32 v4, 0x7f800000, v2
	v_mov_b32_e32 v5, v37
	v_and_b32_e32 v36, 0x7fffff, v2
	v_or_b32_e32 v23, 0x7e, v14
	v_cmp_ne_u64_e32 vcc, s[38:39], v[4:5]
	s_and_saveexec_b64 s[18:19], vcc
	s_xor_b64 s[52:53], exec, s[18:19]
	s_cbranch_execz .LBB6_4037
; %bb.4028:                             ;   in Loop: Header=BB6_3191 Depth=2
	v_and_b32_e32 v4, 0x7fffffff, v2
	v_mov_b32_e32 v5, v37
	v_cmp_gt_u64_e32 vcc, s[40:41], v[4:5]
	s_and_saveexec_b64 s[54:55], vcc
	s_cbranch_execz .LBB6_4036
; %bb.4029:                             ;   in Loop: Header=BB6_3191 Depth=2
	v_cmp_ne_u32_e32 vcc, 0, v2
	v_mov_b32_e32 v23, 0
	s_and_saveexec_b64 s[56:57], vcc
	s_cbranch_execz .LBB6_4035
; %bb.4030:                             ;   in Loop: Header=BB6_3191 Depth=2
	v_bfe_u32 v2, v2, 23, 8
	v_sub_u32_e32 v4, 0x79, v2
	v_cmp_gt_u32_e32 vcc, s72, v2
	v_add_u32_e32 v3, 0xffffff81, v2
	v_cndmask_b32_e32 v4, 0, v4, vcc
	v_cmp_eq_u32_e32 vcc, 0, v2
	v_mov_b32_e32 v2, 0xffffff82
	v_cndmask_b32_e32 v23, v3, v2, vcc
	v_mov_b32_e32 v2, 0x78
	v_or_b32_e32 v5, 0x800000, v36
	v_cndmask_b32_e32 v25, v4, v2, vcc
	v_cndmask_b32_e32 v36, v5, v36, vcc
	v_add_u32_e32 v2, 20, v25
	v_lshlrev_b64 v[2:3], v2, -1
	v_lshrrev_b64 v[50:51], v25, v[36:37]
	v_not_b32_e32 v3, v3
	v_not_b32_e32 v2, v2
	v_add_u32_e32 v4, 19, v25
	v_lshrrev_b32_e32 v28, 23, v50
	v_and_b32_e32 v3, 0, v3
	v_and_b32_e32 v2, v36, v2
	v_lshlrev_b64 v[4:5], v4, 1
	v_add3_u32 v28, v25, v23, v28
	v_bfe_u32 v23, v50, 20, 1
	v_add_u32_e32 v23, -1, v23
	v_cmp_eq_u64_e32 vcc, v[2:3], v[4:5]
	v_cndmask_b32_e32 v2, 0, v23, vcc
	v_add_u32_e32 v2, v2, v50
	v_and_b32_e32 v2, 0xfffff, v2
	v_add_co_u32_e32 v2, vcc, v2, v50
	v_add_u32_e32 v25, 6, v28
	v_addc_co_u32_e32 v3, vcc, 0, v51, vcc
	v_cmp_ne_u32_e32 vcc, 0, v25
                                        ; implicit-def: $vgpr23
	s_and_saveexec_b64 s[18:19], vcc
	s_xor_b64 s[18:19], exec, s[18:19]
; %bb.4031:                             ;   in Loop: Header=BB6_3191 Depth=2
	v_add_u32_e32 v4, 7, v28
	v_cmp_lt_u64_e32 vcc, s[44:45], v[2:3]
	v_cndmask_b32_e32 v23, v25, v4, vcc
	v_cndmask_b32_e64 v4, 0, 1, vcc
	v_lshrrev_b64 v[2:3], v4, v[2:3]
; %bb.4032:                             ;   in Loop: Header=BB6_3191 Depth=2
	s_andn2_saveexec_b64 s[18:19], s[18:19]
; %bb.4033:                             ;   in Loop: Header=BB6_3191 Depth=2
	v_bfe_u32 v23, v2, 23, 1
; %bb.4034:                             ;   in Loop: Header=BB6_3191 Depth=2
	s_or_b64 exec, exec, s[18:19]
	v_lshrrev_b64 v[2:3], 20, v[2:3]
	v_cmp_gt_i32_e32 vcc, 16, v23
	v_cndmask_b32_e32 v3, 0, v3, vcc
	v_cndmask_b32_e32 v2, 7, v2, vcc
	v_cmp_eq_u64_e64 s[18:19], 0, v[2:3]
	v_min_i32_e32 v3, 15, v23
	v_cmp_eq_u32_e32 vcc, 0, v23
	v_lshlrev_b32_e32 v3, 3, v3
	v_and_or_b32 v2, v2, 7, v3
	s_and_b64 s[18:19], vcc, s[18:19]
	v_cndmask_b32_e64 v2, v2, 0, s[18:19]
	v_or_b32_e32 v23, v2, v14
.LBB6_4035:                             ;   in Loop: Header=BB6_3191 Depth=2
	s_or_b64 exec, exec, s[56:57]
.LBB6_4036:                             ;   in Loop: Header=BB6_3191 Depth=2
	s_or_b64 exec, exec, s[54:55]
                                        ; implicit-def: $vgpr2
.LBB6_4037:                             ;   in Loop: Header=BB6_3191 Depth=2
	s_andn2_saveexec_b64 s[18:19], s[52:53]
; %bb.4038:                             ;   in Loop: Header=BB6_3191 Depth=2
	v_or_b32_sdwa v2, v2, s69 dst_sel:DWORD dst_unused:UNUSED_PAD src0_sel:BYTE_3 src1_sel:DWORD
	v_cmp_eq_u64_e32 vcc, 0, v[36:37]
	v_cndmask_b32_e32 v23, v2, v23, vcc
; %bb.4039:                             ;   in Loop: Header=BB6_3191 Depth=2
	s_or_b64 exec, exec, s[18:19]
	v_lshlrev_b32_e32 v2, 8, v7
	v_and_b32_e32 v2, 0xff00, v2
	v_cmp_ne_u32_e32 vcc, 0, v2
	v_mov_b32_e32 v3, 0
	v_mov_b32_e32 v7, 0
	s_and_saveexec_b64 s[18:19], vcc
	s_cbranch_execz .LBB6_4045
; %bb.4040:                             ;   in Loop: Header=BB6_3191 Depth=2
	v_cmp_ne_u32_e32 vcc, s74, v2
	v_bfrev_b32_e32 v7, 1
	s_and_saveexec_b64 s[52:53], vcc
	s_cbranch_execz .LBB6_4044
; %bb.4041:                             ;   in Loop: Header=BB6_3191 Depth=2
	v_bfe_u32 v14, v2, 8, 7
	v_cmp_ne_u32_e32 vcc, s69, v14
	v_mov_b32_e32 v7, 0x7f800001
	s_and_saveexec_b64 s[54:55], vcc
	s_cbranch_execz .LBB6_4043
; %bb.4042:                             ;   in Loop: Header=BB6_3191 Depth=2
	v_lshrrev_b32_e32 v4, 8, v2
	v_and_b32_e32 v7, 7, v4
	v_ffbh_u32_e32 v5, v7
	v_min_u32_e32 v28, 32, v5
	v_subrev_u32_e32 v5, 28, v28
	v_lshlrev_b64 v[4:5], v5, v[4:5]
	v_lshrrev_b32_e32 v25, 3, v14
	v_sub_u32_e32 v5, 29, v28
	v_and_b32_e32 v4, 7, v4
	v_cmp_gt_u32_e32 vcc, 8, v14
	v_cndmask_b32_e32 v5, v25, v5, vcc
	v_cndmask_b32_e32 v4, v7, v4, vcc
	v_lshlrev_b32_e32 v2, 16, v2
	v_lshlrev_b32_e32 v4, 20, v4
	v_and_b32_e32 v2, 0x80000000, v2
	v_lshl_add_u32 v5, v5, 23, v21
	v_or3_b32 v7, v2, v5, v4
.LBB6_4043:                             ;   in Loop: Header=BB6_3191 Depth=2
	s_or_b64 exec, exec, s[54:55]
.LBB6_4044:                             ;   in Loop: Header=BB6_3191 Depth=2
	s_or_b64 exec, exec, s[52:53]
.LBB6_4045:                             ;   in Loop: Header=BB6_3191 Depth=2
	s_or_b64 exec, exec, s[18:19]
	v_cmp_lt_u32_e32 vcc, s43, v16
	s_and_saveexec_b64 s[18:19], vcc
	s_cbranch_execz .LBB6_4051
; %bb.4046:                             ;   in Loop: Header=BB6_3191 Depth=2
	v_lshrrev_b32_e32 v2, 24, v16
	v_cmp_ne_u32_e32 vcc, s71, v2
	v_bfrev_b32_e32 v3, 1
	s_and_saveexec_b64 s[52:53], vcc
	s_cbranch_execz .LBB6_4050
; %bb.4047:                             ;   in Loop: Header=BB6_3191 Depth=2
	v_bfe_u32 v14, v16, 24, 7
	v_cmp_ne_u32_e32 vcc, s69, v14
	v_mov_b32_e32 v3, 0x7f800001
	s_and_saveexec_b64 s[54:55], vcc
	s_cbranch_execz .LBB6_4049
; %bb.4048:                             ;   in Loop: Header=BB6_3191 Depth=2
	v_and_b32_e32 v3, 7, v2
	v_ffbh_u32_e32 v4, v3
	v_min_u32_e32 v28, 32, v4
	v_subrev_u32_e32 v4, 28, v28
	v_lshlrev_b64 v[4:5], v4, v[2:3]
	v_lshrrev_b32_e32 v25, 3, v14
	v_sub_u32_e32 v5, 29, v28
	v_and_b32_e32 v4, 7, v4
	v_cmp_gt_u32_e32 vcc, 8, v14
	v_cndmask_b32_e32 v5, v25, v5, vcc
	v_cndmask_b32_e32 v3, v3, v4, vcc
	v_lshlrev_b32_e32 v2, 24, v2
	v_lshlrev_b32_e32 v3, 20, v3
	v_and_b32_e32 v2, 0x80000000, v2
	v_lshl_add_u32 v4, v5, 23, v21
	v_or3_b32 v3, v2, v4, v3
.LBB6_4049:                             ;   in Loop: Header=BB6_3191 Depth=2
	s_or_b64 exec, exec, s[54:55]
.LBB6_4050:                             ;   in Loop: Header=BB6_3191 Depth=2
	s_or_b64 exec, exec, s[52:53]
.LBB6_4051:                             ;   in Loop: Header=BB6_3191 Depth=2
	s_or_b64 exec, exec, s[18:19]
	v_add_f32_e32 v2, v7, v3
	v_and_b32_sdwa v14, v2, s71 dst_sel:DWORD dst_unused:UNUSED_PAD src0_sel:BYTE_3 src1_sel:DWORD
	v_and_b32_e32 v4, 0x7f800000, v2
	v_mov_b32_e32 v5, v37
	v_and_b32_e32 v36, 0x7fffff, v2
	v_or_b32_e32 v7, 0x7e, v14
	v_cmp_ne_u64_e32 vcc, s[38:39], v[4:5]
	s_and_saveexec_b64 s[18:19], vcc
	s_xor_b64 s[52:53], exec, s[18:19]
	s_cbranch_execz .LBB6_4061
; %bb.4052:                             ;   in Loop: Header=BB6_3191 Depth=2
	v_and_b32_e32 v4, 0x7fffffff, v2
	v_mov_b32_e32 v5, v37
	v_cmp_gt_u64_e32 vcc, s[40:41], v[4:5]
	s_and_saveexec_b64 s[54:55], vcc
	s_cbranch_execz .LBB6_4060
; %bb.4053:                             ;   in Loop: Header=BB6_3191 Depth=2
	v_cmp_ne_u32_e32 vcc, 0, v2
	v_mov_b32_e32 v7, 0
	s_and_saveexec_b64 s[56:57], vcc
	s_cbranch_execz .LBB6_4059
; %bb.4054:                             ;   in Loop: Header=BB6_3191 Depth=2
	v_bfe_u32 v2, v2, 23, 8
	v_sub_u32_e32 v4, 0x79, v2
	v_cmp_gt_u32_e32 vcc, s72, v2
	v_add_u32_e32 v3, 0xffffff81, v2
	v_cndmask_b32_e32 v4, 0, v4, vcc
	v_cmp_eq_u32_e32 vcc, 0, v2
	v_mov_b32_e32 v2, 0xffffff82
	v_cndmask_b32_e32 v7, v3, v2, vcc
	v_mov_b32_e32 v2, 0x78
	v_or_b32_e32 v5, 0x800000, v36
	v_cndmask_b32_e32 v25, v4, v2, vcc
	v_cndmask_b32_e32 v36, v5, v36, vcc
	v_add_u32_e32 v2, 20, v25
	v_lshlrev_b64 v[2:3], v2, -1
	v_lshrrev_b64 v[50:51], v25, v[36:37]
	v_not_b32_e32 v3, v3
	v_not_b32_e32 v2, v2
	v_add_u32_e32 v4, 19, v25
	v_lshrrev_b32_e32 v28, 23, v50
	v_and_b32_e32 v3, 0, v3
	v_and_b32_e32 v2, v36, v2
	v_lshlrev_b64 v[4:5], v4, 1
	v_add3_u32 v28, v25, v7, v28
	v_bfe_u32 v7, v50, 20, 1
	v_add_u32_e32 v7, -1, v7
	v_cmp_eq_u64_e32 vcc, v[2:3], v[4:5]
	v_cndmask_b32_e32 v2, 0, v7, vcc
	v_add_u32_e32 v2, v2, v50
	v_and_b32_e32 v2, 0xfffff, v2
	v_add_co_u32_e32 v2, vcc, v2, v50
	v_add_u32_e32 v25, 6, v28
	v_addc_co_u32_e32 v3, vcc, 0, v51, vcc
	v_cmp_ne_u32_e32 vcc, 0, v25
                                        ; implicit-def: $vgpr7
	s_and_saveexec_b64 s[18:19], vcc
	s_xor_b64 s[18:19], exec, s[18:19]
; %bb.4055:                             ;   in Loop: Header=BB6_3191 Depth=2
	v_add_u32_e32 v4, 7, v28
	v_cmp_lt_u64_e32 vcc, s[44:45], v[2:3]
	v_cndmask_b32_e32 v7, v25, v4, vcc
	v_cndmask_b32_e64 v4, 0, 1, vcc
	v_lshrrev_b64 v[2:3], v4, v[2:3]
; %bb.4056:                             ;   in Loop: Header=BB6_3191 Depth=2
	s_andn2_saveexec_b64 s[18:19], s[18:19]
; %bb.4057:                             ;   in Loop: Header=BB6_3191 Depth=2
	v_bfe_u32 v7, v2, 23, 1
; %bb.4058:                             ;   in Loop: Header=BB6_3191 Depth=2
	s_or_b64 exec, exec, s[18:19]
	v_lshrrev_b64 v[2:3], 20, v[2:3]
	v_cmp_gt_i32_e32 vcc, 16, v7
	v_cndmask_b32_e32 v3, 0, v3, vcc
	v_cndmask_b32_e32 v2, 7, v2, vcc
	v_cmp_eq_u64_e64 s[18:19], 0, v[2:3]
	v_min_i32_e32 v3, 15, v7
	v_cmp_eq_u32_e32 vcc, 0, v7
	v_lshlrev_b32_e32 v3, 3, v3
	v_and_or_b32 v2, v2, 7, v3
	s_and_b64 s[18:19], vcc, s[18:19]
	v_cndmask_b32_e64 v2, v2, 0, s[18:19]
	v_or_b32_e32 v7, v2, v14
.LBB6_4059:                             ;   in Loop: Header=BB6_3191 Depth=2
	s_or_b64 exec, exec, s[56:57]
.LBB6_4060:                             ;   in Loop: Header=BB6_3191 Depth=2
	s_or_b64 exec, exec, s[54:55]
                                        ; implicit-def: $vgpr2
.LBB6_4061:                             ;   in Loop: Header=BB6_3191 Depth=2
	s_andn2_saveexec_b64 s[18:19], s[52:53]
; %bb.4062:                             ;   in Loop: Header=BB6_3191 Depth=2
	v_or_b32_sdwa v2, v2, s69 dst_sel:DWORD dst_unused:UNUSED_PAD src0_sel:BYTE_3 src1_sel:DWORD
	v_cmp_eq_u64_e32 vcc, 0, v[36:37]
	v_cndmask_b32_e32 v7, v2, v7, vcc
; %bb.4063:                             ;   in Loop: Header=BB6_3191 Depth=2
	s_or_b64 exec, exec, s[18:19]
	v_lshlrev_b32_e32 v14, 8, v52
	v_lshlrev_b32_e32 v2, 24, v54
	v_perm_b32 v3, v47, v39, s75
	v_or3_b32 v36, v3, v2, v14
	v_cmp_ne_u16_sdwa vcc, v39, v37 src0_sel:BYTE_0 src1_sel:DWORD
	v_mov_b32_e32 v3, 0
	v_mov_b32_e32 v2, 0
	s_and_saveexec_b64 s[18:19], vcc
	s_cbranch_execz .LBB6_4069
; %bb.4064:                             ;   in Loop: Header=BB6_3191 Depth=2
	v_cmp_ne_u16_sdwa vcc, v39, s71 src0_sel:BYTE_0 src1_sel:DWORD
	v_bfrev_b32_e32 v2, 1
	s_and_saveexec_b64 s[52:53], vcc
	s_cbranch_execz .LBB6_4068
; %bb.4065:                             ;   in Loop: Header=BB6_3191 Depth=2
	v_and_b32_e32 v25, 0x7f, v39
	v_cmp_ne_u32_e32 vcc, s69, v25
	v_mov_b32_e32 v2, 0x7f800001
	s_and_saveexec_b64 s[54:55], vcc
	s_cbranch_execz .LBB6_4067
; %bb.4066:                             ;   in Loop: Header=BB6_3191 Depth=2
	v_and_b32_e32 v2, 7, v39
	v_ffbh_u32_e32 v2, v2
	v_min_u32_e32 v2, 32, v2
	v_lshrrev_b32_e32 v4, 3, v25
	v_subrev_u32_e32 v5, 28, v2
	v_sub_u32_e32 v2, 29, v2
	v_cmp_gt_u32_e32 vcc, 8, v25
	v_cndmask_b32_e32 v2, v4, v2, vcc
	v_cndmask_b32_e32 v4, 0, v5, vcc
	v_lshlrev_b64 v[4:5], v4, v[36:37]
	v_lshlrev_b32_e32 v4, 20, v4
	v_lshlrev_b32_e32 v5, 24, v36
	v_and_b32_e32 v4, 0x700000, v4
	v_and_b32_e32 v5, 0x80000000, v5
	v_lshl_add_u32 v2, v2, 23, v21
	v_or3_b32 v2, v5, v2, v4
.LBB6_4067:                             ;   in Loop: Header=BB6_3191 Depth=2
	s_or_b64 exec, exec, s[54:55]
.LBB6_4068:                             ;   in Loop: Header=BB6_3191 Depth=2
	s_or_b64 exec, exec, s[52:53]
.LBB6_4069:                             ;   in Loop: Header=BB6_3191 Depth=2
	s_or_b64 exec, exec, s[18:19]
	v_cmp_ne_u16_sdwa vcc, v17, v37 src0_sel:BYTE_0 src1_sel:DWORD
	s_and_saveexec_b64 s[18:19], vcc
	s_cbranch_execz .LBB6_4075
; %bb.4070:                             ;   in Loop: Header=BB6_3191 Depth=2
	v_cmp_ne_u16_sdwa vcc, v17, s71 src0_sel:BYTE_0 src1_sel:DWORD
	v_bfrev_b32_e32 v3, 1
	s_and_saveexec_b64 s[52:53], vcc
	s_cbranch_execz .LBB6_4074
; %bb.4071:                             ;   in Loop: Header=BB6_3191 Depth=2
	v_and_b32_e32 v25, 0x7f, v17
	v_cmp_ne_u32_e32 vcc, s69, v25
	v_mov_b32_e32 v3, 0x7f800001
	s_and_saveexec_b64 s[54:55], vcc
	s_cbranch_execz .LBB6_4073
; %bb.4072:                             ;   in Loop: Header=BB6_3191 Depth=2
	v_and_b32_e32 v3, 7, v17
	v_ffbh_u32_e32 v3, v3
	v_min_u32_e32 v3, 32, v3
	v_subrev_u32_e32 v29, 28, v3
	v_cmp_gt_u32_e32 vcc, 8, v25
	v_mov_b32_e32 v4, v17
	v_mov_b32_e32 v5, v37
	v_lshrrev_b32_e32 v28, 3, v25
	v_sub_u32_e32 v3, 29, v3
	v_cndmask_b32_e32 v25, 0, v29, vcc
	v_cndmask_b32_e32 v3, v28, v3, vcc
	v_lshlrev_b64 v[28:29], v25, v[4:5]
	v_lshlrev_b32_e32 v5, 20, v28
	v_lshlrev_b32_e32 v4, 24, v4
	v_and_b32_e32 v5, 0x700000, v5
	v_and_b32_e32 v4, 0x80000000, v4
	v_lshl_add_u32 v3, v3, 23, v21
	v_or3_b32 v3, v4, v3, v5
.LBB6_4073:                             ;   in Loop: Header=BB6_3191 Depth=2
	s_or_b64 exec, exec, s[54:55]
.LBB6_4074:                             ;   in Loop: Header=BB6_3191 Depth=2
	s_or_b64 exec, exec, s[52:53]
.LBB6_4075:                             ;   in Loop: Header=BB6_3191 Depth=2
	s_or_b64 exec, exec, s[18:19]
	v_add_f32_e32 v29, v2, v3
	v_and_b32_sdwa v28, v29, s71 dst_sel:DWORD dst_unused:UNUSED_PAD src0_sel:BYTE_3 src1_sel:DWORD
	v_and_b32_e32 v4, 0x7f800000, v29
	v_mov_b32_e32 v5, v37
	v_and_b32_e32 v2, 0x7fffff, v29
	v_mov_b32_e32 v3, v37
	v_or_b32_e32 v25, 0x7e, v28
	v_cmp_ne_u64_e32 vcc, s[38:39], v[4:5]
	s_and_saveexec_b64 s[18:19], vcc
	s_xor_b64 s[52:53], exec, s[18:19]
	s_cbranch_execz .LBB6_4085
; %bb.4076:                             ;   in Loop: Header=BB6_3191 Depth=2
	v_and_b32_e32 v4, 0x7fffffff, v29
	v_mov_b32_e32 v5, v37
	v_cmp_gt_u64_e32 vcc, s[40:41], v[4:5]
	s_and_saveexec_b64 s[54:55], vcc
	s_cbranch_execz .LBB6_4084
; %bb.4077:                             ;   in Loop: Header=BB6_3191 Depth=2
	v_cmp_ne_u32_e32 vcc, 0, v29
	v_mov_b32_e32 v25, 0
	s_and_saveexec_b64 s[56:57], vcc
	s_cbranch_execz .LBB6_4083
; %bb.4078:                             ;   in Loop: Header=BB6_3191 Depth=2
	v_bfe_u32 v4, v29, 23, 8
	v_sub_u32_e32 v25, 0x79, v4
	v_cmp_gt_u32_e32 vcc, s72, v4
	v_add_u32_e32 v5, 0xffffff81, v4
	v_cndmask_b32_e32 v25, 0, v25, vcc
	v_cmp_eq_u32_e32 vcc, 0, v4
	v_mov_b32_e32 v4, 0xffffff82
	v_cndmask_b32_e32 v31, v5, v4, vcc
	v_mov_b32_e32 v4, 0x78
	v_cndmask_b32_e32 v25, v25, v4, vcc
	v_add_u32_e32 v4, 20, v25
	v_or_b32_e32 v29, 0x800000, v2
	v_lshlrev_b64 v[4:5], v4, -1
	v_cndmask_b32_e32 v2, v29, v2, vcc
	v_not_b32_e32 v4, v4
	v_and_b32_e32 v4, v2, v4
	v_add_u32_e32 v29, 19, v25
	v_lshrrev_b64 v[2:3], v25, v[2:3]
	v_not_b32_e32 v5, v5
	v_lshlrev_b64 v[50:51], v29, 1
	v_lshrrev_b32_e32 v29, 23, v2
	v_and_b32_e32 v5, 0, v5
	v_add3_u32 v31, v25, v31, v29
	v_bfe_u32 v25, v2, 20, 1
	v_add_u32_e32 v25, -1, v25
	v_cmp_eq_u64_e32 vcc, v[4:5], v[50:51]
	v_cndmask_b32_e32 v4, 0, v25, vcc
	v_add_u32_e32 v4, v4, v2
	v_and_b32_e32 v4, 0xfffff, v4
	v_add_co_u32_e32 v2, vcc, v4, v2
	v_add_u32_e32 v29, 6, v31
	v_addc_co_u32_e32 v3, vcc, 0, v3, vcc
	v_cmp_ne_u32_e32 vcc, 0, v29
                                        ; implicit-def: $vgpr25
	s_and_saveexec_b64 s[18:19], vcc
	s_xor_b64 s[18:19], exec, s[18:19]
; %bb.4079:                             ;   in Loop: Header=BB6_3191 Depth=2
	v_add_u32_e32 v4, 7, v31
	v_cmp_lt_u64_e32 vcc, s[44:45], v[2:3]
	v_cndmask_b32_e32 v25, v29, v4, vcc
	v_cndmask_b32_e64 v4, 0, 1, vcc
	v_lshrrev_b64 v[2:3], v4, v[2:3]
; %bb.4080:                             ;   in Loop: Header=BB6_3191 Depth=2
	s_andn2_saveexec_b64 s[18:19], s[18:19]
; %bb.4081:                             ;   in Loop: Header=BB6_3191 Depth=2
	v_bfe_u32 v25, v2, 23, 1
; %bb.4082:                             ;   in Loop: Header=BB6_3191 Depth=2
	s_or_b64 exec, exec, s[18:19]
	v_lshrrev_b64 v[2:3], 20, v[2:3]
	v_cmp_gt_i32_e32 vcc, 16, v25
	v_cndmask_b32_e32 v3, 0, v3, vcc
	v_cndmask_b32_e32 v2, 7, v2, vcc
	v_cmp_eq_u64_e64 s[18:19], 0, v[2:3]
	v_min_i32_e32 v3, 15, v25
	v_cmp_eq_u32_e32 vcc, 0, v25
	v_lshlrev_b32_e32 v3, 3, v3
	v_and_or_b32 v2, v2, 7, v3
	s_and_b64 s[18:19], vcc, s[18:19]
	v_cndmask_b32_e64 v2, v2, 0, s[18:19]
	v_or_b32_e32 v25, v2, v28
.LBB6_4083:                             ;   in Loop: Header=BB6_3191 Depth=2
	s_or_b64 exec, exec, s[56:57]
.LBB6_4084:                             ;   in Loop: Header=BB6_3191 Depth=2
	s_or_b64 exec, exec, s[54:55]
                                        ; implicit-def: $vgpr29
                                        ; implicit-def: $vgpr2_vgpr3
.LBB6_4085:                             ;   in Loop: Header=BB6_3191 Depth=2
	s_andn2_saveexec_b64 s[18:19], s[52:53]
; %bb.4086:                             ;   in Loop: Header=BB6_3191 Depth=2
	v_or_b32_sdwa v4, v29, s69 dst_sel:DWORD dst_unused:UNUSED_PAD src0_sel:BYTE_3 src1_sel:DWORD
	v_cmp_eq_u64_e32 vcc, 0, v[2:3]
	v_cndmask_b32_e32 v25, v4, v25, vcc
; %bb.4087:                             ;   in Loop: Header=BB6_3191 Depth=2
	s_or_b64 exec, exec, s[18:19]
	v_lshrrev_b16_e32 v2, 8, v14
	v_cmp_ne_u16_e32 vcc, 0, v2
	v_mov_b32_e32 v3, 0
	v_mov_b32_e32 v28, 0
	s_and_saveexec_b64 s[18:19], vcc
	s_cbranch_execz .LBB6_4093
; %bb.4088:                             ;   in Loop: Header=BB6_3191 Depth=2
	v_cmp_ne_u16_e32 vcc, s71, v2
	v_bfrev_b32_e32 v28, 1
	s_and_saveexec_b64 s[52:53], vcc
	s_cbranch_execz .LBB6_4092
; %bb.4089:                             ;   in Loop: Header=BB6_3191 Depth=2
	v_and_b32_e32 v29, 0x7f, v2
	v_cmp_ne_u32_e32 vcc, s69, v29
	v_mov_b32_e32 v28, 0x7f800001
	s_and_saveexec_b64 s[54:55], vcc
	s_cbranch_execz .LBB6_4091
; %bb.4090:                             ;   in Loop: Header=BB6_3191 Depth=2
	v_and_b32_e32 v28, 7, v2
	v_ffbh_u32_e32 v4, v28
	v_min_u32_e32 v39, 32, v4
	v_subrev_u32_e32 v4, 28, v39
	v_lshlrev_b64 v[4:5], v4, v[2:3]
	v_lshrrev_b32_e32 v31, 3, v29
	v_sub_u32_e32 v2, 29, v39
	v_and_b32_e32 v4, 7, v4
	v_cmp_gt_u32_e32 vcc, 8, v29
	v_cndmask_b32_e32 v2, v31, v2, vcc
	v_cndmask_b32_e32 v4, v28, v4, vcc
	v_lshlrev_b32_e32 v5, 16, v14
	v_lshlrev_b32_e32 v4, 20, v4
	v_and_b32_e32 v5, 0x80000000, v5
	v_lshl_add_u32 v2, v2, 23, v21
	v_or3_b32 v28, v5, v2, v4
.LBB6_4091:                             ;   in Loop: Header=BB6_3191 Depth=2
	s_or_b64 exec, exec, s[54:55]
.LBB6_4092:                             ;   in Loop: Header=BB6_3191 Depth=2
	s_or_b64 exec, exec, s[52:53]
.LBB6_4093:                             ;   in Loop: Header=BB6_3191 Depth=2
	s_or_b64 exec, exec, s[18:19]
	v_mov_b32_e32 v2, v17
	v_lshrrev_b16_e32 v14, 8, v2
	v_cmp_ne_u16_e32 vcc, 0, v14
	s_and_saveexec_b64 s[18:19], vcc
	s_cbranch_execz .LBB6_4099
; %bb.4094:                             ;   in Loop: Header=BB6_3191 Depth=2
	v_cmp_ne_u16_e32 vcc, s71, v14
	v_bfrev_b32_e32 v3, 1
	s_and_saveexec_b64 s[52:53], vcc
	s_cbranch_execz .LBB6_4098
; %bb.4095:                             ;   in Loop: Header=BB6_3191 Depth=2
	v_and_b32_e32 v29, 0x7f, v14
	v_cmp_ne_u32_e32 vcc, s69, v29
	v_mov_b32_e32 v3, 0x7f800001
	s_and_saveexec_b64 s[54:55], vcc
	s_cbranch_execz .LBB6_4097
; %bb.4096:                             ;   in Loop: Header=BB6_3191 Depth=2
	v_and_b32_e32 v3, 7, v14
	v_ffbh_u32_e32 v4, v3
	v_min_u32_e32 v39, 32, v4
	v_subrev_u32_e32 v4, 28, v39
	v_lshlrev_b64 v[4:5], v4, v[14:15]
	v_lshrrev_b32_e32 v31, 3, v29
	v_sub_u32_e32 v5, 29, v39
	v_and_b32_e32 v4, 7, v4
	v_cmp_gt_u32_e32 vcc, 8, v29
	v_cndmask_b32_e32 v5, v31, v5, vcc
	v_cndmask_b32_e32 v3, v3, v4, vcc
	v_lshlrev_b32_e32 v2, 16, v2
	v_lshlrev_b32_e32 v3, 20, v3
	v_and_b32_e32 v2, 0x80000000, v2
	v_lshl_add_u32 v4, v5, 23, v21
	v_or3_b32 v3, v2, v4, v3
.LBB6_4097:                             ;   in Loop: Header=BB6_3191 Depth=2
	s_or_b64 exec, exec, s[54:55]
.LBB6_4098:                             ;   in Loop: Header=BB6_3191 Depth=2
	s_or_b64 exec, exec, s[52:53]
.LBB6_4099:                             ;   in Loop: Header=BB6_3191 Depth=2
	s_or_b64 exec, exec, s[18:19]
	v_add_f32_e32 v28, v28, v3
	v_and_b32_sdwa v14, v28, s71 dst_sel:DWORD dst_unused:UNUSED_PAD src0_sel:BYTE_3 src1_sel:DWORD
	v_and_b32_e32 v4, 0x7f800000, v28
	v_mov_b32_e32 v5, v37
	v_and_b32_e32 v2, 0x7fffff, v28
	v_mov_b32_e32 v3, v37
	v_or_b32_e32 v31, 0x7e, v14
	v_cmp_ne_u64_e32 vcc, s[38:39], v[4:5]
	s_and_saveexec_b64 s[18:19], vcc
	s_xor_b64 s[52:53], exec, s[18:19]
	s_cbranch_execz .LBB6_4109
; %bb.4100:                             ;   in Loop: Header=BB6_3191 Depth=2
	v_and_b32_e32 v4, 0x7fffffff, v28
	v_mov_b32_e32 v5, v37
	v_cmp_gt_u64_e32 vcc, s[40:41], v[4:5]
	s_and_saveexec_b64 s[54:55], vcc
	s_cbranch_execz .LBB6_4108
; %bb.4101:                             ;   in Loop: Header=BB6_3191 Depth=2
	v_cmp_ne_u32_e32 vcc, 0, v28
	v_mov_b32_e32 v31, 0
	s_and_saveexec_b64 s[56:57], vcc
	s_cbranch_execz .LBB6_4107
; %bb.4102:                             ;   in Loop: Header=BB6_3191 Depth=2
	v_bfe_u32 v4, v28, 23, 8
	v_sub_u32_e32 v28, 0x79, v4
	v_cmp_gt_u32_e32 vcc, s72, v4
	v_add_u32_e32 v5, 0xffffff81, v4
	v_cndmask_b32_e32 v28, 0, v28, vcc
	v_cmp_eq_u32_e32 vcc, 0, v4
	v_mov_b32_e32 v4, 0xffffff82
	v_cndmask_b32_e32 v31, v5, v4, vcc
	v_mov_b32_e32 v4, 0x78
	v_cndmask_b32_e32 v28, v28, v4, vcc
	v_add_u32_e32 v4, 20, v28
	v_or_b32_e32 v29, 0x800000, v2
	v_lshlrev_b64 v[4:5], v4, -1
	v_cndmask_b32_e32 v2, v29, v2, vcc
	v_not_b32_e32 v4, v4
	v_and_b32_e32 v4, v2, v4
	v_add_u32_e32 v29, 19, v28
	v_lshrrev_b64 v[2:3], v28, v[2:3]
	v_not_b32_e32 v5, v5
	v_lshlrev_b64 v[50:51], v29, 1
	v_lshrrev_b32_e32 v29, 23, v2
	v_and_b32_e32 v5, 0, v5
	v_add3_u32 v31, v28, v31, v29
	v_bfe_u32 v28, v2, 20, 1
	v_add_u32_e32 v28, -1, v28
	v_cmp_eq_u64_e32 vcc, v[4:5], v[50:51]
	v_cndmask_b32_e32 v4, 0, v28, vcc
	v_add_u32_e32 v4, v4, v2
	v_and_b32_e32 v4, 0xfffff, v4
	v_add_co_u32_e32 v2, vcc, v4, v2
	v_add_u32_e32 v29, 6, v31
	v_addc_co_u32_e32 v3, vcc, 0, v3, vcc
	v_cmp_ne_u32_e32 vcc, 0, v29
                                        ; implicit-def: $vgpr28
	s_and_saveexec_b64 s[18:19], vcc
	s_xor_b64 s[18:19], exec, s[18:19]
; %bb.4103:                             ;   in Loop: Header=BB6_3191 Depth=2
	v_add_u32_e32 v4, 7, v31
	v_cmp_lt_u64_e32 vcc, s[44:45], v[2:3]
	v_cndmask_b32_e32 v28, v29, v4, vcc
	v_cndmask_b32_e64 v4, 0, 1, vcc
	v_lshrrev_b64 v[2:3], v4, v[2:3]
; %bb.4104:                             ;   in Loop: Header=BB6_3191 Depth=2
	s_andn2_saveexec_b64 s[18:19], s[18:19]
; %bb.4105:                             ;   in Loop: Header=BB6_3191 Depth=2
	v_bfe_u32 v28, v2, 23, 1
; %bb.4106:                             ;   in Loop: Header=BB6_3191 Depth=2
	s_or_b64 exec, exec, s[18:19]
	v_lshrrev_b64 v[2:3], 20, v[2:3]
	v_cmp_gt_i32_e32 vcc, 16, v28
	v_cndmask_b32_e32 v3, 0, v3, vcc
	v_cndmask_b32_e32 v2, 7, v2, vcc
	v_cmp_eq_u64_e64 s[18:19], 0, v[2:3]
	v_min_i32_e32 v3, 15, v28
	v_cmp_eq_u32_e32 vcc, 0, v28
	v_lshlrev_b32_e32 v3, 3, v3
	v_and_or_b32 v2, v2, 7, v3
	s_and_b64 s[18:19], vcc, s[18:19]
	v_cndmask_b32_e64 v2, v2, 0, s[18:19]
	v_or_b32_e32 v31, v2, v14
.LBB6_4107:                             ;   in Loop: Header=BB6_3191 Depth=2
	s_or_b64 exec, exec, s[56:57]
.LBB6_4108:                             ;   in Loop: Header=BB6_3191 Depth=2
	s_or_b64 exec, exec, s[54:55]
                                        ; implicit-def: $vgpr28
                                        ; implicit-def: $vgpr2_vgpr3
.LBB6_4109:                             ;   in Loop: Header=BB6_3191 Depth=2
	s_andn2_saveexec_b64 s[18:19], s[52:53]
; %bb.4110:                             ;   in Loop: Header=BB6_3191 Depth=2
	v_or_b32_sdwa v4, v28, s69 dst_sel:DWORD dst_unused:UNUSED_PAD src0_sel:BYTE_3 src1_sel:DWORD
	v_cmp_eq_u64_e32 vcc, 0, v[2:3]
	v_cndmask_b32_e32 v31, v4, v31, vcc
; %bb.4111:                             ;   in Loop: Header=BB6_3191 Depth=2
	s_or_b64 exec, exec, s[18:19]
	v_lshrrev_b32_e32 v2, 16, v36
	v_cmp_ne_u16_sdwa vcc, v2, v37 src0_sel:BYTE_0 src1_sel:DWORD
	v_mov_b32_e32 v3, 0
	v_mov_b32_e32 v14, 0
	s_and_saveexec_b64 s[18:19], vcc
	s_cbranch_execz .LBB6_4117
; %bb.4112:                             ;   in Loop: Header=BB6_3191 Depth=2
	v_cmp_ne_u16_sdwa vcc, v2, s71 src0_sel:BYTE_0 src1_sel:DWORD
	v_bfrev_b32_e32 v14, 1
	s_and_saveexec_b64 s[52:53], vcc
	s_cbranch_execz .LBB6_4116
; %bb.4113:                             ;   in Loop: Header=BB6_3191 Depth=2
	v_bfe_u32 v28, v36, 16, 7
	v_cmp_ne_u32_e32 vcc, s69, v28
	v_mov_b32_e32 v14, 0x7f800001
	s_and_saveexec_b64 s[54:55], vcc
	s_cbranch_execz .LBB6_4115
; %bb.4114:                             ;   in Loop: Header=BB6_3191 Depth=2
	v_and_b32_e32 v14, 7, v2
	v_ffbh_u32_e32 v4, v14
	v_min_u32_e32 v39, 32, v4
	v_subrev_u32_e32 v4, 28, v39
	v_lshlrev_b64 v[4:5], v4, v[2:3]
	v_lshrrev_b32_e32 v29, 3, v28
	v_sub_u32_e32 v5, 29, v39
	v_and_b32_e32 v4, 7, v4
	v_cmp_gt_u32_e32 vcc, 8, v28
	v_cndmask_b32_e32 v5, v29, v5, vcc
	v_cndmask_b32_e32 v4, v14, v4, vcc
	v_lshlrev_b32_e32 v2, 24, v2
	v_lshlrev_b32_e32 v4, 20, v4
	v_and_b32_e32 v2, 0x80000000, v2
	v_lshl_add_u32 v5, v5, 23, v21
	v_or3_b32 v14, v2, v5, v4
.LBB6_4115:                             ;   in Loop: Header=BB6_3191 Depth=2
	s_or_b64 exec, exec, s[54:55]
.LBB6_4116:                             ;   in Loop: Header=BB6_3191 Depth=2
	s_or_b64 exec, exec, s[52:53]
.LBB6_4117:                             ;   in Loop: Header=BB6_3191 Depth=2
	s_or_b64 exec, exec, s[18:19]
	v_lshrrev_b32_e32 v2, 16, v17
	v_cmp_ne_u16_sdwa vcc, v2, v37 src0_sel:BYTE_0 src1_sel:DWORD
	s_and_saveexec_b64 s[18:19], vcc
	s_cbranch_execz .LBB6_4123
; %bb.4118:                             ;   in Loop: Header=BB6_3191 Depth=2
	v_cmp_ne_u16_sdwa vcc, v2, s71 src0_sel:BYTE_0 src1_sel:DWORD
	v_bfrev_b32_e32 v3, 1
	s_and_saveexec_b64 s[52:53], vcc
	s_cbranch_execz .LBB6_4122
; %bb.4119:                             ;   in Loop: Header=BB6_3191 Depth=2
	v_bfe_u32 v28, v17, 16, 7
	v_cmp_ne_u32_e32 vcc, s69, v28
	v_mov_b32_e32 v3, 0x7f800001
	s_and_saveexec_b64 s[54:55], vcc
	s_cbranch_execz .LBB6_4121
; %bb.4120:                             ;   in Loop: Header=BB6_3191 Depth=2
	v_and_b32_e32 v4, 7, v2
	v_ffbh_u32_e32 v3, v4
	v_min_u32_e32 v29, 32, v3
	v_subrev_u32_e32 v3, 28, v29
	v_lshlrev_b64 v[2:3], v3, v[2:3]
	v_lshrrev_b32_e32 v5, 3, v28
	v_sub_u32_e32 v3, 29, v29
	v_and_b32_e32 v2, 7, v2
	v_cmp_gt_u32_e32 vcc, 8, v28
	v_cndmask_b32_e32 v3, v5, v3, vcc
	v_cndmask_b32_e32 v2, v4, v2, vcc
	v_lshlrev_b32_e32 v4, 8, v17
	v_lshlrev_b32_e32 v2, 20, v2
	v_and_b32_e32 v4, 0x80000000, v4
	v_lshl_add_u32 v3, v3, 23, v21
	v_or3_b32 v3, v4, v3, v2
.LBB6_4121:                             ;   in Loop: Header=BB6_3191 Depth=2
	s_or_b64 exec, exec, s[54:55]
.LBB6_4122:                             ;   in Loop: Header=BB6_3191 Depth=2
	s_or_b64 exec, exec, s[52:53]
.LBB6_4123:                             ;   in Loop: Header=BB6_3191 Depth=2
	s_or_b64 exec, exec, s[18:19]
	v_add_f32_e32 v28, v14, v3
	v_and_b32_sdwa v14, v28, s71 dst_sel:DWORD dst_unused:UNUSED_PAD src0_sel:BYTE_3 src1_sel:DWORD
	v_and_b32_e32 v4, 0x7f800000, v28
	v_mov_b32_e32 v5, v37
	v_and_b32_e32 v2, 0x7fffff, v28
	v_mov_b32_e32 v3, v37
	v_or_b32_e32 v39, 0x7e, v14
	v_cmp_ne_u64_e32 vcc, s[38:39], v[4:5]
	s_and_saveexec_b64 s[18:19], vcc
	s_xor_b64 s[52:53], exec, s[18:19]
	s_cbranch_execz .LBB6_4133
; %bb.4124:                             ;   in Loop: Header=BB6_3191 Depth=2
	v_and_b32_e32 v4, 0x7fffffff, v28
	v_mov_b32_e32 v5, v37
	v_cmp_gt_u64_e32 vcc, s[40:41], v[4:5]
	s_and_saveexec_b64 s[54:55], vcc
	s_cbranch_execz .LBB6_4132
; %bb.4125:                             ;   in Loop: Header=BB6_3191 Depth=2
	v_cmp_ne_u32_e32 vcc, 0, v28
	v_mov_b32_e32 v39, 0
	s_and_saveexec_b64 s[56:57], vcc
	s_cbranch_execz .LBB6_4131
; %bb.4126:                             ;   in Loop: Header=BB6_3191 Depth=2
	v_bfe_u32 v4, v28, 23, 8
	v_sub_u32_e32 v28, 0x79, v4
	v_cmp_gt_u32_e32 vcc, s72, v4
	v_add_u32_e32 v5, 0xffffff81, v4
	v_cndmask_b32_e32 v28, 0, v28, vcc
	v_cmp_eq_u32_e32 vcc, 0, v4
	v_mov_b32_e32 v4, 0xffffff82
	v_cndmask_b32_e32 v39, v5, v4, vcc
	v_mov_b32_e32 v4, 0x78
	v_cndmask_b32_e32 v28, v28, v4, vcc
	v_add_u32_e32 v4, 20, v28
	v_or_b32_e32 v29, 0x800000, v2
	v_lshlrev_b64 v[4:5], v4, -1
	v_cndmask_b32_e32 v2, v29, v2, vcc
	v_not_b32_e32 v4, v4
	v_and_b32_e32 v4, v2, v4
	v_add_u32_e32 v29, 19, v28
	v_lshrrev_b64 v[2:3], v28, v[2:3]
	v_not_b32_e32 v5, v5
	v_lshlrev_b64 v[50:51], v29, 1
	v_lshrrev_b32_e32 v29, 23, v2
	v_and_b32_e32 v5, 0, v5
	v_add3_u32 v39, v28, v39, v29
	v_bfe_u32 v28, v2, 20, 1
	v_add_u32_e32 v28, -1, v28
	v_cmp_eq_u64_e32 vcc, v[4:5], v[50:51]
	v_cndmask_b32_e32 v4, 0, v28, vcc
	v_add_u32_e32 v4, v4, v2
	v_and_b32_e32 v4, 0xfffff, v4
	v_add_co_u32_e32 v2, vcc, v4, v2
	v_add_u32_e32 v29, 6, v39
	v_addc_co_u32_e32 v3, vcc, 0, v3, vcc
	v_cmp_ne_u32_e32 vcc, 0, v29
                                        ; implicit-def: $vgpr28
	s_and_saveexec_b64 s[18:19], vcc
	s_xor_b64 s[18:19], exec, s[18:19]
; %bb.4127:                             ;   in Loop: Header=BB6_3191 Depth=2
	v_add_u32_e32 v4, 7, v39
	v_cmp_lt_u64_e32 vcc, s[44:45], v[2:3]
	v_cndmask_b32_e32 v28, v29, v4, vcc
	v_cndmask_b32_e64 v4, 0, 1, vcc
	v_lshrrev_b64 v[2:3], v4, v[2:3]
; %bb.4128:                             ;   in Loop: Header=BB6_3191 Depth=2
	s_andn2_saveexec_b64 s[18:19], s[18:19]
; %bb.4129:                             ;   in Loop: Header=BB6_3191 Depth=2
	v_bfe_u32 v28, v2, 23, 1
; %bb.4130:                             ;   in Loop: Header=BB6_3191 Depth=2
	s_or_b64 exec, exec, s[18:19]
	v_lshrrev_b64 v[2:3], 20, v[2:3]
	v_cmp_gt_i32_e32 vcc, 16, v28
	v_cndmask_b32_e32 v3, 0, v3, vcc
	v_cndmask_b32_e32 v2, 7, v2, vcc
	v_cmp_eq_u64_e64 s[18:19], 0, v[2:3]
	v_min_i32_e32 v3, 15, v28
	v_lshlrev_b32_e32 v3, 3, v3
	v_cmp_eq_u32_e32 vcc, 0, v28
	v_and_b32_e32 v3, 0xf8, v3
	v_and_or_b32 v2, v2, 7, v3
	s_and_b64 s[18:19], vcc, s[18:19]
	v_cndmask_b32_e64 v2, v2, 0, s[18:19]
	v_or_b32_e32 v39, v2, v14
.LBB6_4131:                             ;   in Loop: Header=BB6_3191 Depth=2
	s_or_b64 exec, exec, s[56:57]
.LBB6_4132:                             ;   in Loop: Header=BB6_3191 Depth=2
	s_or_b64 exec, exec, s[54:55]
                                        ; implicit-def: $vgpr28
                                        ; implicit-def: $vgpr2_vgpr3
.LBB6_4133:                             ;   in Loop: Header=BB6_3191 Depth=2
	s_andn2_saveexec_b64 s[18:19], s[52:53]
; %bb.4134:                             ;   in Loop: Header=BB6_3191 Depth=2
	v_or_b32_sdwa v4, v28, s69 dst_sel:DWORD dst_unused:UNUSED_PAD src0_sel:BYTE_3 src1_sel:DWORD
	v_cmp_eq_u64_e32 vcc, 0, v[2:3]
	v_cndmask_b32_e32 v39, v4, v39, vcc
; %bb.4135:                             ;   in Loop: Header=BB6_3191 Depth=2
	s_or_b64 exec, exec, s[18:19]
	v_cmp_lt_u32_e32 vcc, s43, v36
	v_mov_b32_e32 v3, 0
	v_mov_b32_e32 v14, 0
	s_and_saveexec_b64 s[18:19], vcc
	s_cbranch_execz .LBB6_4141
; %bb.4136:                             ;   in Loop: Header=BB6_3191 Depth=2
	v_lshrrev_b32_e32 v2, 24, v36
	v_cmp_ne_u32_sdwa vcc, v36, s71 src0_sel:BYTE_3 src1_sel:DWORD
	v_bfrev_b32_e32 v14, 1
	s_and_saveexec_b64 s[52:53], vcc
	s_cbranch_execz .LBB6_4140
; %bb.4137:                             ;   in Loop: Header=BB6_3191 Depth=2
	v_bfe_u32 v28, v36, 24, 7
	v_cmp_ne_u32_e32 vcc, s69, v28
	v_mov_b32_e32 v14, 0x7f800001
	s_and_saveexec_b64 s[54:55], vcc
	s_cbranch_execz .LBB6_4139
; %bb.4138:                             ;   in Loop: Header=BB6_3191 Depth=2
	v_and_b32_e32 v14, 7, v2
	v_ffbh_u32_e32 v4, v14
	v_min_u32_e32 v50, 32, v4
	v_subrev_u32_e32 v4, 28, v50
	v_lshlrev_b64 v[4:5], v4, v[2:3]
	v_lshrrev_b32_e32 v29, 3, v28
	v_sub_u32_e32 v2, 29, v50
	v_and_b32_e32 v4, 7, v4
	v_cmp_gt_u32_e32 vcc, 8, v28
	v_mov_b32_e32 v5, 24
	v_cndmask_b32_e32 v2, v29, v2, vcc
	v_cndmask_b32_e32 v4, v14, v4, vcc
	v_lshlrev_b32_sdwa v5, v5, v36 dst_sel:DWORD dst_unused:UNUSED_PAD src0_sel:DWORD src1_sel:BYTE_3
	v_lshlrev_b32_e32 v4, 20, v4
	v_and_b32_e32 v5, 0x80000000, v5
	v_lshl_add_u32 v2, v2, 23, v21
	v_or3_b32 v14, v5, v2, v4
.LBB6_4139:                             ;   in Loop: Header=BB6_3191 Depth=2
	s_or_b64 exec, exec, s[54:55]
.LBB6_4140:                             ;   in Loop: Header=BB6_3191 Depth=2
	s_or_b64 exec, exec, s[52:53]
.LBB6_4141:                             ;   in Loop: Header=BB6_3191 Depth=2
	s_or_b64 exec, exec, s[18:19]
	v_cmp_lt_u64_e32 vcc, s[42:43], v[16:17]
	s_and_saveexec_b64 s[18:19], vcc
	s_cbranch_execz .LBB6_4147
; %bb.4142:                             ;   in Loop: Header=BB6_3191 Depth=2
	v_lshrrev_b32_e32 v2, 24, v17
	v_cmp_ne_u32_e32 vcc, s71, v2
	v_bfrev_b32_e32 v3, 1
	s_and_saveexec_b64 s[52:53], vcc
	s_cbranch_execz .LBB6_4146
; %bb.4143:                             ;   in Loop: Header=BB6_3191 Depth=2
	v_bfe_u32 v16, v17, 24, 7
	v_cmp_ne_u32_e32 vcc, s69, v16
	v_mov_b32_e32 v3, 0x7f800001
	s_and_saveexec_b64 s[54:55], vcc
	s_cbranch_execz .LBB6_4145
; %bb.4144:                             ;   in Loop: Header=BB6_3191 Depth=2
	v_and_b32_e32 v3, 7, v2
	v_ffbh_u32_e32 v4, v3
	v_min_u32_e32 v28, 32, v4
	v_subrev_u32_e32 v4, 28, v28
	v_lshlrev_b64 v[4:5], v4, v[2:3]
	v_lshrrev_b32_e32 v17, 3, v16
	v_sub_u32_e32 v5, 29, v28
	v_and_b32_e32 v4, 7, v4
	v_cmp_gt_u32_e32 vcc, 8, v16
	v_cndmask_b32_e32 v5, v17, v5, vcc
	v_cndmask_b32_e32 v3, v3, v4, vcc
	v_lshlrev_b32_e32 v2, 24, v2
	v_lshlrev_b32_e32 v3, 20, v3
	v_and_b32_e32 v2, 0x80000000, v2
	v_lshl_add_u32 v4, v5, 23, v21
	v_or3_b32 v3, v2, v4, v3
.LBB6_4145:                             ;   in Loop: Header=BB6_3191 Depth=2
	s_or_b64 exec, exec, s[54:55]
.LBB6_4146:                             ;   in Loop: Header=BB6_3191 Depth=2
	s_or_b64 exec, exec, s[52:53]
.LBB6_4147:                             ;   in Loop: Header=BB6_3191 Depth=2
	s_or_b64 exec, exec, s[18:19]
	v_add_f32_e32 v2, v14, v3
	v_and_b32_sdwa v14, v2, s71 dst_sel:DWORD dst_unused:UNUSED_PAD src0_sel:BYTE_3 src1_sel:DWORD
	v_and_b32_e32 v4, 0x7f800000, v2
	v_mov_b32_e32 v5, v37
	v_and_b32_e32 v36, 0x7fffff, v2
	v_or_b32_e32 v16, 0x7e, v14
	v_cmp_ne_u64_e32 vcc, s[38:39], v[4:5]
	s_and_saveexec_b64 s[18:19], vcc
	s_xor_b64 s[52:53], exec, s[18:19]
	s_cbranch_execz .LBB6_4157
; %bb.4148:                             ;   in Loop: Header=BB6_3191 Depth=2
	v_and_b32_e32 v4, 0x7fffffff, v2
	v_mov_b32_e32 v5, v37
	v_cmp_gt_u64_e32 vcc, s[40:41], v[4:5]
	s_and_saveexec_b64 s[54:55], vcc
	s_cbranch_execz .LBB6_4156
; %bb.4149:                             ;   in Loop: Header=BB6_3191 Depth=2
	v_cmp_ne_u32_e32 vcc, 0, v2
	v_mov_b32_e32 v16, 0
	s_and_saveexec_b64 s[56:57], vcc
	s_cbranch_execz .LBB6_4155
; %bb.4150:                             ;   in Loop: Header=BB6_3191 Depth=2
	v_bfe_u32 v2, v2, 23, 8
	v_sub_u32_e32 v4, 0x79, v2
	v_cmp_gt_u32_e32 vcc, s72, v2
	v_add_u32_e32 v3, 0xffffff81, v2
	v_cndmask_b32_e32 v4, 0, v4, vcc
	v_cmp_eq_u32_e32 vcc, 0, v2
	v_mov_b32_e32 v2, 0xffffff82
	v_cndmask_b32_e32 v16, v3, v2, vcc
	v_mov_b32_e32 v2, 0x78
	v_or_b32_e32 v5, 0x800000, v36
	v_cndmask_b32_e32 v17, v4, v2, vcc
	v_cndmask_b32_e32 v36, v5, v36, vcc
	v_add_u32_e32 v2, 20, v17
	v_lshlrev_b64 v[2:3], v2, -1
	v_lshrrev_b64 v[50:51], v17, v[36:37]
	v_not_b32_e32 v3, v3
	v_not_b32_e32 v2, v2
	v_add_u32_e32 v4, 19, v17
	v_lshrrev_b32_e32 v28, 23, v50
	v_and_b32_e32 v3, 0, v3
	v_and_b32_e32 v2, v36, v2
	v_lshlrev_b64 v[4:5], v4, 1
	v_add3_u32 v28, v17, v16, v28
	v_bfe_u32 v16, v50, 20, 1
	v_add_u32_e32 v16, -1, v16
	v_cmp_eq_u64_e32 vcc, v[2:3], v[4:5]
	v_cndmask_b32_e32 v2, 0, v16, vcc
	v_add_u32_e32 v2, v2, v50
	v_and_b32_e32 v2, 0xfffff, v2
	v_add_co_u32_e32 v2, vcc, v2, v50
	v_add_u32_e32 v17, 6, v28
	v_addc_co_u32_e32 v3, vcc, 0, v51, vcc
	v_cmp_ne_u32_e32 vcc, 0, v17
                                        ; implicit-def: $vgpr16
	s_and_saveexec_b64 s[18:19], vcc
	s_xor_b64 s[18:19], exec, s[18:19]
; %bb.4151:                             ;   in Loop: Header=BB6_3191 Depth=2
	v_add_u32_e32 v4, 7, v28
	v_cmp_lt_u64_e32 vcc, s[44:45], v[2:3]
	v_cndmask_b32_e32 v16, v17, v4, vcc
	v_cndmask_b32_e64 v4, 0, 1, vcc
	v_lshrrev_b64 v[2:3], v4, v[2:3]
; %bb.4152:                             ;   in Loop: Header=BB6_3191 Depth=2
	s_andn2_saveexec_b64 s[18:19], s[18:19]
; %bb.4153:                             ;   in Loop: Header=BB6_3191 Depth=2
	v_bfe_u32 v16, v2, 23, 1
; %bb.4154:                             ;   in Loop: Header=BB6_3191 Depth=2
	s_or_b64 exec, exec, s[18:19]
	v_lshrrev_b64 v[2:3], 20, v[2:3]
	v_cmp_gt_i32_e32 vcc, 16, v16
	v_cndmask_b32_e32 v3, 0, v3, vcc
	v_cndmask_b32_e32 v2, 7, v2, vcc
	v_cmp_eq_u64_e64 s[18:19], 0, v[2:3]
	v_min_i32_e32 v3, 15, v16
	v_lshlrev_b32_e32 v3, 3, v3
	v_cmp_eq_u32_e32 vcc, 0, v16
	v_and_b32_e32 v3, 0xf8, v3
	v_and_or_b32 v2, v2, 7, v3
	s_and_b64 s[18:19], vcc, s[18:19]
	v_cndmask_b32_e64 v2, v2, 0, s[18:19]
	v_or_b32_e32 v16, v2, v14
.LBB6_4155:                             ;   in Loop: Header=BB6_3191 Depth=2
	s_or_b64 exec, exec, s[56:57]
.LBB6_4156:                             ;   in Loop: Header=BB6_3191 Depth=2
	s_or_b64 exec, exec, s[54:55]
                                        ; implicit-def: $vgpr2
.LBB6_4157:                             ;   in Loop: Header=BB6_3191 Depth=2
	s_andn2_saveexec_b64 s[18:19], s[52:53]
; %bb.4158:                             ;   in Loop: Header=BB6_3191 Depth=2
	v_or_b32_sdwa v2, v2, s69 dst_sel:DWORD dst_unused:UNUSED_PAD src0_sel:BYTE_3 src1_sel:DWORD
	v_cmp_eq_u64_e32 vcc, 0, v[36:37]
	v_cndmask_b32_e32 v16, v2, v16, vcc
; %bb.4159:                             ;   in Loop: Header=BB6_3191 Depth=2
	s_or_b64 exec, exec, s[18:19]
	v_lshlrev_b32_e32 v14, 8, v30
	v_cmp_ne_u16_sdwa vcc, v35, v37 src0_sel:BYTE_0 src1_sel:DWORD
	v_mov_b32_e32 v2, 0
	v_mov_b32_e32 v3, 0
	s_and_saveexec_b64 s[18:19], vcc
	s_cbranch_execz .LBB6_4165
; %bb.4160:                             ;   in Loop: Header=BB6_3191 Depth=2
	v_cmp_ne_u16_sdwa vcc, v35, s71 src0_sel:BYTE_0 src1_sel:DWORD
	v_bfrev_b32_e32 v3, 1
	s_and_saveexec_b64 s[52:53], vcc
	s_cbranch_execz .LBB6_4164
; %bb.4161:                             ;   in Loop: Header=BB6_3191 Depth=2
	v_and_b32_e32 v17, 0x7f, v35
	v_cmp_ne_u32_e32 vcc, s69, v17
	v_mov_b32_e32 v3, 0x7f800001
	s_and_saveexec_b64 s[54:55], vcc
	s_cbranch_execz .LBB6_4163
; %bb.4162:                             ;   in Loop: Header=BB6_3191 Depth=2
	v_and_b32_e32 v3, 7, v35
	v_ffbh_u32_e32 v3, v3
	v_min_u32_e32 v3, 32, v3
	v_lshrrev_b32_e32 v5, 3, v17
	v_subrev_u32_e32 v28, 28, v3
	v_sub_u32_e32 v3, 29, v3
	v_cmp_gt_u32_e32 vcc, 8, v17
	v_perm_b32 v4, v14, v35, s73
	v_cndmask_b32_e32 v3, v5, v3, vcc
	v_cndmask_b32_e32 v5, 0, v28, vcc
	v_lshlrev_b64 v[4:5], v5, v[4:5]
	v_lshlrev_b32_e32 v4, 20, v4
	v_lshlrev_b32_e32 v5, 24, v35
	v_and_b32_e32 v4, 0x700000, v4
	v_and_b32_e32 v5, 0x80000000, v5
	v_lshl_add_u32 v3, v3, 23, v21
	v_or3_b32 v3, v5, v3, v4
.LBB6_4163:                             ;   in Loop: Header=BB6_3191 Depth=2
	s_or_b64 exec, exec, s[54:55]
.LBB6_4164:                             ;   in Loop: Header=BB6_3191 Depth=2
	s_or_b64 exec, exec, s[52:53]
.LBB6_4165:                             ;   in Loop: Header=BB6_3191 Depth=2
	s_or_b64 exec, exec, s[18:19]
	s_waitcnt vmcnt(0)
	v_cmp_ne_u16_sdwa vcc, v10, v37 src0_sel:BYTE_0 src1_sel:DWORD
	s_and_saveexec_b64 s[18:19], vcc
	s_cbranch_execz .LBB6_4171
; %bb.4166:                             ;   in Loop: Header=BB6_3191 Depth=2
	v_cmp_ne_u16_sdwa vcc, v10, s71 src0_sel:BYTE_0 src1_sel:DWORD
	v_bfrev_b32_e32 v2, 1
	s_and_saveexec_b64 s[52:53], vcc
	s_cbranch_execz .LBB6_4170
; %bb.4167:                             ;   in Loop: Header=BB6_3191 Depth=2
	v_and_b32_e32 v17, 0x7f, v10
	v_cmp_ne_u32_e32 vcc, s69, v17
	v_mov_b32_e32 v2, 0x7f800001
	s_and_saveexec_b64 s[54:55], vcc
	s_cbranch_execz .LBB6_4169
; %bb.4168:                             ;   in Loop: Header=BB6_3191 Depth=2
	v_and_b32_e32 v2, 7, v10
	v_ffbh_u32_e32 v2, v2
	v_min_u32_e32 v2, 32, v2
	v_lshrrev_b32_e32 v4, 3, v17
	v_subrev_u32_e32 v5, 28, v2
	v_sub_u32_e32 v2, 29, v2
	v_cmp_gt_u32_e32 vcc, 8, v17
	v_cndmask_b32_e32 v2, v4, v2, vcc
	v_cndmask_b32_e32 v4, 0, v5, vcc
	v_lshlrev_b64 v[4:5], v4, v[10:11]
	v_lshlrev_b32_e32 v4, 20, v4
	v_lshlrev_b32_e32 v5, 24, v10
	v_and_b32_e32 v4, 0x700000, v4
	v_and_b32_e32 v5, 0x80000000, v5
	v_lshl_add_u32 v2, v2, 23, v21
	v_or3_b32 v2, v5, v2, v4
.LBB6_4169:                             ;   in Loop: Header=BB6_3191 Depth=2
	s_or_b64 exec, exec, s[54:55]
.LBB6_4170:                             ;   in Loop: Header=BB6_3191 Depth=2
	s_or_b64 exec, exec, s[52:53]
.LBB6_4171:                             ;   in Loop: Header=BB6_3191 Depth=2
	s_or_b64 exec, exec, s[18:19]
	v_add_f32_e32 v2, v3, v2
	v_and_b32_sdwa v28, v2, s71 dst_sel:DWORD dst_unused:UNUSED_PAD src0_sel:BYTE_3 src1_sel:DWORD
	v_and_b32_e32 v4, 0x7f800000, v2
	v_mov_b32_e32 v5, v37
	v_and_b32_e32 v36, 0x7fffff, v2
	v_or_b32_e32 v17, 0x7e, v28
	v_cmp_ne_u64_e32 vcc, s[38:39], v[4:5]
	s_and_saveexec_b64 s[18:19], vcc
	s_xor_b64 s[52:53], exec, s[18:19]
	s_cbranch_execz .LBB6_4181
; %bb.4172:                             ;   in Loop: Header=BB6_3191 Depth=2
	v_and_b32_e32 v4, 0x7fffffff, v2
	v_mov_b32_e32 v5, v37
	v_cmp_gt_u64_e32 vcc, s[40:41], v[4:5]
	s_and_saveexec_b64 s[54:55], vcc
	s_cbranch_execz .LBB6_4180
; %bb.4173:                             ;   in Loop: Header=BB6_3191 Depth=2
	v_cmp_ne_u32_e32 vcc, 0, v2
	v_mov_b32_e32 v17, 0
	s_and_saveexec_b64 s[56:57], vcc
	s_cbranch_execz .LBB6_4179
; %bb.4174:                             ;   in Loop: Header=BB6_3191 Depth=2
	v_bfe_u32 v2, v2, 23, 8
	v_sub_u32_e32 v4, 0x79, v2
	v_cmp_gt_u32_e32 vcc, s72, v2
	v_add_u32_e32 v3, 0xffffff81, v2
	v_cndmask_b32_e32 v4, 0, v4, vcc
	v_cmp_eq_u32_e32 vcc, 0, v2
	v_mov_b32_e32 v2, 0xffffff82
	v_cndmask_b32_e32 v17, v3, v2, vcc
	v_mov_b32_e32 v2, 0x78
	v_or_b32_e32 v5, 0x800000, v36
	v_cndmask_b32_e32 v29, v4, v2, vcc
	v_cndmask_b32_e32 v36, v5, v36, vcc
	v_add_u32_e32 v2, 20, v29
	v_lshlrev_b64 v[2:3], v2, -1
	v_lshrrev_b64 v[50:51], v29, v[36:37]
	v_not_b32_e32 v3, v3
	v_not_b32_e32 v2, v2
	v_add_u32_e32 v4, 19, v29
	v_lshrrev_b32_e32 v30, 23, v50
	v_and_b32_e32 v3, 0, v3
	v_and_b32_e32 v2, v36, v2
	v_lshlrev_b64 v[4:5], v4, 1
	v_add3_u32 v30, v29, v17, v30
	v_bfe_u32 v17, v50, 20, 1
	v_add_u32_e32 v17, -1, v17
	v_cmp_eq_u64_e32 vcc, v[2:3], v[4:5]
	v_cndmask_b32_e32 v2, 0, v17, vcc
	v_add_u32_e32 v2, v2, v50
	v_and_b32_e32 v2, 0xfffff, v2
	v_add_co_u32_e32 v2, vcc, v2, v50
	v_add_u32_e32 v29, 6, v30
	v_addc_co_u32_e32 v3, vcc, 0, v51, vcc
	v_cmp_ne_u32_e32 vcc, 0, v29
                                        ; implicit-def: $vgpr17
	s_and_saveexec_b64 s[18:19], vcc
	s_xor_b64 s[18:19], exec, s[18:19]
; %bb.4175:                             ;   in Loop: Header=BB6_3191 Depth=2
	v_add_u32_e32 v4, 7, v30
	v_cmp_lt_u64_e32 vcc, s[44:45], v[2:3]
	v_cndmask_b32_e32 v17, v29, v4, vcc
	v_cndmask_b32_e64 v4, 0, 1, vcc
	v_lshrrev_b64 v[2:3], v4, v[2:3]
; %bb.4176:                             ;   in Loop: Header=BB6_3191 Depth=2
	s_andn2_saveexec_b64 s[18:19], s[18:19]
; %bb.4177:                             ;   in Loop: Header=BB6_3191 Depth=2
	v_bfe_u32 v17, v2, 23, 1
; %bb.4178:                             ;   in Loop: Header=BB6_3191 Depth=2
	s_or_b64 exec, exec, s[18:19]
	v_lshrrev_b64 v[2:3], 20, v[2:3]
	v_cmp_gt_i32_e32 vcc, 16, v17
	v_cndmask_b32_e32 v3, 0, v3, vcc
	v_cndmask_b32_e32 v2, 7, v2, vcc
	v_cmp_eq_u64_e64 s[18:19], 0, v[2:3]
	v_min_i32_e32 v3, 15, v17
	v_cmp_eq_u32_e32 vcc, 0, v17
	v_lshlrev_b32_e32 v3, 3, v3
	v_and_or_b32 v2, v2, 7, v3
	s_and_b64 s[18:19], vcc, s[18:19]
	v_cndmask_b32_e64 v2, v2, 0, s[18:19]
	v_or_b32_e32 v17, v2, v28
.LBB6_4179:                             ;   in Loop: Header=BB6_3191 Depth=2
	s_or_b64 exec, exec, s[56:57]
.LBB6_4180:                             ;   in Loop: Header=BB6_3191 Depth=2
	s_or_b64 exec, exec, s[54:55]
                                        ; implicit-def: $vgpr2
.LBB6_4181:                             ;   in Loop: Header=BB6_3191 Depth=2
	s_andn2_saveexec_b64 s[18:19], s[52:53]
; %bb.4182:                             ;   in Loop: Header=BB6_3191 Depth=2
	v_or_b32_sdwa v2, v2, s69 dst_sel:DWORD dst_unused:UNUSED_PAD src0_sel:BYTE_3 src1_sel:DWORD
	v_cmp_eq_u64_e32 vcc, 0, v[36:37]
	v_cndmask_b32_e32 v17, v2, v17, vcc
; %bb.4183:                             ;   in Loop: Header=BB6_3191 Depth=2
	s_or_b64 exec, exec, s[18:19]
	v_lshrrev_b16_e32 v2, 8, v14
	v_cmp_ne_u16_e32 vcc, 0, v2
	v_mov_b32_e32 v3, 0
	v_mov_b32_e32 v28, 0
	s_and_saveexec_b64 s[18:19], vcc
	s_cbranch_execz .LBB6_4189
; %bb.4184:                             ;   in Loop: Header=BB6_3191 Depth=2
	v_cmp_ne_u16_e32 vcc, s71, v2
	v_bfrev_b32_e32 v28, 1
	s_and_saveexec_b64 s[52:53], vcc
	s_cbranch_execz .LBB6_4188
; %bb.4185:                             ;   in Loop: Header=BB6_3191 Depth=2
	v_and_b32_e32 v29, 0x7f, v2
	v_cmp_ne_u32_e32 vcc, s69, v29
	v_mov_b32_e32 v28, 0x7f800001
	s_and_saveexec_b64 s[54:55], vcc
	s_cbranch_execz .LBB6_4187
; %bb.4186:                             ;   in Loop: Header=BB6_3191 Depth=2
	v_and_b32_e32 v28, 7, v2
	v_ffbh_u32_e32 v4, v28
	v_min_u32_e32 v35, 32, v4
	v_subrev_u32_e32 v4, 28, v35
	v_lshlrev_b64 v[4:5], v4, v[2:3]
	v_lshrrev_b32_e32 v30, 3, v29
	v_sub_u32_e32 v2, 29, v35
	v_and_b32_e32 v4, 7, v4
	v_cmp_gt_u32_e32 vcc, 8, v29
	v_cndmask_b32_e32 v2, v30, v2, vcc
	v_cndmask_b32_e32 v4, v28, v4, vcc
	v_lshlrev_b32_e32 v5, 16, v14
	v_lshlrev_b32_e32 v4, 20, v4
	v_and_b32_e32 v5, 0x80000000, v5
	v_lshl_add_u32 v2, v2, 23, v21
	v_or3_b32 v28, v5, v2, v4
.LBB6_4187:                             ;   in Loop: Header=BB6_3191 Depth=2
	s_or_b64 exec, exec, s[54:55]
.LBB6_4188:                             ;   in Loop: Header=BB6_3191 Depth=2
	s_or_b64 exec, exec, s[52:53]
.LBB6_4189:                             ;   in Loop: Header=BB6_3191 Depth=2
	s_or_b64 exec, exec, s[18:19]
	v_lshrrev_b16_e32 v2, 8, v10
	v_cmp_ne_u16_e32 vcc, 0, v2
	s_and_saveexec_b64 s[18:19], vcc
	s_cbranch_execz .LBB6_4195
; %bb.4190:                             ;   in Loop: Header=BB6_3191 Depth=2
	v_cmp_ne_u16_e32 vcc, s71, v2
	v_bfrev_b32_e32 v3, 1
	s_and_saveexec_b64 s[52:53], vcc
	s_cbranch_execz .LBB6_4194
; %bb.4191:                             ;   in Loop: Header=BB6_3191 Depth=2
	v_and_b32_e32 v14, 0x7f, v2
	v_cmp_ne_u32_e32 vcc, s69, v14
	v_mov_b32_e32 v3, 0x7f800001
	s_and_saveexec_b64 s[54:55], vcc
	s_cbranch_execz .LBB6_4193
; %bb.4192:                             ;   in Loop: Header=BB6_3191 Depth=2
	v_and_b32_e32 v4, 7, v2
	v_ffbh_u32_e32 v3, v4
	v_min_u32_e32 v29, 32, v3
	v_subrev_u32_e32 v3, 28, v29
	v_lshlrev_b64 v[2:3], v3, v[2:3]
	v_lshrrev_b32_e32 v5, 3, v14
	v_sub_u32_e32 v3, 29, v29
	v_and_b32_e32 v2, 7, v2
	v_cmp_gt_u32_e32 vcc, 8, v14
	v_cndmask_b32_e32 v3, v5, v3, vcc
	v_cndmask_b32_e32 v2, v4, v2, vcc
	v_lshlrev_b32_e32 v4, 16, v10
	v_lshlrev_b32_e32 v2, 20, v2
	v_and_b32_e32 v4, 0x80000000, v4
	v_lshl_add_u32 v3, v3, 23, v21
	v_or3_b32 v3, v4, v3, v2
.LBB6_4193:                             ;   in Loop: Header=BB6_3191 Depth=2
	s_or_b64 exec, exec, s[54:55]
.LBB6_4194:                             ;   in Loop: Header=BB6_3191 Depth=2
	s_or_b64 exec, exec, s[52:53]
.LBB6_4195:                             ;   in Loop: Header=BB6_3191 Depth=2
	s_or_b64 exec, exec, s[18:19]
	v_add_f32_e32 v2, v28, v3
	v_and_b32_sdwa v14, v2, s71 dst_sel:DWORD dst_unused:UNUSED_PAD src0_sel:BYTE_3 src1_sel:DWORD
	v_and_b32_e32 v4, 0x7f800000, v2
	v_mov_b32_e32 v5, v37
	v_and_b32_e32 v36, 0x7fffff, v2
	v_or_b32_e32 v30, 0x7e, v14
	v_cmp_ne_u64_e32 vcc, s[38:39], v[4:5]
	s_and_saveexec_b64 s[18:19], vcc
	s_xor_b64 s[52:53], exec, s[18:19]
	s_cbranch_execz .LBB6_4205
; %bb.4196:                             ;   in Loop: Header=BB6_3191 Depth=2
	v_and_b32_e32 v4, 0x7fffffff, v2
	v_mov_b32_e32 v5, v37
	v_cmp_gt_u64_e32 vcc, s[40:41], v[4:5]
	s_and_saveexec_b64 s[54:55], vcc
	s_cbranch_execz .LBB6_4204
; %bb.4197:                             ;   in Loop: Header=BB6_3191 Depth=2
	v_cmp_ne_u32_e32 vcc, 0, v2
	v_mov_b32_e32 v30, 0
	s_and_saveexec_b64 s[56:57], vcc
	s_cbranch_execz .LBB6_4203
; %bb.4198:                             ;   in Loop: Header=BB6_3191 Depth=2
	v_bfe_u32 v2, v2, 23, 8
	v_sub_u32_e32 v4, 0x79, v2
	v_cmp_gt_u32_e32 vcc, s72, v2
	v_add_u32_e32 v3, 0xffffff81, v2
	v_cndmask_b32_e32 v4, 0, v4, vcc
	v_cmp_eq_u32_e32 vcc, 0, v2
	v_mov_b32_e32 v2, 0xffffff82
	v_cndmask_b32_e32 v28, v3, v2, vcc
	v_mov_b32_e32 v2, 0x78
	v_or_b32_e32 v5, 0x800000, v36
	v_cndmask_b32_e32 v29, v4, v2, vcc
	v_cndmask_b32_e32 v36, v5, v36, vcc
	v_add_u32_e32 v2, 20, v29
	v_lshlrev_b64 v[2:3], v2, -1
	v_lshrrev_b64 v[50:51], v29, v[36:37]
	v_not_b32_e32 v3, v3
	v_not_b32_e32 v2, v2
	v_add_u32_e32 v4, 19, v29
	v_lshrrev_b32_e32 v30, 23, v50
	v_and_b32_e32 v3, 0, v3
	v_and_b32_e32 v2, v36, v2
	v_lshlrev_b64 v[4:5], v4, 1
	v_add3_u32 v30, v29, v28, v30
	v_bfe_u32 v28, v50, 20, 1
	v_add_u32_e32 v28, -1, v28
	v_cmp_eq_u64_e32 vcc, v[2:3], v[4:5]
	v_cndmask_b32_e32 v2, 0, v28, vcc
	v_add_u32_e32 v2, v2, v50
	v_and_b32_e32 v2, 0xfffff, v2
	v_add_co_u32_e32 v2, vcc, v2, v50
	v_add_u32_e32 v29, 6, v30
	v_addc_co_u32_e32 v3, vcc, 0, v51, vcc
	v_cmp_ne_u32_e32 vcc, 0, v29
                                        ; implicit-def: $vgpr28
	s_and_saveexec_b64 s[18:19], vcc
	s_xor_b64 s[18:19], exec, s[18:19]
; %bb.4199:                             ;   in Loop: Header=BB6_3191 Depth=2
	v_add_u32_e32 v4, 7, v30
	v_cmp_lt_u64_e32 vcc, s[44:45], v[2:3]
	v_cndmask_b32_e32 v28, v29, v4, vcc
	v_cndmask_b32_e64 v4, 0, 1, vcc
	v_lshrrev_b64 v[2:3], v4, v[2:3]
; %bb.4200:                             ;   in Loop: Header=BB6_3191 Depth=2
	s_andn2_saveexec_b64 s[18:19], s[18:19]
; %bb.4201:                             ;   in Loop: Header=BB6_3191 Depth=2
	v_bfe_u32 v28, v2, 23, 1
; %bb.4202:                             ;   in Loop: Header=BB6_3191 Depth=2
	s_or_b64 exec, exec, s[18:19]
	v_lshrrev_b64 v[2:3], 20, v[2:3]
	v_cmp_gt_i32_e32 vcc, 16, v28
	v_cndmask_b32_e32 v3, 0, v3, vcc
	v_cndmask_b32_e32 v2, 7, v2, vcc
	v_cmp_eq_u64_e64 s[18:19], 0, v[2:3]
	v_min_i32_e32 v3, 15, v28
	v_cmp_eq_u32_e32 vcc, 0, v28
	v_lshlrev_b32_e32 v3, 3, v3
	v_and_or_b32 v2, v2, 7, v3
	s_and_b64 s[18:19], vcc, s[18:19]
	v_cndmask_b32_e64 v2, v2, 0, s[18:19]
	v_or_b32_e32 v30, v2, v14
.LBB6_4203:                             ;   in Loop: Header=BB6_3191 Depth=2
	s_or_b64 exec, exec, s[56:57]
.LBB6_4204:                             ;   in Loop: Header=BB6_3191 Depth=2
	s_or_b64 exec, exec, s[54:55]
                                        ; implicit-def: $vgpr2
.LBB6_4205:                             ;   in Loop: Header=BB6_3191 Depth=2
	s_andn2_saveexec_b64 s[18:19], s[52:53]
; %bb.4206:                             ;   in Loop: Header=BB6_3191 Depth=2
	v_or_b32_sdwa v2, v2, s69 dst_sel:DWORD dst_unused:UNUSED_PAD src0_sel:BYTE_3 src1_sel:DWORD
	v_cmp_eq_u64_e32 vcc, 0, v[36:37]
	v_cndmask_b32_e32 v30, v2, v30, vcc
; %bb.4207:                             ;   in Loop: Header=BB6_3191 Depth=2
	s_or_b64 exec, exec, s[18:19]
	v_cmp_ne_u16_sdwa vcc, v56, v37 src0_sel:BYTE_0 src1_sel:DWORD
	v_mov_b32_e32 v3, 0
	v_mov_b32_e32 v14, 0
	s_and_saveexec_b64 s[18:19], vcc
	s_cbranch_execz .LBB6_4213
; %bb.4208:                             ;   in Loop: Header=BB6_3191 Depth=2
	v_cmp_ne_u16_sdwa vcc, v56, s71 src0_sel:BYTE_0 src1_sel:DWORD
	v_bfrev_b32_e32 v14, 1
	s_and_saveexec_b64 s[52:53], vcc
	s_cbranch_execz .LBB6_4212
; %bb.4209:                             ;   in Loop: Header=BB6_3191 Depth=2
	v_and_b32_e32 v2, 0x7f, v56
	v_cmp_ne_u32_e32 vcc, s69, v2
	v_mov_b32_e32 v14, 0x7f800001
	s_and_saveexec_b64 s[54:55], vcc
	s_cbranch_execz .LBB6_4211
; %bb.4210:                             ;   in Loop: Header=BB6_3191 Depth=2
	v_and_b32_e32 v14, 7, v56
	v_ffbh_u32_e32 v4, v14
	v_min_u32_e32 v29, 32, v4
	v_subrev_u32_e32 v4, 28, v29
	v_lshlrev_b64 v[4:5], v4, v[56:57]
	v_lshrrev_b32_e32 v28, 3, v2
	v_sub_u32_e32 v5, 29, v29
	v_and_b32_e32 v4, 7, v4
	v_cmp_gt_u32_e32 vcc, 8, v2
	v_cndmask_b32_e32 v2, v28, v5, vcc
	v_cndmask_b32_e32 v4, v14, v4, vcc
	v_lshlrev_b32_e32 v5, 24, v56
	v_lshlrev_b32_e32 v4, 20, v4
	v_and_b32_e32 v5, 0x80000000, v5
	v_lshl_add_u32 v2, v2, 23, v21
	v_or3_b32 v14, v5, v2, v4
.LBB6_4211:                             ;   in Loop: Header=BB6_3191 Depth=2
	s_or_b64 exec, exec, s[54:55]
.LBB6_4212:                             ;   in Loop: Header=BB6_3191 Depth=2
	s_or_b64 exec, exec, s[52:53]
.LBB6_4213:                             ;   in Loop: Header=BB6_3191 Depth=2
	s_or_b64 exec, exec, s[18:19]
	v_lshrrev_b32_e32 v2, 16, v10
	v_cmp_ne_u16_sdwa vcc, v2, v37 src0_sel:BYTE_0 src1_sel:DWORD
	s_and_saveexec_b64 s[18:19], vcc
	s_cbranch_execz .LBB6_4219
; %bb.4214:                             ;   in Loop: Header=BB6_3191 Depth=2
	v_cmp_ne_u16_sdwa vcc, v2, s71 src0_sel:BYTE_0 src1_sel:DWORD
	v_bfrev_b32_e32 v3, 1
	s_and_saveexec_b64 s[52:53], vcc
	s_cbranch_execz .LBB6_4218
; %bb.4215:                             ;   in Loop: Header=BB6_3191 Depth=2
	v_bfe_u32 v28, v10, 16, 7
	v_cmp_ne_u32_e32 vcc, s69, v28
	v_mov_b32_e32 v3, 0x7f800001
	s_and_saveexec_b64 s[54:55], vcc
	s_cbranch_execz .LBB6_4217
; %bb.4216:                             ;   in Loop: Header=BB6_3191 Depth=2
	v_and_b32_e32 v4, 7, v2
	v_ffbh_u32_e32 v3, v4
	v_min_u32_e32 v29, 32, v3
	v_subrev_u32_e32 v3, 28, v29
	v_lshlrev_b64 v[2:3], v3, v[2:3]
	v_lshrrev_b32_e32 v5, 3, v28
	v_sub_u32_e32 v3, 29, v29
	v_and_b32_e32 v2, 7, v2
	v_cmp_gt_u32_e32 vcc, 8, v28
	v_cndmask_b32_e32 v3, v5, v3, vcc
	v_cndmask_b32_e32 v2, v4, v2, vcc
	v_lshlrev_b32_e32 v4, 8, v10
	v_lshlrev_b32_e32 v2, 20, v2
	v_and_b32_e32 v4, 0x80000000, v4
	v_lshl_add_u32 v3, v3, 23, v21
	v_or3_b32 v3, v4, v3, v2
.LBB6_4217:                             ;   in Loop: Header=BB6_3191 Depth=2
	s_or_b64 exec, exec, s[54:55]
.LBB6_4218:                             ;   in Loop: Header=BB6_3191 Depth=2
	s_or_b64 exec, exec, s[52:53]
.LBB6_4219:                             ;   in Loop: Header=BB6_3191 Depth=2
	s_or_b64 exec, exec, s[18:19]
	v_add_f32_e32 v2, v14, v3
	v_and_b32_sdwa v14, v2, s71 dst_sel:DWORD dst_unused:UNUSED_PAD src0_sel:BYTE_3 src1_sel:DWORD
	v_and_b32_e32 v4, 0x7f800000, v2
	v_mov_b32_e32 v5, v37
	v_and_b32_e32 v36, 0x7fffff, v2
	v_or_b32_e32 v35, 0x7e, v14
	v_cmp_ne_u64_e32 vcc, s[38:39], v[4:5]
	s_and_saveexec_b64 s[18:19], vcc
	s_xor_b64 s[52:53], exec, s[18:19]
	s_cbranch_execz .LBB6_4229
; %bb.4220:                             ;   in Loop: Header=BB6_3191 Depth=2
	v_and_b32_e32 v4, 0x7fffffff, v2
	v_mov_b32_e32 v5, v37
	v_cmp_gt_u64_e32 vcc, s[40:41], v[4:5]
	s_and_saveexec_b64 s[54:55], vcc
	s_cbranch_execz .LBB6_4228
; %bb.4221:                             ;   in Loop: Header=BB6_3191 Depth=2
	v_cmp_ne_u32_e32 vcc, 0, v2
	v_mov_b32_e32 v35, 0
	s_and_saveexec_b64 s[56:57], vcc
	s_cbranch_execz .LBB6_4227
; %bb.4222:                             ;   in Loop: Header=BB6_3191 Depth=2
	v_bfe_u32 v2, v2, 23, 8
	v_sub_u32_e32 v4, 0x79, v2
	v_cmp_gt_u32_e32 vcc, s72, v2
	v_add_u32_e32 v3, 0xffffff81, v2
	v_cndmask_b32_e32 v4, 0, v4, vcc
	v_cmp_eq_u32_e32 vcc, 0, v2
	v_mov_b32_e32 v2, 0xffffff82
	v_cndmask_b32_e32 v28, v3, v2, vcc
	v_mov_b32_e32 v2, 0x78
	v_or_b32_e32 v5, 0x800000, v36
	v_cndmask_b32_e32 v29, v4, v2, vcc
	v_cndmask_b32_e32 v36, v5, v36, vcc
	v_add_u32_e32 v2, 20, v29
	v_lshlrev_b64 v[2:3], v2, -1
	v_lshrrev_b64 v[50:51], v29, v[36:37]
	v_not_b32_e32 v3, v3
	v_not_b32_e32 v2, v2
	v_add_u32_e32 v4, 19, v29
	v_lshrrev_b32_e32 v35, 23, v50
	v_and_b32_e32 v3, 0, v3
	v_and_b32_e32 v2, v36, v2
	v_lshlrev_b64 v[4:5], v4, 1
	v_add3_u32 v35, v29, v28, v35
	v_bfe_u32 v28, v50, 20, 1
	v_add_u32_e32 v28, -1, v28
	v_cmp_eq_u64_e32 vcc, v[2:3], v[4:5]
	v_cndmask_b32_e32 v2, 0, v28, vcc
	v_add_u32_e32 v2, v2, v50
	v_and_b32_e32 v2, 0xfffff, v2
	v_add_co_u32_e32 v2, vcc, v2, v50
	v_add_u32_e32 v29, 6, v35
	v_addc_co_u32_e32 v3, vcc, 0, v51, vcc
	v_cmp_ne_u32_e32 vcc, 0, v29
                                        ; implicit-def: $vgpr28
	s_and_saveexec_b64 s[18:19], vcc
	s_xor_b64 s[18:19], exec, s[18:19]
; %bb.4223:                             ;   in Loop: Header=BB6_3191 Depth=2
	v_add_u32_e32 v4, 7, v35
	v_cmp_lt_u64_e32 vcc, s[44:45], v[2:3]
	v_cndmask_b32_e32 v28, v29, v4, vcc
	v_cndmask_b32_e64 v4, 0, 1, vcc
	v_lshrrev_b64 v[2:3], v4, v[2:3]
; %bb.4224:                             ;   in Loop: Header=BB6_3191 Depth=2
	s_andn2_saveexec_b64 s[18:19], s[18:19]
; %bb.4225:                             ;   in Loop: Header=BB6_3191 Depth=2
	v_bfe_u32 v28, v2, 23, 1
; %bb.4226:                             ;   in Loop: Header=BB6_3191 Depth=2
	s_or_b64 exec, exec, s[18:19]
	v_lshrrev_b64 v[2:3], 20, v[2:3]
	v_cmp_gt_i32_e32 vcc, 16, v28
	v_cndmask_b32_e32 v3, 0, v3, vcc
	v_cndmask_b32_e32 v2, 7, v2, vcc
	v_cmp_eq_u64_e64 s[18:19], 0, v[2:3]
	v_min_i32_e32 v3, 15, v28
	v_cmp_eq_u32_e32 vcc, 0, v28
	v_lshlrev_b32_e32 v3, 3, v3
	v_and_or_b32 v2, v2, 7, v3
	s_and_b64 s[18:19], vcc, s[18:19]
	v_cndmask_b32_e64 v2, v2, 0, s[18:19]
	v_or_b32_e32 v35, v2, v14
.LBB6_4227:                             ;   in Loop: Header=BB6_3191 Depth=2
	s_or_b64 exec, exec, s[56:57]
.LBB6_4228:                             ;   in Loop: Header=BB6_3191 Depth=2
	s_or_b64 exec, exec, s[54:55]
                                        ; implicit-def: $vgpr2
.LBB6_4229:                             ;   in Loop: Header=BB6_3191 Depth=2
	s_andn2_saveexec_b64 s[18:19], s[52:53]
; %bb.4230:                             ;   in Loop: Header=BB6_3191 Depth=2
	v_or_b32_sdwa v2, v2, s69 dst_sel:DWORD dst_unused:UNUSED_PAD src0_sel:BYTE_3 src1_sel:DWORD
	v_cmp_eq_u64_e32 vcc, 0, v[36:37]
	v_cndmask_b32_e32 v35, v2, v35, vcc
; %bb.4231:                             ;   in Loop: Header=BB6_3191 Depth=2
	s_or_b64 exec, exec, s[18:19]
	v_lshlrev_b32_e32 v2, 8, v34
	v_and_b32_e32 v2, 0xff00, v2
	v_cmp_ne_u32_e32 vcc, 0, v2
	v_mov_b32_e32 v3, 0
	v_mov_b32_e32 v14, 0
	s_and_saveexec_b64 s[18:19], vcc
	s_cbranch_execz .LBB6_4237
; %bb.4232:                             ;   in Loop: Header=BB6_3191 Depth=2
	v_cmp_ne_u32_e32 vcc, s74, v2
	v_bfrev_b32_e32 v14, 1
	s_and_saveexec_b64 s[52:53], vcc
	s_cbranch_execz .LBB6_4236
; %bb.4233:                             ;   in Loop: Header=BB6_3191 Depth=2
	v_bfe_u32 v28, v2, 8, 7
	v_cmp_ne_u32_e32 vcc, s69, v28
	v_mov_b32_e32 v14, 0x7f800001
	s_and_saveexec_b64 s[54:55], vcc
	s_cbranch_execz .LBB6_4235
; %bb.4234:                             ;   in Loop: Header=BB6_3191 Depth=2
	v_lshrrev_b32_e32 v4, 8, v2
	v_and_b32_e32 v14, 7, v4
	v_ffbh_u32_e32 v5, v14
	v_min_u32_e32 v34, 32, v5
	v_subrev_u32_e32 v5, 28, v34
	v_lshlrev_b64 v[4:5], v5, v[4:5]
	v_lshrrev_b32_e32 v29, 3, v28
	v_sub_u32_e32 v5, 29, v34
	v_and_b32_e32 v4, 7, v4
	v_cmp_gt_u32_e32 vcc, 8, v28
	v_cndmask_b32_e32 v5, v29, v5, vcc
	v_cndmask_b32_e32 v4, v14, v4, vcc
	v_lshlrev_b32_e32 v2, 16, v2
	v_lshlrev_b32_e32 v4, 20, v4
	v_and_b32_e32 v2, 0x80000000, v2
	v_lshl_add_u32 v5, v5, 23, v21
	v_or3_b32 v14, v2, v5, v4
.LBB6_4235:                             ;   in Loop: Header=BB6_3191 Depth=2
	s_or_b64 exec, exec, s[54:55]
.LBB6_4236:                             ;   in Loop: Header=BB6_3191 Depth=2
	s_or_b64 exec, exec, s[52:53]
.LBB6_4237:                             ;   in Loop: Header=BB6_3191 Depth=2
	s_or_b64 exec, exec, s[18:19]
	v_cmp_lt_u32_e32 vcc, s43, v10
	s_and_saveexec_b64 s[18:19], vcc
	s_cbranch_execz .LBB6_4243
; %bb.4238:                             ;   in Loop: Header=BB6_3191 Depth=2
	v_lshrrev_b32_e32 v2, 24, v10
	v_cmp_ne_u32_e32 vcc, s71, v2
	v_bfrev_b32_e32 v3, 1
	s_and_saveexec_b64 s[52:53], vcc
	s_cbranch_execz .LBB6_4242
; %bb.4239:                             ;   in Loop: Header=BB6_3191 Depth=2
	v_bfe_u32 v28, v10, 24, 7
	v_cmp_ne_u32_e32 vcc, s69, v28
	v_mov_b32_e32 v3, 0x7f800001
	s_and_saveexec_b64 s[54:55], vcc
	s_cbranch_execz .LBB6_4241
; %bb.4240:                             ;   in Loop: Header=BB6_3191 Depth=2
	v_and_b32_e32 v3, 7, v2
	v_ffbh_u32_e32 v4, v3
	v_min_u32_e32 v34, 32, v4
	v_subrev_u32_e32 v4, 28, v34
	v_lshlrev_b64 v[4:5], v4, v[2:3]
	v_lshrrev_b32_e32 v29, 3, v28
	v_sub_u32_e32 v5, 29, v34
	v_and_b32_e32 v4, 7, v4
	v_cmp_gt_u32_e32 vcc, 8, v28
	v_cndmask_b32_e32 v5, v29, v5, vcc
	v_cndmask_b32_e32 v3, v3, v4, vcc
	v_lshlrev_b32_e32 v2, 24, v2
	v_lshlrev_b32_e32 v3, 20, v3
	v_and_b32_e32 v2, 0x80000000, v2
	v_lshl_add_u32 v4, v5, 23, v21
	v_or3_b32 v3, v2, v4, v3
.LBB6_4241:                             ;   in Loop: Header=BB6_3191 Depth=2
	s_or_b64 exec, exec, s[54:55]
.LBB6_4242:                             ;   in Loop: Header=BB6_3191 Depth=2
	s_or_b64 exec, exec, s[52:53]
.LBB6_4243:                             ;   in Loop: Header=BB6_3191 Depth=2
	s_or_b64 exec, exec, s[18:19]
	v_add_f32_e32 v2, v14, v3
	v_and_b32_sdwa v14, v2, s71 dst_sel:DWORD dst_unused:UNUSED_PAD src0_sel:BYTE_3 src1_sel:DWORD
	v_and_b32_e32 v4, 0x7f800000, v2
	v_mov_b32_e32 v5, v37
	v_and_b32_e32 v36, 0x7fffff, v2
	v_or_b32_e32 v34, 0x7e, v14
	v_cmp_ne_u64_e32 vcc, s[38:39], v[4:5]
	s_and_saveexec_b64 s[18:19], vcc
	s_xor_b64 s[52:53], exec, s[18:19]
	s_cbranch_execz .LBB6_4253
; %bb.4244:                             ;   in Loop: Header=BB6_3191 Depth=2
	v_and_b32_e32 v4, 0x7fffffff, v2
	v_mov_b32_e32 v5, v37
	v_cmp_gt_u64_e32 vcc, s[40:41], v[4:5]
	s_and_saveexec_b64 s[54:55], vcc
	s_cbranch_execz .LBB6_4252
; %bb.4245:                             ;   in Loop: Header=BB6_3191 Depth=2
	v_cmp_ne_u32_e32 vcc, 0, v2
	v_mov_b32_e32 v34, 0
	s_and_saveexec_b64 s[56:57], vcc
	s_cbranch_execz .LBB6_4251
; %bb.4246:                             ;   in Loop: Header=BB6_3191 Depth=2
	v_bfe_u32 v2, v2, 23, 8
	v_sub_u32_e32 v4, 0x79, v2
	v_cmp_gt_u32_e32 vcc, s72, v2
	v_add_u32_e32 v3, 0xffffff81, v2
	v_cndmask_b32_e32 v4, 0, v4, vcc
	v_cmp_eq_u32_e32 vcc, 0, v2
	v_mov_b32_e32 v2, 0xffffff82
	v_cndmask_b32_e32 v28, v3, v2, vcc
	v_mov_b32_e32 v2, 0x78
	v_or_b32_e32 v5, 0x800000, v36
	v_cndmask_b32_e32 v29, v4, v2, vcc
	v_cndmask_b32_e32 v36, v5, v36, vcc
	v_add_u32_e32 v2, 20, v29
	v_lshlrev_b64 v[2:3], v2, -1
	v_lshrrev_b64 v[50:51], v29, v[36:37]
	v_not_b32_e32 v3, v3
	v_not_b32_e32 v2, v2
	v_add_u32_e32 v4, 19, v29
	v_lshrrev_b32_e32 v34, 23, v50
	v_and_b32_e32 v3, 0, v3
	v_and_b32_e32 v2, v36, v2
	v_lshlrev_b64 v[4:5], v4, 1
	v_add3_u32 v34, v29, v28, v34
	v_bfe_u32 v28, v50, 20, 1
	v_add_u32_e32 v28, -1, v28
	v_cmp_eq_u64_e32 vcc, v[2:3], v[4:5]
	v_cndmask_b32_e32 v2, 0, v28, vcc
	v_add_u32_e32 v2, v2, v50
	v_and_b32_e32 v2, 0xfffff, v2
	v_add_co_u32_e32 v2, vcc, v2, v50
	v_add_u32_e32 v29, 6, v34
	v_addc_co_u32_e32 v3, vcc, 0, v51, vcc
	v_cmp_ne_u32_e32 vcc, 0, v29
                                        ; implicit-def: $vgpr28
	s_and_saveexec_b64 s[18:19], vcc
	s_xor_b64 s[18:19], exec, s[18:19]
; %bb.4247:                             ;   in Loop: Header=BB6_3191 Depth=2
	v_add_u32_e32 v4, 7, v34
	v_cmp_lt_u64_e32 vcc, s[44:45], v[2:3]
	v_cndmask_b32_e32 v28, v29, v4, vcc
	v_cndmask_b32_e64 v4, 0, 1, vcc
	v_lshrrev_b64 v[2:3], v4, v[2:3]
; %bb.4248:                             ;   in Loop: Header=BB6_3191 Depth=2
	s_andn2_saveexec_b64 s[18:19], s[18:19]
; %bb.4249:                             ;   in Loop: Header=BB6_3191 Depth=2
	v_bfe_u32 v28, v2, 23, 1
; %bb.4250:                             ;   in Loop: Header=BB6_3191 Depth=2
	s_or_b64 exec, exec, s[18:19]
	v_lshrrev_b64 v[2:3], 20, v[2:3]
	v_cmp_gt_i32_e32 vcc, 16, v28
	v_cndmask_b32_e32 v3, 0, v3, vcc
	v_cndmask_b32_e32 v2, 7, v2, vcc
	v_cmp_eq_u64_e64 s[18:19], 0, v[2:3]
	v_min_i32_e32 v3, 15, v28
	v_cmp_eq_u32_e32 vcc, 0, v28
	v_lshlrev_b32_e32 v3, 3, v3
	v_and_or_b32 v2, v2, 7, v3
	s_and_b64 s[18:19], vcc, s[18:19]
	v_cndmask_b32_e64 v2, v2, 0, s[18:19]
	v_or_b32_e32 v34, v2, v14
.LBB6_4251:                             ;   in Loop: Header=BB6_3191 Depth=2
	s_or_b64 exec, exec, s[56:57]
.LBB6_4252:                             ;   in Loop: Header=BB6_3191 Depth=2
	s_or_b64 exec, exec, s[54:55]
                                        ; implicit-def: $vgpr2
.LBB6_4253:                             ;   in Loop: Header=BB6_3191 Depth=2
	s_andn2_saveexec_b64 s[18:19], s[52:53]
; %bb.4254:                             ;   in Loop: Header=BB6_3191 Depth=2
	v_or_b32_sdwa v2, v2, s69 dst_sel:DWORD dst_unused:UNUSED_PAD src0_sel:BYTE_3 src1_sel:DWORD
	v_cmp_eq_u64_e32 vcc, 0, v[36:37]
	v_cndmask_b32_e32 v34, v2, v34, vcc
; %bb.4255:                             ;   in Loop: Header=BB6_3191 Depth=2
	s_or_b64 exec, exec, s[18:19]
	v_lshlrev_b32_e32 v14, 8, v55
	v_lshlrev_b32_e32 v2, 24, v9
	v_perm_b32 v3, v48, v27, s75
	v_or3_b32 v36, v3, v2, v14
	v_cmp_ne_u16_sdwa vcc, v27, v37 src0_sel:BYTE_0 src1_sel:DWORD
	v_mov_b32_e32 v3, 0
	v_mov_b32_e32 v2, 0
	s_and_saveexec_b64 s[18:19], vcc
	s_cbranch_execz .LBB6_4261
; %bb.4256:                             ;   in Loop: Header=BB6_3191 Depth=2
	v_cmp_ne_u16_sdwa vcc, v27, s71 src0_sel:BYTE_0 src1_sel:DWORD
	v_bfrev_b32_e32 v2, 1
	s_and_saveexec_b64 s[52:53], vcc
	s_cbranch_execz .LBB6_4260
; %bb.4257:                             ;   in Loop: Header=BB6_3191 Depth=2
	v_and_b32_e32 v9, 0x7f, v27
	v_cmp_ne_u32_e32 vcc, s69, v9
	v_mov_b32_e32 v2, 0x7f800001
	s_and_saveexec_b64 s[54:55], vcc
	s_cbranch_execz .LBB6_4259
; %bb.4258:                             ;   in Loop: Header=BB6_3191 Depth=2
	v_and_b32_e32 v2, 7, v27
	v_ffbh_u32_e32 v2, v2
	v_min_u32_e32 v2, 32, v2
	v_lshrrev_b32_e32 v4, 3, v9
	v_subrev_u32_e32 v5, 28, v2
	v_sub_u32_e32 v2, 29, v2
	v_cmp_gt_u32_e32 vcc, 8, v9
	v_cndmask_b32_e32 v2, v4, v2, vcc
	v_cndmask_b32_e32 v4, 0, v5, vcc
	v_lshlrev_b64 v[4:5], v4, v[36:37]
	v_lshlrev_b32_e32 v4, 20, v4
	v_lshlrev_b32_e32 v5, 24, v36
	v_and_b32_e32 v4, 0x700000, v4
	v_and_b32_e32 v5, 0x80000000, v5
	v_lshl_add_u32 v2, v2, 23, v21
	v_or3_b32 v2, v5, v2, v4
.LBB6_4259:                             ;   in Loop: Header=BB6_3191 Depth=2
	s_or_b64 exec, exec, s[54:55]
.LBB6_4260:                             ;   in Loop: Header=BB6_3191 Depth=2
	s_or_b64 exec, exec, s[52:53]
.LBB6_4261:                             ;   in Loop: Header=BB6_3191 Depth=2
	s_or_b64 exec, exec, s[18:19]
	v_cmp_ne_u16_sdwa vcc, v11, v37 src0_sel:BYTE_0 src1_sel:DWORD
	s_and_saveexec_b64 s[18:19], vcc
	s_cbranch_execz .LBB6_4267
; %bb.4262:                             ;   in Loop: Header=BB6_3191 Depth=2
	v_cmp_ne_u16_sdwa vcc, v11, s71 src0_sel:BYTE_0 src1_sel:DWORD
	v_bfrev_b32_e32 v3, 1
	s_and_saveexec_b64 s[52:53], vcc
	s_cbranch_execz .LBB6_4266
; %bb.4263:                             ;   in Loop: Header=BB6_3191 Depth=2
	v_and_b32_e32 v9, 0x7f, v11
	v_cmp_ne_u32_e32 vcc, s69, v9
	v_mov_b32_e32 v3, 0x7f800001
	s_and_saveexec_b64 s[54:55], vcc
	s_cbranch_execz .LBB6_4265
; %bb.4264:                             ;   in Loop: Header=BB6_3191 Depth=2
	v_and_b32_e32 v3, 7, v11
	v_ffbh_u32_e32 v3, v3
	v_min_u32_e32 v3, 32, v3
	v_subrev_u32_e32 v28, 28, v3
	v_cmp_gt_u32_e32 vcc, 8, v9
	v_mov_b32_e32 v4, v11
	v_mov_b32_e32 v5, v37
	v_lshrrev_b32_e32 v27, 3, v9
	v_cndmask_b32_e32 v9, 0, v28, vcc
	v_sub_u32_e32 v3, 29, v3
	v_lshlrev_b64 v[28:29], v9, v[4:5]
	v_cndmask_b32_e32 v3, v27, v3, vcc
	v_lshlrev_b32_e32 v5, 20, v28
	v_lshlrev_b32_e32 v4, 24, v4
	v_and_b32_e32 v5, 0x700000, v5
	v_and_b32_e32 v4, 0x80000000, v4
	v_lshl_add_u32 v3, v3, 23, v21
	v_or3_b32 v3, v4, v3, v5
.LBB6_4265:                             ;   in Loop: Header=BB6_3191 Depth=2
	s_or_b64 exec, exec, s[54:55]
.LBB6_4266:                             ;   in Loop: Header=BB6_3191 Depth=2
	s_or_b64 exec, exec, s[52:53]
.LBB6_4267:                             ;   in Loop: Header=BB6_3191 Depth=2
	s_or_b64 exec, exec, s[18:19]
	v_add_f32_e32 v28, v2, v3
	v_and_b32_sdwa v27, v28, s71 dst_sel:DWORD dst_unused:UNUSED_PAD src0_sel:BYTE_3 src1_sel:DWORD
	v_and_b32_e32 v4, 0x7f800000, v28
	v_mov_b32_e32 v5, v37
	v_and_b32_e32 v2, 0x7fffff, v28
	v_mov_b32_e32 v3, v37
	v_or_b32_e32 v9, 0x7e, v27
	v_cmp_ne_u64_e32 vcc, s[38:39], v[4:5]
	s_and_saveexec_b64 s[18:19], vcc
	s_xor_b64 s[52:53], exec, s[18:19]
	s_cbranch_execz .LBB6_4277
; %bb.4268:                             ;   in Loop: Header=BB6_3191 Depth=2
	v_and_b32_e32 v4, 0x7fffffff, v28
	v_mov_b32_e32 v5, v37
	v_cmp_gt_u64_e32 vcc, s[40:41], v[4:5]
	s_and_saveexec_b64 s[54:55], vcc
	s_cbranch_execz .LBB6_4276
; %bb.4269:                             ;   in Loop: Header=BB6_3191 Depth=2
	v_cmp_ne_u32_e32 vcc, 0, v28
	v_mov_b32_e32 v9, 0
	s_and_saveexec_b64 s[56:57], vcc
	s_cbranch_execz .LBB6_4275
; %bb.4270:                             ;   in Loop: Header=BB6_3191 Depth=2
	v_bfe_u32 v4, v28, 23, 8
	v_sub_u32_e32 v9, 0x79, v4
	v_cmp_gt_u32_e32 vcc, s72, v4
	v_add_u32_e32 v5, 0xffffff81, v4
	v_cndmask_b32_e32 v9, 0, v9, vcc
	v_cmp_eq_u32_e32 vcc, 0, v4
	v_mov_b32_e32 v4, 0xffffff82
	v_cndmask_b32_e32 v29, v5, v4, vcc
	v_mov_b32_e32 v4, 0x78
	v_cndmask_b32_e32 v9, v9, v4, vcc
	v_add_u32_e32 v4, 20, v9
	v_or_b32_e32 v28, 0x800000, v2
	v_lshlrev_b64 v[4:5], v4, -1
	v_cndmask_b32_e32 v2, v28, v2, vcc
	v_not_b32_e32 v4, v4
	v_and_b32_e32 v4, v2, v4
	v_add_u32_e32 v28, 19, v9
	v_lshrrev_b64 v[2:3], v9, v[2:3]
	v_not_b32_e32 v5, v5
	v_lshlrev_b64 v[50:51], v28, 1
	v_lshrrev_b32_e32 v28, 23, v2
	v_and_b32_e32 v5, 0, v5
	v_add3_u32 v29, v9, v29, v28
	v_bfe_u32 v9, v2, 20, 1
	v_add_u32_e32 v9, -1, v9
	v_cmp_eq_u64_e32 vcc, v[4:5], v[50:51]
	v_cndmask_b32_e32 v4, 0, v9, vcc
	v_add_u32_e32 v4, v4, v2
	v_and_b32_e32 v4, 0xfffff, v4
	v_add_co_u32_e32 v2, vcc, v4, v2
	v_add_u32_e32 v28, 6, v29
	v_addc_co_u32_e32 v3, vcc, 0, v3, vcc
	v_cmp_ne_u32_e32 vcc, 0, v28
                                        ; implicit-def: $vgpr9
	s_and_saveexec_b64 s[18:19], vcc
	s_xor_b64 s[18:19], exec, s[18:19]
; %bb.4271:                             ;   in Loop: Header=BB6_3191 Depth=2
	v_add_u32_e32 v4, 7, v29
	v_cmp_lt_u64_e32 vcc, s[44:45], v[2:3]
	v_cndmask_b32_e32 v9, v28, v4, vcc
	v_cndmask_b32_e64 v4, 0, 1, vcc
	v_lshrrev_b64 v[2:3], v4, v[2:3]
; %bb.4272:                             ;   in Loop: Header=BB6_3191 Depth=2
	s_andn2_saveexec_b64 s[18:19], s[18:19]
; %bb.4273:                             ;   in Loop: Header=BB6_3191 Depth=2
	v_bfe_u32 v9, v2, 23, 1
; %bb.4274:                             ;   in Loop: Header=BB6_3191 Depth=2
	s_or_b64 exec, exec, s[18:19]
	v_lshrrev_b64 v[2:3], 20, v[2:3]
	v_cmp_gt_i32_e32 vcc, 16, v9
	v_cndmask_b32_e32 v3, 0, v3, vcc
	v_cndmask_b32_e32 v2, 7, v2, vcc
	v_cmp_eq_u64_e64 s[18:19], 0, v[2:3]
	v_min_i32_e32 v3, 15, v9
	v_cmp_eq_u32_e32 vcc, 0, v9
	v_lshlrev_b32_e32 v3, 3, v3
	v_and_or_b32 v2, v2, 7, v3
	s_and_b64 s[18:19], vcc, s[18:19]
	v_cndmask_b32_e64 v2, v2, 0, s[18:19]
	v_or_b32_e32 v9, v2, v27
.LBB6_4275:                             ;   in Loop: Header=BB6_3191 Depth=2
	s_or_b64 exec, exec, s[56:57]
.LBB6_4276:                             ;   in Loop: Header=BB6_3191 Depth=2
	s_or_b64 exec, exec, s[54:55]
                                        ; implicit-def: $vgpr28
                                        ; implicit-def: $vgpr2_vgpr3
.LBB6_4277:                             ;   in Loop: Header=BB6_3191 Depth=2
	s_andn2_saveexec_b64 s[18:19], s[52:53]
; %bb.4278:                             ;   in Loop: Header=BB6_3191 Depth=2
	v_or_b32_sdwa v4, v28, s69 dst_sel:DWORD dst_unused:UNUSED_PAD src0_sel:BYTE_3 src1_sel:DWORD
	v_cmp_eq_u64_e32 vcc, 0, v[2:3]
	v_cndmask_b32_e32 v9, v4, v9, vcc
; %bb.4279:                             ;   in Loop: Header=BB6_3191 Depth=2
	s_or_b64 exec, exec, s[18:19]
	v_lshrrev_b16_e32 v2, 8, v14
	v_cmp_ne_u16_e32 vcc, 0, v2
	v_mov_b32_e32 v3, 0
	v_mov_b32_e32 v27, 0
	s_and_saveexec_b64 s[18:19], vcc
	s_cbranch_execz .LBB6_4285
; %bb.4280:                             ;   in Loop: Header=BB6_3191 Depth=2
	v_cmp_ne_u16_e32 vcc, s71, v2
	v_bfrev_b32_e32 v27, 1
	s_and_saveexec_b64 s[52:53], vcc
	s_cbranch_execz .LBB6_4284
; %bb.4281:                             ;   in Loop: Header=BB6_3191 Depth=2
	v_and_b32_e32 v28, 0x7f, v2
	v_cmp_ne_u32_e32 vcc, s69, v28
	v_mov_b32_e32 v27, 0x7f800001
	s_and_saveexec_b64 s[54:55], vcc
	s_cbranch_execz .LBB6_4283
; %bb.4282:                             ;   in Loop: Header=BB6_3191 Depth=2
	v_and_b32_e32 v27, 7, v2
	v_ffbh_u32_e32 v4, v27
	v_min_u32_e32 v48, 32, v4
	v_subrev_u32_e32 v4, 28, v48
	v_lshlrev_b64 v[4:5], v4, v[2:3]
	v_lshrrev_b32_e32 v29, 3, v28
	v_sub_u32_e32 v2, 29, v48
	v_and_b32_e32 v4, 7, v4
	v_cmp_gt_u32_e32 vcc, 8, v28
	v_cndmask_b32_e32 v2, v29, v2, vcc
	v_cndmask_b32_e32 v4, v27, v4, vcc
	v_lshlrev_b32_e32 v5, 16, v14
	v_lshlrev_b32_e32 v4, 20, v4
	v_and_b32_e32 v5, 0x80000000, v5
	v_lshl_add_u32 v2, v2, 23, v21
	v_or3_b32 v27, v5, v2, v4
.LBB6_4283:                             ;   in Loop: Header=BB6_3191 Depth=2
	s_or_b64 exec, exec, s[54:55]
.LBB6_4284:                             ;   in Loop: Header=BB6_3191 Depth=2
	s_or_b64 exec, exec, s[52:53]
.LBB6_4285:                             ;   in Loop: Header=BB6_3191 Depth=2
	s_or_b64 exec, exec, s[18:19]
	v_mov_b32_e32 v2, v11
	v_lshrrev_b16_e32 v14, 8, v2
	v_cmp_ne_u16_e32 vcc, 0, v14
	s_and_saveexec_b64 s[18:19], vcc
	s_cbranch_execz .LBB6_4291
; %bb.4286:                             ;   in Loop: Header=BB6_3191 Depth=2
	v_cmp_ne_u16_e32 vcc, s71, v14
	v_bfrev_b32_e32 v3, 1
	s_and_saveexec_b64 s[52:53], vcc
	s_cbranch_execz .LBB6_4290
; %bb.4287:                             ;   in Loop: Header=BB6_3191 Depth=2
	v_and_b32_e32 v28, 0x7f, v14
	v_cmp_ne_u32_e32 vcc, s69, v28
	v_mov_b32_e32 v3, 0x7f800001
	s_and_saveexec_b64 s[54:55], vcc
	s_cbranch_execz .LBB6_4289
; %bb.4288:                             ;   in Loop: Header=BB6_3191 Depth=2
	v_and_b32_e32 v3, 7, v14
	v_ffbh_u32_e32 v4, v3
	v_min_u32_e32 v48, 32, v4
	v_subrev_u32_e32 v4, 28, v48
	v_lshlrev_b64 v[4:5], v4, v[14:15]
	v_lshrrev_b32_e32 v29, 3, v28
	v_sub_u32_e32 v5, 29, v48
	v_and_b32_e32 v4, 7, v4
	v_cmp_gt_u32_e32 vcc, 8, v28
	v_cndmask_b32_e32 v5, v29, v5, vcc
	v_cndmask_b32_e32 v3, v3, v4, vcc
	v_lshlrev_b32_e32 v2, 16, v2
	v_lshlrev_b32_e32 v3, 20, v3
	v_and_b32_e32 v2, 0x80000000, v2
	v_lshl_add_u32 v4, v5, 23, v21
	v_or3_b32 v3, v2, v4, v3
.LBB6_4289:                             ;   in Loop: Header=BB6_3191 Depth=2
	s_or_b64 exec, exec, s[54:55]
.LBB6_4290:                             ;   in Loop: Header=BB6_3191 Depth=2
	s_or_b64 exec, exec, s[52:53]
.LBB6_4291:                             ;   in Loop: Header=BB6_3191 Depth=2
	s_or_b64 exec, exec, s[18:19]
	v_add_f32_e32 v28, v27, v3
	v_and_b32_sdwa v27, v28, s71 dst_sel:DWORD dst_unused:UNUSED_PAD src0_sel:BYTE_3 src1_sel:DWORD
	v_and_b32_e32 v4, 0x7f800000, v28
	v_mov_b32_e32 v5, v37
	v_and_b32_e32 v2, 0x7fffff, v28
	v_mov_b32_e32 v3, v37
	v_or_b32_e32 v14, 0x7e, v27
	v_cmp_ne_u64_e32 vcc, s[38:39], v[4:5]
	s_and_saveexec_b64 s[18:19], vcc
	s_xor_b64 s[52:53], exec, s[18:19]
	s_cbranch_execz .LBB6_4301
; %bb.4292:                             ;   in Loop: Header=BB6_3191 Depth=2
	v_and_b32_e32 v4, 0x7fffffff, v28
	v_mov_b32_e32 v5, v37
	v_cmp_gt_u64_e32 vcc, s[40:41], v[4:5]
	s_and_saveexec_b64 s[54:55], vcc
	s_cbranch_execz .LBB6_4300
; %bb.4293:                             ;   in Loop: Header=BB6_3191 Depth=2
	v_cmp_ne_u32_e32 vcc, 0, v28
	v_mov_b32_e32 v14, 0
	s_and_saveexec_b64 s[56:57], vcc
	s_cbranch_execz .LBB6_4299
; %bb.4294:                             ;   in Loop: Header=BB6_3191 Depth=2
	v_bfe_u32 v4, v28, 23, 8
	v_sub_u32_e32 v14, 0x79, v4
	v_cmp_gt_u32_e32 vcc, s72, v4
	v_add_u32_e32 v5, 0xffffff81, v4
	v_cndmask_b32_e32 v14, 0, v14, vcc
	v_cmp_eq_u32_e32 vcc, 0, v4
	v_mov_b32_e32 v4, 0xffffff82
	v_cndmask_b32_e32 v29, v5, v4, vcc
	v_mov_b32_e32 v4, 0x78
	v_cndmask_b32_e32 v14, v14, v4, vcc
	v_add_u32_e32 v4, 20, v14
	v_or_b32_e32 v28, 0x800000, v2
	v_lshlrev_b64 v[4:5], v4, -1
	v_cndmask_b32_e32 v2, v28, v2, vcc
	v_not_b32_e32 v4, v4
	v_and_b32_e32 v4, v2, v4
	v_add_u32_e32 v28, 19, v14
	v_lshrrev_b64 v[2:3], v14, v[2:3]
	v_not_b32_e32 v5, v5
	v_lshlrev_b64 v[50:51], v28, 1
	v_lshrrev_b32_e32 v28, 23, v2
	v_and_b32_e32 v5, 0, v5
	v_add3_u32 v29, v14, v29, v28
	v_bfe_u32 v14, v2, 20, 1
	v_add_u32_e32 v14, -1, v14
	v_cmp_eq_u64_e32 vcc, v[4:5], v[50:51]
	v_cndmask_b32_e32 v4, 0, v14, vcc
	v_add_u32_e32 v4, v4, v2
	v_and_b32_e32 v4, 0xfffff, v4
	v_add_co_u32_e32 v2, vcc, v4, v2
	v_add_u32_e32 v28, 6, v29
	v_addc_co_u32_e32 v3, vcc, 0, v3, vcc
	v_cmp_ne_u32_e32 vcc, 0, v28
                                        ; implicit-def: $vgpr14
	s_and_saveexec_b64 s[18:19], vcc
	s_xor_b64 s[18:19], exec, s[18:19]
; %bb.4295:                             ;   in Loop: Header=BB6_3191 Depth=2
	v_add_u32_e32 v4, 7, v29
	v_cmp_lt_u64_e32 vcc, s[44:45], v[2:3]
	v_cndmask_b32_e32 v14, v28, v4, vcc
	v_cndmask_b32_e64 v4, 0, 1, vcc
	v_lshrrev_b64 v[2:3], v4, v[2:3]
; %bb.4296:                             ;   in Loop: Header=BB6_3191 Depth=2
	s_andn2_saveexec_b64 s[18:19], s[18:19]
; %bb.4297:                             ;   in Loop: Header=BB6_3191 Depth=2
	v_bfe_u32 v14, v2, 23, 1
; %bb.4298:                             ;   in Loop: Header=BB6_3191 Depth=2
	s_or_b64 exec, exec, s[18:19]
	v_lshrrev_b64 v[2:3], 20, v[2:3]
	v_cmp_gt_i32_e32 vcc, 16, v14
	v_cndmask_b32_e32 v3, 0, v3, vcc
	v_cndmask_b32_e32 v2, 7, v2, vcc
	v_cmp_eq_u64_e64 s[18:19], 0, v[2:3]
	v_min_i32_e32 v3, 15, v14
	v_cmp_eq_u32_e32 vcc, 0, v14
	v_lshlrev_b32_e32 v3, 3, v3
	v_and_or_b32 v2, v2, 7, v3
	s_and_b64 s[18:19], vcc, s[18:19]
	v_cndmask_b32_e64 v2, v2, 0, s[18:19]
	v_or_b32_e32 v14, v2, v27
.LBB6_4299:                             ;   in Loop: Header=BB6_3191 Depth=2
	s_or_b64 exec, exec, s[56:57]
.LBB6_4300:                             ;   in Loop: Header=BB6_3191 Depth=2
	s_or_b64 exec, exec, s[54:55]
                                        ; implicit-def: $vgpr28
                                        ; implicit-def: $vgpr2_vgpr3
.LBB6_4301:                             ;   in Loop: Header=BB6_3191 Depth=2
	s_andn2_saveexec_b64 s[18:19], s[52:53]
; %bb.4302:                             ;   in Loop: Header=BB6_3191 Depth=2
	v_or_b32_sdwa v4, v28, s69 dst_sel:DWORD dst_unused:UNUSED_PAD src0_sel:BYTE_3 src1_sel:DWORD
	v_cmp_eq_u64_e32 vcc, 0, v[2:3]
	v_cndmask_b32_e32 v14, v4, v14, vcc
; %bb.4303:                             ;   in Loop: Header=BB6_3191 Depth=2
	s_or_b64 exec, exec, s[18:19]
	v_lshrrev_b32_e32 v2, 16, v36
	v_cmp_ne_u16_sdwa vcc, v2, v37 src0_sel:BYTE_0 src1_sel:DWORD
	v_mov_b32_e32 v3, 0
	v_mov_b32_e32 v27, 0
	s_and_saveexec_b64 s[18:19], vcc
	s_cbranch_execz .LBB6_4309
; %bb.4304:                             ;   in Loop: Header=BB6_3191 Depth=2
	v_cmp_ne_u16_sdwa vcc, v2, s71 src0_sel:BYTE_0 src1_sel:DWORD
	v_bfrev_b32_e32 v27, 1
	s_and_saveexec_b64 s[52:53], vcc
	s_cbranch_execz .LBB6_4308
; %bb.4305:                             ;   in Loop: Header=BB6_3191 Depth=2
	v_bfe_u32 v28, v36, 16, 7
	v_cmp_ne_u32_e32 vcc, s69, v28
	v_mov_b32_e32 v27, 0x7f800001
	s_and_saveexec_b64 s[54:55], vcc
	s_cbranch_execz .LBB6_4307
; %bb.4306:                             ;   in Loop: Header=BB6_3191 Depth=2
	v_and_b32_e32 v27, 7, v2
	v_ffbh_u32_e32 v4, v27
	v_min_u32_e32 v48, 32, v4
	v_subrev_u32_e32 v4, 28, v48
	v_lshlrev_b64 v[4:5], v4, v[2:3]
	v_lshrrev_b32_e32 v29, 3, v28
	v_sub_u32_e32 v5, 29, v48
	v_and_b32_e32 v4, 7, v4
	v_cmp_gt_u32_e32 vcc, 8, v28
	v_cndmask_b32_e32 v5, v29, v5, vcc
	v_cndmask_b32_e32 v4, v27, v4, vcc
	v_lshlrev_b32_e32 v2, 24, v2
	v_lshlrev_b32_e32 v4, 20, v4
	v_and_b32_e32 v2, 0x80000000, v2
	v_lshl_add_u32 v5, v5, 23, v21
	v_or3_b32 v27, v2, v5, v4
.LBB6_4307:                             ;   in Loop: Header=BB6_3191 Depth=2
	s_or_b64 exec, exec, s[54:55]
.LBB6_4308:                             ;   in Loop: Header=BB6_3191 Depth=2
	s_or_b64 exec, exec, s[52:53]
.LBB6_4309:                             ;   in Loop: Header=BB6_3191 Depth=2
	s_or_b64 exec, exec, s[18:19]
	v_lshrrev_b32_e32 v2, 16, v11
	v_cmp_ne_u16_sdwa vcc, v2, v37 src0_sel:BYTE_0 src1_sel:DWORD
	s_and_saveexec_b64 s[18:19], vcc
	s_cbranch_execz .LBB6_4315
; %bb.4310:                             ;   in Loop: Header=BB6_3191 Depth=2
	v_cmp_ne_u16_sdwa vcc, v2, s71 src0_sel:BYTE_0 src1_sel:DWORD
	v_bfrev_b32_e32 v3, 1
	s_and_saveexec_b64 s[52:53], vcc
	s_cbranch_execz .LBB6_4314
; %bb.4311:                             ;   in Loop: Header=BB6_3191 Depth=2
	v_bfe_u32 v28, v11, 16, 7
	v_cmp_ne_u32_e32 vcc, s69, v28
	v_mov_b32_e32 v3, 0x7f800001
	s_and_saveexec_b64 s[54:55], vcc
	s_cbranch_execz .LBB6_4313
; %bb.4312:                             ;   in Loop: Header=BB6_3191 Depth=2
	v_and_b32_e32 v4, 7, v2
	v_ffbh_u32_e32 v3, v4
	v_min_u32_e32 v29, 32, v3
	v_subrev_u32_e32 v3, 28, v29
	v_lshlrev_b64 v[2:3], v3, v[2:3]
	v_lshrrev_b32_e32 v5, 3, v28
	v_sub_u32_e32 v3, 29, v29
	v_and_b32_e32 v2, 7, v2
	v_cmp_gt_u32_e32 vcc, 8, v28
	v_cndmask_b32_e32 v3, v5, v3, vcc
	v_cndmask_b32_e32 v2, v4, v2, vcc
	v_lshlrev_b32_e32 v4, 8, v11
	v_lshlrev_b32_e32 v2, 20, v2
	v_and_b32_e32 v4, 0x80000000, v4
	v_lshl_add_u32 v3, v3, 23, v21
	v_or3_b32 v3, v4, v3, v2
.LBB6_4313:                             ;   in Loop: Header=BB6_3191 Depth=2
	s_or_b64 exec, exec, s[54:55]
.LBB6_4314:                             ;   in Loop: Header=BB6_3191 Depth=2
	s_or_b64 exec, exec, s[52:53]
.LBB6_4315:                             ;   in Loop: Header=BB6_3191 Depth=2
	s_or_b64 exec, exec, s[18:19]
	v_add_f32_e32 v29, v27, v3
	v_and_b32_sdwa v28, v29, s71 dst_sel:DWORD dst_unused:UNUSED_PAD src0_sel:BYTE_3 src1_sel:DWORD
	v_and_b32_e32 v4, 0x7f800000, v29
	v_mov_b32_e32 v5, v37
	v_and_b32_e32 v2, 0x7fffff, v29
	v_mov_b32_e32 v3, v37
	v_or_b32_e32 v27, 0x7e, v28
	v_cmp_ne_u64_e32 vcc, s[38:39], v[4:5]
	s_and_saveexec_b64 s[18:19], vcc
	s_xor_b64 s[52:53], exec, s[18:19]
	s_cbranch_execz .LBB6_4325
; %bb.4316:                             ;   in Loop: Header=BB6_3191 Depth=2
	v_and_b32_e32 v4, 0x7fffffff, v29
	v_mov_b32_e32 v5, v37
	v_cmp_gt_u64_e32 vcc, s[40:41], v[4:5]
	s_and_saveexec_b64 s[54:55], vcc
	s_cbranch_execz .LBB6_4324
; %bb.4317:                             ;   in Loop: Header=BB6_3191 Depth=2
	v_cmp_ne_u32_e32 vcc, 0, v29
	v_mov_b32_e32 v27, 0
	s_and_saveexec_b64 s[56:57], vcc
	s_cbranch_execz .LBB6_4323
; %bb.4318:                             ;   in Loop: Header=BB6_3191 Depth=2
	v_bfe_u32 v4, v29, 23, 8
	v_sub_u32_e32 v27, 0x79, v4
	v_cmp_gt_u32_e32 vcc, s72, v4
	v_add_u32_e32 v5, 0xffffff81, v4
	v_cndmask_b32_e32 v27, 0, v27, vcc
	v_cmp_eq_u32_e32 vcc, 0, v4
	v_mov_b32_e32 v4, 0xffffff82
	v_cndmask_b32_e32 v48, v5, v4, vcc
	v_mov_b32_e32 v4, 0x78
	v_cndmask_b32_e32 v27, v27, v4, vcc
	v_add_u32_e32 v4, 20, v27
	v_or_b32_e32 v29, 0x800000, v2
	v_lshlrev_b64 v[4:5], v4, -1
	v_cndmask_b32_e32 v2, v29, v2, vcc
	v_not_b32_e32 v4, v4
	v_and_b32_e32 v4, v2, v4
	v_add_u32_e32 v29, 19, v27
	v_lshrrev_b64 v[2:3], v27, v[2:3]
	v_not_b32_e32 v5, v5
	v_lshlrev_b64 v[50:51], v29, 1
	v_lshrrev_b32_e32 v29, 23, v2
	v_and_b32_e32 v5, 0, v5
	v_add3_u32 v48, v27, v48, v29
	v_bfe_u32 v27, v2, 20, 1
	v_add_u32_e32 v27, -1, v27
	v_cmp_eq_u64_e32 vcc, v[4:5], v[50:51]
	v_cndmask_b32_e32 v4, 0, v27, vcc
	v_add_u32_e32 v4, v4, v2
	v_and_b32_e32 v4, 0xfffff, v4
	v_add_co_u32_e32 v2, vcc, v4, v2
	v_add_u32_e32 v29, 6, v48
	v_addc_co_u32_e32 v3, vcc, 0, v3, vcc
	v_cmp_ne_u32_e32 vcc, 0, v29
                                        ; implicit-def: $vgpr27
	s_and_saveexec_b64 s[18:19], vcc
	s_xor_b64 s[18:19], exec, s[18:19]
; %bb.4319:                             ;   in Loop: Header=BB6_3191 Depth=2
	v_add_u32_e32 v4, 7, v48
	v_cmp_lt_u64_e32 vcc, s[44:45], v[2:3]
	v_cndmask_b32_e32 v27, v29, v4, vcc
	v_cndmask_b32_e64 v4, 0, 1, vcc
	v_lshrrev_b64 v[2:3], v4, v[2:3]
; %bb.4320:                             ;   in Loop: Header=BB6_3191 Depth=2
	s_andn2_saveexec_b64 s[18:19], s[18:19]
; %bb.4321:                             ;   in Loop: Header=BB6_3191 Depth=2
	v_bfe_u32 v27, v2, 23, 1
; %bb.4322:                             ;   in Loop: Header=BB6_3191 Depth=2
	s_or_b64 exec, exec, s[18:19]
	v_lshrrev_b64 v[2:3], 20, v[2:3]
	v_cmp_gt_i32_e32 vcc, 16, v27
	v_cndmask_b32_e32 v3, 0, v3, vcc
	v_cndmask_b32_e32 v2, 7, v2, vcc
	v_cmp_eq_u64_e64 s[18:19], 0, v[2:3]
	v_min_i32_e32 v3, 15, v27
	v_lshlrev_b32_e32 v3, 3, v3
	v_cmp_eq_u32_e32 vcc, 0, v27
	v_and_b32_e32 v3, 0xf8, v3
	v_and_or_b32 v2, v2, 7, v3
	s_and_b64 s[18:19], vcc, s[18:19]
	v_cndmask_b32_e64 v2, v2, 0, s[18:19]
	v_or_b32_e32 v27, v2, v28
.LBB6_4323:                             ;   in Loop: Header=BB6_3191 Depth=2
	s_or_b64 exec, exec, s[56:57]
.LBB6_4324:                             ;   in Loop: Header=BB6_3191 Depth=2
	s_or_b64 exec, exec, s[54:55]
                                        ; implicit-def: $vgpr29
                                        ; implicit-def: $vgpr2_vgpr3
.LBB6_4325:                             ;   in Loop: Header=BB6_3191 Depth=2
	s_andn2_saveexec_b64 s[18:19], s[52:53]
; %bb.4326:                             ;   in Loop: Header=BB6_3191 Depth=2
	v_or_b32_sdwa v4, v29, s69 dst_sel:DWORD dst_unused:UNUSED_PAD src0_sel:BYTE_3 src1_sel:DWORD
	v_cmp_eq_u64_e32 vcc, 0, v[2:3]
	v_cndmask_b32_e32 v27, v4, v27, vcc
; %bb.4327:                             ;   in Loop: Header=BB6_3191 Depth=2
	s_or_b64 exec, exec, s[18:19]
	v_cmp_lt_u32_e32 vcc, s43, v36
	v_mov_b32_e32 v3, 0
	v_mov_b32_e32 v28, 0
	s_and_saveexec_b64 s[18:19], vcc
	s_cbranch_execz .LBB6_4333
; %bb.4328:                             ;   in Loop: Header=BB6_3191 Depth=2
	v_lshrrev_b32_e32 v2, 24, v36
	v_cmp_ne_u32_sdwa vcc, v36, s71 src0_sel:BYTE_3 src1_sel:DWORD
	v_bfrev_b32_e32 v28, 1
	s_and_saveexec_b64 s[52:53], vcc
	s_cbranch_execz .LBB6_4332
; %bb.4329:                             ;   in Loop: Header=BB6_3191 Depth=2
	v_bfe_u32 v29, v36, 24, 7
	v_cmp_ne_u32_e32 vcc, s69, v29
	v_mov_b32_e32 v28, 0x7f800001
	s_and_saveexec_b64 s[54:55], vcc
	s_cbranch_execz .LBB6_4331
; %bb.4330:                             ;   in Loop: Header=BB6_3191 Depth=2
	v_and_b32_e32 v28, 7, v2
	v_ffbh_u32_e32 v4, v28
	v_min_u32_e32 v50, 32, v4
	v_subrev_u32_e32 v4, 28, v50
	v_lshlrev_b64 v[4:5], v4, v[2:3]
	v_lshrrev_b32_e32 v48, 3, v29
	v_sub_u32_e32 v2, 29, v50
	v_and_b32_e32 v4, 7, v4
	v_cmp_gt_u32_e32 vcc, 8, v29
	v_mov_b32_e32 v5, 24
	v_cndmask_b32_e32 v2, v48, v2, vcc
	v_cndmask_b32_e32 v4, v28, v4, vcc
	v_lshlrev_b32_sdwa v5, v5, v36 dst_sel:DWORD dst_unused:UNUSED_PAD src0_sel:DWORD src1_sel:BYTE_3
	v_lshlrev_b32_e32 v4, 20, v4
	v_and_b32_e32 v5, 0x80000000, v5
	v_lshl_add_u32 v2, v2, 23, v21
	v_or3_b32 v28, v5, v2, v4
.LBB6_4331:                             ;   in Loop: Header=BB6_3191 Depth=2
	s_or_b64 exec, exec, s[54:55]
.LBB6_4332:                             ;   in Loop: Header=BB6_3191 Depth=2
	s_or_b64 exec, exec, s[52:53]
.LBB6_4333:                             ;   in Loop: Header=BB6_3191 Depth=2
	s_or_b64 exec, exec, s[18:19]
	v_cmp_lt_u64_e32 vcc, s[42:43], v[10:11]
	s_and_saveexec_b64 s[18:19], vcc
	s_cbranch_execz .LBB6_4339
; %bb.4334:                             ;   in Loop: Header=BB6_3191 Depth=2
	v_lshrrev_b32_e32 v2, 24, v11
	v_cmp_ne_u32_e32 vcc, s71, v2
	v_bfrev_b32_e32 v3, 1
	s_and_saveexec_b64 s[52:53], vcc
	s_cbranch_execz .LBB6_4338
; %bb.4335:                             ;   in Loop: Header=BB6_3191 Depth=2
	v_bfe_u32 v10, v11, 24, 7
	v_cmp_ne_u32_e32 vcc, s69, v10
	v_mov_b32_e32 v3, 0x7f800001
	s_and_saveexec_b64 s[54:55], vcc
	s_cbranch_execz .LBB6_4337
; %bb.4336:                             ;   in Loop: Header=BB6_3191 Depth=2
	v_and_b32_e32 v3, 7, v2
	v_ffbh_u32_e32 v4, v3
	v_min_u32_e32 v29, 32, v4
	v_subrev_u32_e32 v4, 28, v29
	v_lshlrev_b64 v[4:5], v4, v[2:3]
	v_lshrrev_b32_e32 v11, 3, v10
	v_sub_u32_e32 v5, 29, v29
	v_and_b32_e32 v4, 7, v4
	v_cmp_gt_u32_e32 vcc, 8, v10
	v_cndmask_b32_e32 v5, v11, v5, vcc
	v_cndmask_b32_e32 v3, v3, v4, vcc
	v_lshlrev_b32_e32 v2, 24, v2
	v_lshlrev_b32_e32 v3, 20, v3
	v_and_b32_e32 v2, 0x80000000, v2
	v_lshl_add_u32 v4, v5, 23, v21
	v_or3_b32 v3, v2, v4, v3
.LBB6_4337:                             ;   in Loop: Header=BB6_3191 Depth=2
	s_or_b64 exec, exec, s[54:55]
.LBB6_4338:                             ;   in Loop: Header=BB6_3191 Depth=2
	s_or_b64 exec, exec, s[52:53]
.LBB6_4339:                             ;   in Loop: Header=BB6_3191 Depth=2
	s_or_b64 exec, exec, s[18:19]
	v_add_f32_e32 v2, v28, v3
	v_and_b32_sdwa v10, v2, s71 dst_sel:DWORD dst_unused:UNUSED_PAD src0_sel:BYTE_3 src1_sel:DWORD
	v_and_b32_e32 v4, 0x7f800000, v2
	v_mov_b32_e32 v5, v37
	v_and_b32_e32 v36, 0x7fffff, v2
	v_or_b32_e32 v11, 0x7e, v10
	v_cmp_ne_u64_e32 vcc, s[38:39], v[4:5]
	s_and_saveexec_b64 s[18:19], vcc
	s_xor_b64 s[52:53], exec, s[18:19]
	s_cbranch_execz .LBB6_4349
; %bb.4340:                             ;   in Loop: Header=BB6_3191 Depth=2
	v_and_b32_e32 v4, 0x7fffffff, v2
	v_mov_b32_e32 v5, v37
	v_cmp_gt_u64_e32 vcc, s[40:41], v[4:5]
	s_and_saveexec_b64 s[54:55], vcc
	s_cbranch_execz .LBB6_4348
; %bb.4341:                             ;   in Loop: Header=BB6_3191 Depth=2
	v_cmp_ne_u32_e32 vcc, 0, v2
	v_mov_b32_e32 v11, 0
	s_and_saveexec_b64 s[56:57], vcc
	s_cbranch_execz .LBB6_4347
; %bb.4342:                             ;   in Loop: Header=BB6_3191 Depth=2
	v_bfe_u32 v2, v2, 23, 8
	v_sub_u32_e32 v4, 0x79, v2
	v_cmp_gt_u32_e32 vcc, s72, v2
	v_add_u32_e32 v3, 0xffffff81, v2
	v_cndmask_b32_e32 v4, 0, v4, vcc
	v_cmp_eq_u32_e32 vcc, 0, v2
	v_mov_b32_e32 v2, 0xffffff82
	v_cndmask_b32_e32 v11, v3, v2, vcc
	v_mov_b32_e32 v2, 0x78
	v_or_b32_e32 v5, 0x800000, v36
	v_cndmask_b32_e32 v28, v4, v2, vcc
	v_cndmask_b32_e32 v36, v5, v36, vcc
	v_add_u32_e32 v2, 20, v28
	v_lshlrev_b64 v[2:3], v2, -1
	v_lshrrev_b64 v[50:51], v28, v[36:37]
	v_not_b32_e32 v3, v3
	v_not_b32_e32 v2, v2
	v_add_u32_e32 v4, 19, v28
	v_lshrrev_b32_e32 v29, 23, v50
	v_and_b32_e32 v3, 0, v3
	v_and_b32_e32 v2, v36, v2
	v_lshlrev_b64 v[4:5], v4, 1
	v_add3_u32 v29, v28, v11, v29
	v_bfe_u32 v11, v50, 20, 1
	v_add_u32_e32 v11, -1, v11
	v_cmp_eq_u64_e32 vcc, v[2:3], v[4:5]
	v_cndmask_b32_e32 v2, 0, v11, vcc
	v_add_u32_e32 v2, v2, v50
	v_and_b32_e32 v2, 0xfffff, v2
	v_add_co_u32_e32 v2, vcc, v2, v50
	v_add_u32_e32 v28, 6, v29
	v_addc_co_u32_e32 v3, vcc, 0, v51, vcc
	v_cmp_ne_u32_e32 vcc, 0, v28
                                        ; implicit-def: $vgpr11
	s_and_saveexec_b64 s[18:19], vcc
	s_xor_b64 s[18:19], exec, s[18:19]
; %bb.4343:                             ;   in Loop: Header=BB6_3191 Depth=2
	v_add_u32_e32 v4, 7, v29
	v_cmp_lt_u64_e32 vcc, s[44:45], v[2:3]
	v_cndmask_b32_e32 v11, v28, v4, vcc
	v_cndmask_b32_e64 v4, 0, 1, vcc
	v_lshrrev_b64 v[2:3], v4, v[2:3]
; %bb.4344:                             ;   in Loop: Header=BB6_3191 Depth=2
	s_andn2_saveexec_b64 s[18:19], s[18:19]
; %bb.4345:                             ;   in Loop: Header=BB6_3191 Depth=2
	v_bfe_u32 v11, v2, 23, 1
; %bb.4346:                             ;   in Loop: Header=BB6_3191 Depth=2
	s_or_b64 exec, exec, s[18:19]
	v_lshrrev_b64 v[2:3], 20, v[2:3]
	v_cmp_gt_i32_e32 vcc, 16, v11
	v_cndmask_b32_e32 v3, 0, v3, vcc
	v_cndmask_b32_e32 v2, 7, v2, vcc
	v_cmp_eq_u64_e64 s[18:19], 0, v[2:3]
	v_min_i32_e32 v3, 15, v11
	v_lshlrev_b32_e32 v3, 3, v3
	v_cmp_eq_u32_e32 vcc, 0, v11
	v_and_b32_e32 v3, 0xf8, v3
	v_and_or_b32 v2, v2, 7, v3
	s_and_b64 s[18:19], vcc, s[18:19]
	v_cndmask_b32_e64 v2, v2, 0, s[18:19]
	v_or_b32_e32 v11, v2, v10
.LBB6_4347:                             ;   in Loop: Header=BB6_3191 Depth=2
	s_or_b64 exec, exec, s[56:57]
.LBB6_4348:                             ;   in Loop: Header=BB6_3191 Depth=2
	s_or_b64 exec, exec, s[54:55]
                                        ; implicit-def: $vgpr2
.LBB6_4349:                             ;   in Loop: Header=BB6_3191 Depth=2
	s_andn2_saveexec_b64 s[18:19], s[52:53]
; %bb.4350:                             ;   in Loop: Header=BB6_3191 Depth=2
	v_or_b32_sdwa v2, v2, s69 dst_sel:DWORD dst_unused:UNUSED_PAD src0_sel:BYTE_3 src1_sel:DWORD
	v_cmp_eq_u64_e32 vcc, 0, v[36:37]
	v_cndmask_b32_e32 v11, v2, v11, vcc
; %bb.4351:                             ;   in Loop: Header=BB6_3191 Depth=2
	s_or_b64 exec, exec, s[18:19]
	v_lshlrev_b32_e32 v10, 8, v33
	v_cmp_ne_u16_sdwa vcc, v18, v37 src0_sel:BYTE_0 src1_sel:DWORD
	v_mov_b32_e32 v2, 0
	v_mov_b32_e32 v3, 0
	s_and_saveexec_b64 s[18:19], vcc
	s_cbranch_execz .LBB6_4357
; %bb.4352:                             ;   in Loop: Header=BB6_3191 Depth=2
	v_cmp_ne_u16_sdwa vcc, v18, s71 src0_sel:BYTE_0 src1_sel:DWORD
	v_bfrev_b32_e32 v3, 1
	s_and_saveexec_b64 s[52:53], vcc
	s_cbranch_execz .LBB6_4356
; %bb.4353:                             ;   in Loop: Header=BB6_3191 Depth=2
	v_and_b32_e32 v28, 0x7f, v18
	v_cmp_ne_u32_e32 vcc, s69, v28
	v_mov_b32_e32 v3, 0x7f800001
	s_and_saveexec_b64 s[54:55], vcc
	s_cbranch_execz .LBB6_4355
; %bb.4354:                             ;   in Loop: Header=BB6_3191 Depth=2
	v_and_b32_e32 v3, 7, v18
	v_ffbh_u32_e32 v3, v3
	v_min_u32_e32 v3, 32, v3
	v_lshrrev_b32_e32 v5, 3, v28
	v_subrev_u32_e32 v29, 28, v3
	v_sub_u32_e32 v3, 29, v3
	v_cmp_gt_u32_e32 vcc, 8, v28
	v_perm_b32 v4, v10, v18, s73
	v_cndmask_b32_e32 v3, v5, v3, vcc
	v_cndmask_b32_e32 v5, 0, v29, vcc
	v_lshlrev_b64 v[4:5], v5, v[4:5]
	v_lshlrev_b32_e32 v4, 20, v4
	v_lshlrev_b32_e32 v5, 24, v18
	v_and_b32_e32 v4, 0x700000, v4
	v_and_b32_e32 v5, 0x80000000, v5
	v_lshl_add_u32 v3, v3, 23, v21
	v_or3_b32 v3, v5, v3, v4
.LBB6_4355:                             ;   in Loop: Header=BB6_3191 Depth=2
	s_or_b64 exec, exec, s[54:55]
.LBB6_4356:                             ;   in Loop: Header=BB6_3191 Depth=2
	s_or_b64 exec, exec, s[52:53]
.LBB6_4357:                             ;   in Loop: Header=BB6_3191 Depth=2
	s_or_b64 exec, exec, s[18:19]
	v_cmp_ne_u16_sdwa vcc, v12, v37 src0_sel:BYTE_0 src1_sel:DWORD
	s_and_saveexec_b64 s[18:19], vcc
	s_cbranch_execz .LBB6_4363
; %bb.4358:                             ;   in Loop: Header=BB6_3191 Depth=2
	v_cmp_ne_u16_sdwa vcc, v12, s71 src0_sel:BYTE_0 src1_sel:DWORD
	v_bfrev_b32_e32 v2, 1
	s_and_saveexec_b64 s[52:53], vcc
	s_cbranch_execz .LBB6_4362
; %bb.4359:                             ;   in Loop: Header=BB6_3191 Depth=2
	v_and_b32_e32 v18, 0x7f, v12
	v_cmp_ne_u32_e32 vcc, s69, v18
	v_mov_b32_e32 v2, 0x7f800001
	s_and_saveexec_b64 s[54:55], vcc
	s_cbranch_execz .LBB6_4361
; %bb.4360:                             ;   in Loop: Header=BB6_3191 Depth=2
	v_and_b32_e32 v2, 7, v12
	v_ffbh_u32_e32 v2, v2
	v_min_u32_e32 v2, 32, v2
	v_lshrrev_b32_e32 v4, 3, v18
	v_subrev_u32_e32 v5, 28, v2
	v_sub_u32_e32 v2, 29, v2
	v_cmp_gt_u32_e32 vcc, 8, v18
	v_cndmask_b32_e32 v2, v4, v2, vcc
	v_cndmask_b32_e32 v4, 0, v5, vcc
	v_lshlrev_b64 v[4:5], v4, v[12:13]
	v_lshlrev_b32_e32 v4, 20, v4
	v_lshlrev_b32_e32 v5, 24, v12
	v_and_b32_e32 v4, 0x700000, v4
	v_and_b32_e32 v5, 0x80000000, v5
	v_lshl_add_u32 v2, v2, 23, v21
	v_or3_b32 v2, v5, v2, v4
.LBB6_4361:                             ;   in Loop: Header=BB6_3191 Depth=2
	s_or_b64 exec, exec, s[54:55]
.LBB6_4362:                             ;   in Loop: Header=BB6_3191 Depth=2
	s_or_b64 exec, exec, s[52:53]
.LBB6_4363:                             ;   in Loop: Header=BB6_3191 Depth=2
	s_or_b64 exec, exec, s[18:19]
	v_add_f32_e32 v2, v3, v2
	v_and_b32_sdwa v28, v2, s71 dst_sel:DWORD dst_unused:UNUSED_PAD src0_sel:BYTE_3 src1_sel:DWORD
	v_and_b32_e32 v4, 0x7f800000, v2
	v_mov_b32_e32 v5, v37
	v_and_b32_e32 v36, 0x7fffff, v2
	v_or_b32_e32 v18, 0x7e, v28
	v_cmp_ne_u64_e32 vcc, s[38:39], v[4:5]
	s_and_saveexec_b64 s[18:19], vcc
	s_xor_b64 s[52:53], exec, s[18:19]
	s_cbranch_execz .LBB6_4373
; %bb.4364:                             ;   in Loop: Header=BB6_3191 Depth=2
	v_and_b32_e32 v4, 0x7fffffff, v2
	v_mov_b32_e32 v5, v37
	v_cmp_gt_u64_e32 vcc, s[40:41], v[4:5]
	s_and_saveexec_b64 s[54:55], vcc
	s_cbranch_execz .LBB6_4372
; %bb.4365:                             ;   in Loop: Header=BB6_3191 Depth=2
	v_cmp_ne_u32_e32 vcc, 0, v2
	v_mov_b32_e32 v18, 0
	s_and_saveexec_b64 s[56:57], vcc
	s_cbranch_execz .LBB6_4371
; %bb.4366:                             ;   in Loop: Header=BB6_3191 Depth=2
	v_bfe_u32 v2, v2, 23, 8
	v_sub_u32_e32 v4, 0x79, v2
	v_cmp_gt_u32_e32 vcc, s72, v2
	v_add_u32_e32 v3, 0xffffff81, v2
	v_cndmask_b32_e32 v4, 0, v4, vcc
	v_cmp_eq_u32_e32 vcc, 0, v2
	v_mov_b32_e32 v2, 0xffffff82
	v_cndmask_b32_e32 v18, v3, v2, vcc
	v_mov_b32_e32 v2, 0x78
	v_or_b32_e32 v5, 0x800000, v36
	v_cndmask_b32_e32 v29, v4, v2, vcc
	v_cndmask_b32_e32 v36, v5, v36, vcc
	v_add_u32_e32 v2, 20, v29
	v_lshlrev_b64 v[2:3], v2, -1
	v_lshrrev_b64 v[50:51], v29, v[36:37]
	v_not_b32_e32 v3, v3
	v_not_b32_e32 v2, v2
	v_add_u32_e32 v4, 19, v29
	v_lshrrev_b32_e32 v33, 23, v50
	v_and_b32_e32 v3, 0, v3
	v_and_b32_e32 v2, v36, v2
	v_lshlrev_b64 v[4:5], v4, 1
	v_add3_u32 v33, v29, v18, v33
	v_bfe_u32 v18, v50, 20, 1
	v_add_u32_e32 v18, -1, v18
	v_cmp_eq_u64_e32 vcc, v[2:3], v[4:5]
	v_cndmask_b32_e32 v2, 0, v18, vcc
	v_add_u32_e32 v2, v2, v50
	v_and_b32_e32 v2, 0xfffff, v2
	v_add_co_u32_e32 v2, vcc, v2, v50
	v_add_u32_e32 v29, 6, v33
	v_addc_co_u32_e32 v3, vcc, 0, v51, vcc
	v_cmp_ne_u32_e32 vcc, 0, v29
                                        ; implicit-def: $vgpr18
	s_and_saveexec_b64 s[18:19], vcc
	s_xor_b64 s[18:19], exec, s[18:19]
; %bb.4367:                             ;   in Loop: Header=BB6_3191 Depth=2
	v_add_u32_e32 v4, 7, v33
	v_cmp_lt_u64_e32 vcc, s[44:45], v[2:3]
	v_cndmask_b32_e32 v18, v29, v4, vcc
	v_cndmask_b32_e64 v4, 0, 1, vcc
	v_lshrrev_b64 v[2:3], v4, v[2:3]
; %bb.4368:                             ;   in Loop: Header=BB6_3191 Depth=2
	s_andn2_saveexec_b64 s[18:19], s[18:19]
; %bb.4369:                             ;   in Loop: Header=BB6_3191 Depth=2
	v_bfe_u32 v18, v2, 23, 1
; %bb.4370:                             ;   in Loop: Header=BB6_3191 Depth=2
	s_or_b64 exec, exec, s[18:19]
	v_lshrrev_b64 v[2:3], 20, v[2:3]
	v_cmp_gt_i32_e32 vcc, 16, v18
	v_cndmask_b32_e32 v3, 0, v3, vcc
	v_cndmask_b32_e32 v2, 7, v2, vcc
	v_cmp_eq_u64_e64 s[18:19], 0, v[2:3]
	v_min_i32_e32 v3, 15, v18
	v_cmp_eq_u32_e32 vcc, 0, v18
	v_lshlrev_b32_e32 v3, 3, v3
	v_and_or_b32 v2, v2, 7, v3
	s_and_b64 s[18:19], vcc, s[18:19]
	v_cndmask_b32_e64 v2, v2, 0, s[18:19]
	v_or_b32_e32 v18, v2, v28
.LBB6_4371:                             ;   in Loop: Header=BB6_3191 Depth=2
	s_or_b64 exec, exec, s[56:57]
.LBB6_4372:                             ;   in Loop: Header=BB6_3191 Depth=2
	s_or_b64 exec, exec, s[54:55]
                                        ; implicit-def: $vgpr2
.LBB6_4373:                             ;   in Loop: Header=BB6_3191 Depth=2
	s_andn2_saveexec_b64 s[18:19], s[52:53]
; %bb.4374:                             ;   in Loop: Header=BB6_3191 Depth=2
	v_or_b32_sdwa v2, v2, s69 dst_sel:DWORD dst_unused:UNUSED_PAD src0_sel:BYTE_3 src1_sel:DWORD
	v_cmp_eq_u64_e32 vcc, 0, v[36:37]
	v_cndmask_b32_e32 v18, v2, v18, vcc
; %bb.4375:                             ;   in Loop: Header=BB6_3191 Depth=2
	s_or_b64 exec, exec, s[18:19]
	v_lshrrev_b16_e32 v2, 8, v10
	v_cmp_ne_u16_e32 vcc, 0, v2
	v_mov_b32_e32 v3, 0
	v_mov_b32_e32 v28, 0
	s_and_saveexec_b64 s[18:19], vcc
	s_cbranch_execz .LBB6_4381
; %bb.4376:                             ;   in Loop: Header=BB6_3191 Depth=2
	v_cmp_ne_u16_e32 vcc, s71, v2
	v_bfrev_b32_e32 v28, 1
	s_and_saveexec_b64 s[52:53], vcc
	s_cbranch_execz .LBB6_4380
; %bb.4377:                             ;   in Loop: Header=BB6_3191 Depth=2
	v_and_b32_e32 v29, 0x7f, v2
	v_cmp_ne_u32_e32 vcc, s69, v29
	v_mov_b32_e32 v28, 0x7f800001
	s_and_saveexec_b64 s[54:55], vcc
	s_cbranch_execz .LBB6_4379
; %bb.4378:                             ;   in Loop: Header=BB6_3191 Depth=2
	v_and_b32_e32 v28, 7, v2
	v_ffbh_u32_e32 v4, v28
	v_min_u32_e32 v36, 32, v4
	v_subrev_u32_e32 v4, 28, v36
	v_lshlrev_b64 v[4:5], v4, v[2:3]
	v_lshrrev_b32_e32 v33, 3, v29
	v_sub_u32_e32 v2, 29, v36
	v_and_b32_e32 v4, 7, v4
	v_cmp_gt_u32_e32 vcc, 8, v29
	v_cndmask_b32_e32 v2, v33, v2, vcc
	v_cndmask_b32_e32 v4, v28, v4, vcc
	v_lshlrev_b32_e32 v5, 16, v10
	v_lshlrev_b32_e32 v4, 20, v4
	v_and_b32_e32 v5, 0x80000000, v5
	v_lshl_add_u32 v2, v2, 23, v21
	v_or3_b32 v28, v5, v2, v4
.LBB6_4379:                             ;   in Loop: Header=BB6_3191 Depth=2
	s_or_b64 exec, exec, s[54:55]
.LBB6_4380:                             ;   in Loop: Header=BB6_3191 Depth=2
	s_or_b64 exec, exec, s[52:53]
.LBB6_4381:                             ;   in Loop: Header=BB6_3191 Depth=2
	s_or_b64 exec, exec, s[18:19]
	v_lshrrev_b16_e32 v2, 8, v12
	v_cmp_ne_u16_e32 vcc, 0, v2
	s_and_saveexec_b64 s[18:19], vcc
	s_cbranch_execz .LBB6_4387
; %bb.4382:                             ;   in Loop: Header=BB6_3191 Depth=2
	v_cmp_ne_u16_e32 vcc, s71, v2
	v_bfrev_b32_e32 v3, 1
	s_and_saveexec_b64 s[52:53], vcc
	s_cbranch_execz .LBB6_4386
; %bb.4383:                             ;   in Loop: Header=BB6_3191 Depth=2
	v_and_b32_e32 v10, 0x7f, v2
	v_cmp_ne_u32_e32 vcc, s69, v10
	v_mov_b32_e32 v3, 0x7f800001
	s_and_saveexec_b64 s[54:55], vcc
	s_cbranch_execz .LBB6_4385
; %bb.4384:                             ;   in Loop: Header=BB6_3191 Depth=2
	v_and_b32_e32 v4, 7, v2
	v_ffbh_u32_e32 v3, v4
	v_min_u32_e32 v29, 32, v3
	v_subrev_u32_e32 v3, 28, v29
	v_lshlrev_b64 v[2:3], v3, v[2:3]
	v_lshrrev_b32_e32 v5, 3, v10
	v_sub_u32_e32 v3, 29, v29
	v_and_b32_e32 v2, 7, v2
	v_cmp_gt_u32_e32 vcc, 8, v10
	v_cndmask_b32_e32 v3, v5, v3, vcc
	v_cndmask_b32_e32 v2, v4, v2, vcc
	v_lshlrev_b32_e32 v4, 16, v12
	v_lshlrev_b32_e32 v2, 20, v2
	v_and_b32_e32 v4, 0x80000000, v4
	v_lshl_add_u32 v3, v3, 23, v21
	v_or3_b32 v3, v4, v3, v2
.LBB6_4385:                             ;   in Loop: Header=BB6_3191 Depth=2
	s_or_b64 exec, exec, s[54:55]
.LBB6_4386:                             ;   in Loop: Header=BB6_3191 Depth=2
	s_or_b64 exec, exec, s[52:53]
.LBB6_4387:                             ;   in Loop: Header=BB6_3191 Depth=2
	s_or_b64 exec, exec, s[18:19]
	v_add_f32_e32 v2, v28, v3
	v_and_b32_sdwa v10, v2, s71 dst_sel:DWORD dst_unused:UNUSED_PAD src0_sel:BYTE_3 src1_sel:DWORD
	v_and_b32_e32 v4, 0x7f800000, v2
	v_mov_b32_e32 v5, v37
	v_and_b32_e32 v36, 0x7fffff, v2
	v_or_b32_e32 v33, 0x7e, v10
	v_cmp_ne_u64_e32 vcc, s[38:39], v[4:5]
	s_and_saveexec_b64 s[18:19], vcc
	s_xor_b64 s[52:53], exec, s[18:19]
	s_cbranch_execz .LBB6_4397
; %bb.4388:                             ;   in Loop: Header=BB6_3191 Depth=2
	v_and_b32_e32 v4, 0x7fffffff, v2
	v_mov_b32_e32 v5, v37
	v_cmp_gt_u64_e32 vcc, s[40:41], v[4:5]
	s_and_saveexec_b64 s[54:55], vcc
	s_cbranch_execz .LBB6_4396
; %bb.4389:                             ;   in Loop: Header=BB6_3191 Depth=2
	v_cmp_ne_u32_e32 vcc, 0, v2
	v_mov_b32_e32 v33, 0
	s_and_saveexec_b64 s[56:57], vcc
	s_cbranch_execz .LBB6_4395
; %bb.4390:                             ;   in Loop: Header=BB6_3191 Depth=2
	v_bfe_u32 v2, v2, 23, 8
	v_sub_u32_e32 v4, 0x79, v2
	v_cmp_gt_u32_e32 vcc, s72, v2
	v_add_u32_e32 v3, 0xffffff81, v2
	v_cndmask_b32_e32 v4, 0, v4, vcc
	v_cmp_eq_u32_e32 vcc, 0, v2
	v_mov_b32_e32 v2, 0xffffff82
	v_cndmask_b32_e32 v28, v3, v2, vcc
	v_mov_b32_e32 v2, 0x78
	v_or_b32_e32 v5, 0x800000, v36
	v_cndmask_b32_e32 v29, v4, v2, vcc
	v_cndmask_b32_e32 v36, v5, v36, vcc
	v_add_u32_e32 v2, 20, v29
	v_lshlrev_b64 v[2:3], v2, -1
	v_lshrrev_b64 v[50:51], v29, v[36:37]
	v_not_b32_e32 v3, v3
	v_not_b32_e32 v2, v2
	v_add_u32_e32 v4, 19, v29
	v_lshrrev_b32_e32 v33, 23, v50
	v_and_b32_e32 v3, 0, v3
	v_and_b32_e32 v2, v36, v2
	v_lshlrev_b64 v[4:5], v4, 1
	v_add3_u32 v33, v29, v28, v33
	v_bfe_u32 v28, v50, 20, 1
	v_add_u32_e32 v28, -1, v28
	v_cmp_eq_u64_e32 vcc, v[2:3], v[4:5]
	v_cndmask_b32_e32 v2, 0, v28, vcc
	v_add_u32_e32 v2, v2, v50
	v_and_b32_e32 v2, 0xfffff, v2
	v_add_co_u32_e32 v2, vcc, v2, v50
	v_add_u32_e32 v29, 6, v33
	v_addc_co_u32_e32 v3, vcc, 0, v51, vcc
	v_cmp_ne_u32_e32 vcc, 0, v29
                                        ; implicit-def: $vgpr28
	s_and_saveexec_b64 s[18:19], vcc
	s_xor_b64 s[18:19], exec, s[18:19]
; %bb.4391:                             ;   in Loop: Header=BB6_3191 Depth=2
	v_add_u32_e32 v4, 7, v33
	v_cmp_lt_u64_e32 vcc, s[44:45], v[2:3]
	v_cndmask_b32_e32 v28, v29, v4, vcc
	v_cndmask_b32_e64 v4, 0, 1, vcc
	v_lshrrev_b64 v[2:3], v4, v[2:3]
; %bb.4392:                             ;   in Loop: Header=BB6_3191 Depth=2
	s_andn2_saveexec_b64 s[18:19], s[18:19]
; %bb.4393:                             ;   in Loop: Header=BB6_3191 Depth=2
	v_bfe_u32 v28, v2, 23, 1
; %bb.4394:                             ;   in Loop: Header=BB6_3191 Depth=2
	s_or_b64 exec, exec, s[18:19]
	v_lshrrev_b64 v[2:3], 20, v[2:3]
	v_cmp_gt_i32_e32 vcc, 16, v28
	v_cndmask_b32_e32 v3, 0, v3, vcc
	v_cndmask_b32_e32 v2, 7, v2, vcc
	v_cmp_eq_u64_e64 s[18:19], 0, v[2:3]
	v_min_i32_e32 v3, 15, v28
	v_cmp_eq_u32_e32 vcc, 0, v28
	v_lshlrev_b32_e32 v3, 3, v3
	v_and_or_b32 v2, v2, 7, v3
	s_and_b64 s[18:19], vcc, s[18:19]
	v_cndmask_b32_e64 v2, v2, 0, s[18:19]
	v_or_b32_e32 v33, v2, v10
.LBB6_4395:                             ;   in Loop: Header=BB6_3191 Depth=2
	s_or_b64 exec, exec, s[56:57]
.LBB6_4396:                             ;   in Loop: Header=BB6_3191 Depth=2
	s_or_b64 exec, exec, s[54:55]
                                        ; implicit-def: $vgpr2
.LBB6_4397:                             ;   in Loop: Header=BB6_3191 Depth=2
	s_andn2_saveexec_b64 s[18:19], s[52:53]
; %bb.4398:                             ;   in Loop: Header=BB6_3191 Depth=2
	v_or_b32_sdwa v2, v2, s69 dst_sel:DWORD dst_unused:UNUSED_PAD src0_sel:BYTE_3 src1_sel:DWORD
	v_cmp_eq_u64_e32 vcc, 0, v[36:37]
	v_cndmask_b32_e32 v33, v2, v33, vcc
; %bb.4399:                             ;   in Loop: Header=BB6_3191 Depth=2
	s_or_b64 exec, exec, s[18:19]
	v_cmp_ne_u16_sdwa vcc, v46, v37 src0_sel:BYTE_0 src1_sel:DWORD
	v_mov_b32_e32 v3, 0
	v_mov_b32_e32 v10, 0
	s_and_saveexec_b64 s[18:19], vcc
	s_cbranch_execz .LBB6_4405
; %bb.4400:                             ;   in Loop: Header=BB6_3191 Depth=2
	v_cmp_ne_u16_sdwa vcc, v46, s71 src0_sel:BYTE_0 src1_sel:DWORD
	v_bfrev_b32_e32 v10, 1
	s_and_saveexec_b64 s[52:53], vcc
	s_cbranch_execz .LBB6_4404
; %bb.4401:                             ;   in Loop: Header=BB6_3191 Depth=2
	v_and_b32_e32 v2, 0x7f, v46
	v_cmp_ne_u32_e32 vcc, s69, v2
	v_mov_b32_e32 v10, 0x7f800001
	s_and_saveexec_b64 s[54:55], vcc
	s_cbranch_execz .LBB6_4403
; %bb.4402:                             ;   in Loop: Header=BB6_3191 Depth=2
	v_and_b32_e32 v10, 7, v46
	v_ffbh_u32_e32 v4, v10
	v_min_u32_e32 v29, 32, v4
	v_subrev_u32_e32 v4, 28, v29
	v_lshlrev_b64 v[4:5], v4, v[46:47]
	v_lshrrev_b32_e32 v28, 3, v2
	v_sub_u32_e32 v5, 29, v29
	v_and_b32_e32 v4, 7, v4
	v_cmp_gt_u32_e32 vcc, 8, v2
	v_cndmask_b32_e32 v2, v28, v5, vcc
	v_cndmask_b32_e32 v4, v10, v4, vcc
	v_lshlrev_b32_e32 v5, 24, v46
	v_lshlrev_b32_e32 v4, 20, v4
	v_and_b32_e32 v5, 0x80000000, v5
	v_lshl_add_u32 v2, v2, 23, v21
	v_or3_b32 v10, v5, v2, v4
.LBB6_4403:                             ;   in Loop: Header=BB6_3191 Depth=2
	s_or_b64 exec, exec, s[54:55]
.LBB6_4404:                             ;   in Loop: Header=BB6_3191 Depth=2
	s_or_b64 exec, exec, s[52:53]
.LBB6_4405:                             ;   in Loop: Header=BB6_3191 Depth=2
	s_or_b64 exec, exec, s[18:19]
	v_lshrrev_b32_e32 v2, 16, v12
	v_cmp_ne_u16_sdwa vcc, v2, v37 src0_sel:BYTE_0 src1_sel:DWORD
	s_and_saveexec_b64 s[18:19], vcc
	s_cbranch_execz .LBB6_4411
; %bb.4406:                             ;   in Loop: Header=BB6_3191 Depth=2
	v_cmp_ne_u16_sdwa vcc, v2, s71 src0_sel:BYTE_0 src1_sel:DWORD
	v_bfrev_b32_e32 v3, 1
	s_and_saveexec_b64 s[52:53], vcc
	s_cbranch_execz .LBB6_4410
; %bb.4407:                             ;   in Loop: Header=BB6_3191 Depth=2
	v_bfe_u32 v28, v12, 16, 7
	v_cmp_ne_u32_e32 vcc, s69, v28
	v_mov_b32_e32 v3, 0x7f800001
	s_and_saveexec_b64 s[54:55], vcc
	s_cbranch_execz .LBB6_4409
; %bb.4408:                             ;   in Loop: Header=BB6_3191 Depth=2
	v_and_b32_e32 v4, 7, v2
	v_ffbh_u32_e32 v3, v4
	v_min_u32_e32 v29, 32, v3
	v_subrev_u32_e32 v3, 28, v29
	v_lshlrev_b64 v[2:3], v3, v[2:3]
	v_lshrrev_b32_e32 v5, 3, v28
	v_sub_u32_e32 v3, 29, v29
	v_and_b32_e32 v2, 7, v2
	v_cmp_gt_u32_e32 vcc, 8, v28
	v_cndmask_b32_e32 v3, v5, v3, vcc
	v_cndmask_b32_e32 v2, v4, v2, vcc
	v_lshlrev_b32_e32 v4, 8, v12
	v_lshlrev_b32_e32 v2, 20, v2
	v_and_b32_e32 v4, 0x80000000, v4
	v_lshl_add_u32 v3, v3, 23, v21
	v_or3_b32 v3, v4, v3, v2
.LBB6_4409:                             ;   in Loop: Header=BB6_3191 Depth=2
	s_or_b64 exec, exec, s[54:55]
.LBB6_4410:                             ;   in Loop: Header=BB6_3191 Depth=2
	s_or_b64 exec, exec, s[52:53]
.LBB6_4411:                             ;   in Loop: Header=BB6_3191 Depth=2
	s_or_b64 exec, exec, s[18:19]
	v_add_f32_e32 v2, v10, v3
	v_and_b32_sdwa v10, v2, s71 dst_sel:DWORD dst_unused:UNUSED_PAD src0_sel:BYTE_3 src1_sel:DWORD
	v_and_b32_e32 v4, 0x7f800000, v2
	v_mov_b32_e32 v5, v37
	v_and_b32_e32 v36, 0x7fffff, v2
	v_or_b32_e32 v28, 0x7e, v10
	v_cmp_ne_u64_e32 vcc, s[38:39], v[4:5]
	s_and_saveexec_b64 s[18:19], vcc
	s_xor_b64 s[52:53], exec, s[18:19]
	s_cbranch_execz .LBB6_4421
; %bb.4412:                             ;   in Loop: Header=BB6_3191 Depth=2
	v_and_b32_e32 v4, 0x7fffffff, v2
	v_mov_b32_e32 v5, v37
	v_cmp_gt_u64_e32 vcc, s[40:41], v[4:5]
	s_and_saveexec_b64 s[54:55], vcc
	s_cbranch_execz .LBB6_4420
; %bb.4413:                             ;   in Loop: Header=BB6_3191 Depth=2
	v_cmp_ne_u32_e32 vcc, 0, v2
	v_mov_b32_e32 v28, 0
	s_and_saveexec_b64 s[56:57], vcc
	s_cbranch_execz .LBB6_4419
; %bb.4414:                             ;   in Loop: Header=BB6_3191 Depth=2
	v_bfe_u32 v2, v2, 23, 8
	v_sub_u32_e32 v4, 0x79, v2
	v_cmp_gt_u32_e32 vcc, s72, v2
	v_add_u32_e32 v3, 0xffffff81, v2
	v_cndmask_b32_e32 v4, 0, v4, vcc
	v_cmp_eq_u32_e32 vcc, 0, v2
	v_mov_b32_e32 v2, 0xffffff82
	v_cndmask_b32_e32 v28, v3, v2, vcc
	v_mov_b32_e32 v2, 0x78
	v_cndmask_b32_e32 v29, v4, v2, vcc
	v_or_b32_e32 v5, 0x800000, v36
	v_add_u32_e32 v2, 20, v29
	v_cndmask_b32_e32 v36, v5, v36, vcc
	v_lshlrev_b64 v[2:3], v2, -1
	v_not_b32_e32 v2, v2
	v_lshrrev_b64 v[50:51], v29, v[36:37]
	v_not_b32_e32 v3, v3
	v_and_b32_e32 v2, v36, v2
	v_add_u32_e32 v4, 19, v29
	v_lshrrev_b32_e32 v36, 23, v50
	v_and_b32_e32 v3, 0, v3
	v_lshlrev_b64 v[4:5], v4, 1
	v_add3_u32 v36, v29, v28, v36
	v_bfe_u32 v28, v50, 20, 1
	v_add_u32_e32 v28, -1, v28
	v_cmp_eq_u64_e32 vcc, v[2:3], v[4:5]
	v_cndmask_b32_e32 v2, 0, v28, vcc
	v_add_u32_e32 v2, v2, v50
	v_and_b32_e32 v2, 0xfffff, v2
	v_add_co_u32_e32 v2, vcc, v2, v50
	v_add_u32_e32 v29, 6, v36
	v_addc_co_u32_e32 v3, vcc, 0, v51, vcc
	v_cmp_ne_u32_e32 vcc, 0, v29
                                        ; implicit-def: $vgpr28
	s_and_saveexec_b64 s[18:19], vcc
	s_xor_b64 s[18:19], exec, s[18:19]
; %bb.4415:                             ;   in Loop: Header=BB6_3191 Depth=2
	v_add_u32_e32 v4, 7, v36
	v_cmp_lt_u64_e32 vcc, s[44:45], v[2:3]
	v_cndmask_b32_e32 v28, v29, v4, vcc
	v_cndmask_b32_e64 v4, 0, 1, vcc
	v_lshrrev_b64 v[2:3], v4, v[2:3]
; %bb.4416:                             ;   in Loop: Header=BB6_3191 Depth=2
	s_andn2_saveexec_b64 s[18:19], s[18:19]
; %bb.4417:                             ;   in Loop: Header=BB6_3191 Depth=2
	v_bfe_u32 v28, v2, 23, 1
; %bb.4418:                             ;   in Loop: Header=BB6_3191 Depth=2
	s_or_b64 exec, exec, s[18:19]
	v_lshrrev_b64 v[2:3], 20, v[2:3]
	v_cmp_gt_i32_e32 vcc, 16, v28
	v_cndmask_b32_e32 v3, 0, v3, vcc
	v_cndmask_b32_e32 v2, 7, v2, vcc
	v_cmp_eq_u64_e64 s[18:19], 0, v[2:3]
	v_min_i32_e32 v3, 15, v28
	v_cmp_eq_u32_e32 vcc, 0, v28
	v_lshlrev_b32_e32 v3, 3, v3
	v_and_or_b32 v2, v2, 7, v3
	s_and_b64 s[18:19], vcc, s[18:19]
	v_cndmask_b32_e64 v2, v2, 0, s[18:19]
	v_or_b32_e32 v28, v2, v10
.LBB6_4419:                             ;   in Loop: Header=BB6_3191 Depth=2
	s_or_b64 exec, exec, s[56:57]
.LBB6_4420:                             ;   in Loop: Header=BB6_3191 Depth=2
	s_or_b64 exec, exec, s[54:55]
                                        ; implicit-def: $vgpr2
.LBB6_4421:                             ;   in Loop: Header=BB6_3191 Depth=2
	s_andn2_saveexec_b64 s[18:19], s[52:53]
; %bb.4422:                             ;   in Loop: Header=BB6_3191 Depth=2
	v_or_b32_sdwa v2, v2, s69 dst_sel:DWORD dst_unused:UNUSED_PAD src0_sel:BYTE_3 src1_sel:DWORD
	v_cmp_eq_u64_e32 vcc, 0, v[36:37]
	v_cndmask_b32_e32 v28, v2, v28, vcc
; %bb.4423:                             ;   in Loop: Header=BB6_3191 Depth=2
	s_or_b64 exec, exec, s[18:19]
	v_lshlrev_b32_e32 v2, 8, v59
	v_and_b32_e32 v2, 0xff00, v2
	v_cmp_ne_u32_e32 vcc, 0, v2
	v_mov_b32_e32 v3, 0
	v_mov_b32_e32 v4, 0
	s_and_saveexec_b64 s[18:19], vcc
	s_cbranch_execz .LBB6_4429
; %bb.4424:                             ;   in Loop: Header=BB6_3191 Depth=2
	v_cmp_ne_u32_e32 vcc, s74, v2
	v_bfrev_b32_e32 v4, 1
	s_and_saveexec_b64 s[52:53], vcc
	s_cbranch_execz .LBB6_4428
; %bb.4425:                             ;   in Loop: Header=BB6_3191 Depth=2
	v_bfe_u32 v10, v2, 8, 7
	v_cmp_ne_u32_e32 vcc, s69, v10
	v_mov_b32_e32 v4, 0x7f800001
	s_and_saveexec_b64 s[54:55], vcc
	s_cbranch_execz .LBB6_4427
; %bb.4426:                             ;   in Loop: Header=BB6_3191 Depth=2
	v_lshrrev_b32_e32 v4, 8, v2
	v_and_b32_e32 v29, 7, v4
	v_ffbh_u32_e32 v5, v29
	v_min_u32_e32 v48, 32, v5
	v_subrev_u32_e32 v5, 28, v48
	v_lshlrev_b64 v[4:5], v5, v[4:5]
	v_lshrrev_b32_e32 v36, 3, v10
	v_sub_u32_e32 v5, 29, v48
	v_and_b32_e32 v4, 7, v4
	v_cmp_gt_u32_e32 vcc, 8, v10
	v_cndmask_b32_e32 v5, v36, v5, vcc
	v_cndmask_b32_e32 v4, v29, v4, vcc
	v_lshlrev_b32_e32 v2, 16, v2
	v_lshlrev_b32_e32 v4, 20, v4
	v_and_b32_e32 v2, 0x80000000, v2
	v_lshl_add_u32 v5, v5, 23, v21
	v_or3_b32 v4, v2, v5, v4
.LBB6_4427:                             ;   in Loop: Header=BB6_3191 Depth=2
	s_or_b64 exec, exec, s[54:55]
.LBB6_4428:                             ;   in Loop: Header=BB6_3191 Depth=2
	s_or_b64 exec, exec, s[52:53]
.LBB6_4429:                             ;   in Loop: Header=BB6_3191 Depth=2
	s_or_b64 exec, exec, s[18:19]
	v_cmp_lt_u32_e32 vcc, s43, v12
	s_and_saveexec_b64 s[18:19], vcc
	s_cbranch_execz .LBB6_4435
; %bb.4430:                             ;   in Loop: Header=BB6_3191 Depth=2
	v_lshrrev_b32_e32 v2, 24, v12
	v_cmp_ne_u32_e32 vcc, s71, v2
	v_bfrev_b32_e32 v3, 1
	s_and_saveexec_b64 s[52:53], vcc
	s_cbranch_execz .LBB6_4434
; %bb.4431:                             ;   in Loop: Header=BB6_3191 Depth=2
	v_bfe_u32 v10, v12, 24, 7
	v_cmp_ne_u32_e32 vcc, s69, v10
	v_mov_b32_e32 v3, 0x7f800001
	s_and_saveexec_b64 s[54:55], vcc
	s_cbranch_execz .LBB6_4433
; %bb.4432:                             ;   in Loop: Header=BB6_3191 Depth=2
	v_and_b32_e32 v3, 7, v2
	v_ffbh_u32_e32 v29, v3
	v_min_u32_e32 v29, 32, v29
	v_subrev_u32_e32 v36, 28, v29
	v_lshlrev_b64 v[50:51], v36, v[2:3]
	v_lshrrev_b32_e32 v5, 3, v10
	v_sub_u32_e32 v29, 29, v29
	v_and_b32_e32 v36, 7, v50
	v_cmp_gt_u32_e32 vcc, 8, v10
	v_cndmask_b32_e32 v5, v5, v29, vcc
	v_cndmask_b32_e32 v3, v3, v36, vcc
	v_lshlrev_b32_e32 v2, 24, v2
	v_lshlrev_b32_e32 v3, 20, v3
	v_and_b32_e32 v2, 0x80000000, v2
	v_lshl_add_u32 v5, v5, 23, v21
	v_or3_b32 v3, v2, v5, v3
.LBB6_4433:                             ;   in Loop: Header=BB6_3191 Depth=2
	s_or_b64 exec, exec, s[54:55]
.LBB6_4434:                             ;   in Loop: Header=BB6_3191 Depth=2
	s_or_b64 exec, exec, s[52:53]
.LBB6_4435:                             ;   in Loop: Header=BB6_3191 Depth=2
	s_or_b64 exec, exec, s[18:19]
	v_add_f32_e32 v2, v4, v3
	v_and_b32_sdwa v10, v2, s71 dst_sel:DWORD dst_unused:UNUSED_PAD src0_sel:BYTE_3 src1_sel:DWORD
	v_and_b32_e32 v50, 0x7f800000, v2
	v_mov_b32_e32 v51, v37
	v_and_b32_e32 v36, 0x7fffff, v2
	v_or_b32_e32 v4, 0x7e, v10
	v_cmp_ne_u64_e32 vcc, s[38:39], v[50:51]
	s_and_saveexec_b64 s[18:19], vcc
	s_xor_b64 s[52:53], exec, s[18:19]
	s_cbranch_execz .LBB6_4445
; %bb.4436:                             ;   in Loop: Header=BB6_3191 Depth=2
	v_and_b32_e32 v50, 0x7fffffff, v2
	v_mov_b32_e32 v51, v37
	v_cmp_gt_u64_e32 vcc, s[40:41], v[50:51]
	s_and_saveexec_b64 s[54:55], vcc
	s_cbranch_execz .LBB6_4444
; %bb.4437:                             ;   in Loop: Header=BB6_3191 Depth=2
	v_cmp_ne_u32_e32 vcc, 0, v2
	v_mov_b32_e32 v4, 0
	s_and_saveexec_b64 s[56:57], vcc
	s_cbranch_execz .LBB6_4443
; %bb.4438:                             ;   in Loop: Header=BB6_3191 Depth=2
	v_bfe_u32 v2, v2, 23, 8
	v_sub_u32_e32 v4, 0x79, v2
	v_cmp_gt_u32_e32 vcc, s72, v2
	v_add_u32_e32 v3, 0xffffff81, v2
	v_cndmask_b32_e32 v4, 0, v4, vcc
	v_cmp_eq_u32_e32 vcc, 0, v2
	v_mov_b32_e32 v2, 0xffffff82
	v_cndmask_b32_e32 v29, v3, v2, vcc
	v_mov_b32_e32 v2, 0x78
	v_cndmask_b32_e32 v48, v4, v2, vcc
	v_or_b32_e32 v5, 0x800000, v36
	v_add_u32_e32 v2, 20, v48
	v_cndmask_b32_e32 v36, v5, v36, vcc
	v_lshlrev_b64 v[2:3], v2, -1
	v_not_b32_e32 v2, v2
	v_lshrrev_b64 v[50:51], v48, v[36:37]
	v_not_b32_e32 v3, v3
	v_and_b32_e32 v2, v36, v2
	v_add_u32_e32 v4, 19, v48
	v_lshrrev_b32_e32 v36, 23, v50
	v_and_b32_e32 v3, 0, v3
	v_lshlrev_b64 v[4:5], v4, 1
	v_add3_u32 v36, v48, v29, v36
	v_bfe_u32 v48, v50, 20, 1
	v_add_u32_e32 v48, -1, v48
	v_cmp_eq_u64_e32 vcc, v[2:3], v[4:5]
	v_cndmask_b32_e32 v2, 0, v48, vcc
	v_add_u32_e32 v2, v2, v50
	v_and_b32_e32 v2, 0xfffff, v2
	v_add_co_u32_e32 v2, vcc, v2, v50
	v_add_u32_e32 v29, 6, v36
	v_addc_co_u32_e32 v3, vcc, 0, v51, vcc
	v_cmp_ne_u32_e32 vcc, 0, v29
                                        ; implicit-def: $vgpr4
	s_and_saveexec_b64 s[18:19], vcc
	s_xor_b64 s[18:19], exec, s[18:19]
; %bb.4439:                             ;   in Loop: Header=BB6_3191 Depth=2
	v_cmp_lt_u64_e32 vcc, s[44:45], v[2:3]
	v_add_u32_e32 v4, 7, v36
	v_cndmask_b32_e64 v5, 0, 1, vcc
	v_cndmask_b32_e32 v4, v29, v4, vcc
	v_lshrrev_b64 v[2:3], v5, v[2:3]
; %bb.4440:                             ;   in Loop: Header=BB6_3191 Depth=2
	s_andn2_saveexec_b64 s[18:19], s[18:19]
; %bb.4441:                             ;   in Loop: Header=BB6_3191 Depth=2
	v_bfe_u32 v4, v2, 23, 1
; %bb.4442:                             ;   in Loop: Header=BB6_3191 Depth=2
	s_or_b64 exec, exec, s[18:19]
	v_lshrrev_b64 v[2:3], 20, v[2:3]
	v_cmp_gt_i32_e32 vcc, 16, v4
	v_cndmask_b32_e32 v3, 0, v3, vcc
	v_cndmask_b32_e32 v2, 7, v2, vcc
	v_cmp_eq_u64_e64 s[18:19], 0, v[2:3]
	v_min_i32_e32 v3, 15, v4
	v_cmp_eq_u32_e32 vcc, 0, v4
	v_lshlrev_b32_e32 v3, 3, v3
	v_and_or_b32 v2, v2, 7, v3
	s_and_b64 s[18:19], vcc, s[18:19]
	v_cndmask_b32_e64 v2, v2, 0, s[18:19]
	v_or_b32_e32 v4, v2, v10
.LBB6_4443:                             ;   in Loop: Header=BB6_3191 Depth=2
	s_or_b64 exec, exec, s[56:57]
.LBB6_4444:                             ;   in Loop: Header=BB6_3191 Depth=2
	s_or_b64 exec, exec, s[54:55]
                                        ; implicit-def: $vgpr2
.LBB6_4445:                             ;   in Loop: Header=BB6_3191 Depth=2
	s_andn2_saveexec_b64 s[18:19], s[52:53]
; %bb.4446:                             ;   in Loop: Header=BB6_3191 Depth=2
	v_or_b32_sdwa v2, v2, s69 dst_sel:DWORD dst_unused:UNUSED_PAD src0_sel:BYTE_3 src1_sel:DWORD
	v_cmp_eq_u64_e32 vcc, 0, v[36:37]
	v_cndmask_b32_e32 v4, v2, v4, vcc
; %bb.4447:                             ;   in Loop: Header=BB6_3191 Depth=2
	s_or_b64 exec, exec, s[18:19]
	v_lshlrev_b32_e32 v10, 8, v19
	v_lshlrev_b32_e32 v2, 24, v53
	v_perm_b32 v3, v32, v1, s75
	v_or3_b32 v36, v3, v2, v10
	v_cmp_ne_u16_sdwa vcc, v1, v37 src0_sel:BYTE_0 src1_sel:DWORD
	v_mov_b32_e32 v3, 0
	v_mov_b32_e32 v2, 0
	s_and_saveexec_b64 s[18:19], vcc
	s_cbranch_execz .LBB6_4453
; %bb.4448:                             ;   in Loop: Header=BB6_3191 Depth=2
	v_cmp_ne_u16_sdwa vcc, v1, s71 src0_sel:BYTE_0 src1_sel:DWORD
	v_bfrev_b32_e32 v2, 1
	s_and_saveexec_b64 s[52:53], vcc
	s_cbranch_execz .LBB6_4452
; %bb.4449:                             ;   in Loop: Header=BB6_3191 Depth=2
	v_and_b32_e32 v19, 0x7f, v1
	v_cmp_ne_u32_e32 vcc, s69, v19
	v_mov_b32_e32 v2, 0x7f800001
	s_and_saveexec_b64 s[54:55], vcc
	s_cbranch_execz .LBB6_4451
; %bb.4450:                             ;   in Loop: Header=BB6_3191 Depth=2
	v_and_b32_e32 v1, 7, v1
	v_ffbh_u32_e32 v1, v1
	v_min_u32_e32 v1, 32, v1
	v_lshrrev_b32_e32 v2, 3, v19
	v_subrev_u32_e32 v5, 28, v1
	v_sub_u32_e32 v1, 29, v1
	v_cmp_gt_u32_e32 vcc, 8, v19
	v_cndmask_b32_e32 v1, v2, v1, vcc
	v_cndmask_b32_e32 v2, 0, v5, vcc
	v_lshlrev_b64 v[50:51], v2, v[36:37]
	v_lshlrev_b32_e32 v2, 20, v50
	v_lshlrev_b32_e32 v5, 24, v36
	v_and_b32_e32 v2, 0x700000, v2
	v_and_b32_e32 v5, 0x80000000, v5
	v_lshl_add_u32 v1, v1, 23, v21
	v_or3_b32 v2, v5, v1, v2
.LBB6_4451:                             ;   in Loop: Header=BB6_3191 Depth=2
	s_or_b64 exec, exec, s[54:55]
.LBB6_4452:                             ;   in Loop: Header=BB6_3191 Depth=2
	s_or_b64 exec, exec, s[52:53]
.LBB6_4453:                             ;   in Loop: Header=BB6_3191 Depth=2
	s_or_b64 exec, exec, s[18:19]
	v_cmp_ne_u16_sdwa vcc, v13, v37 src0_sel:BYTE_0 src1_sel:DWORD
	s_and_saveexec_b64 s[18:19], vcc
	s_cbranch_execz .LBB6_4459
; %bb.4454:                             ;   in Loop: Header=BB6_3191 Depth=2
	v_cmp_ne_u16_sdwa vcc, v13, s71 src0_sel:BYTE_0 src1_sel:DWORD
	v_bfrev_b32_e32 v3, 1
	s_and_saveexec_b64 s[52:53], vcc
	s_cbranch_execz .LBB6_4458
; %bb.4455:                             ;   in Loop: Header=BB6_3191 Depth=2
	v_and_b32_e32 v1, 0x7f, v13
	v_cmp_ne_u32_e32 vcc, s69, v1
	v_mov_b32_e32 v3, 0x7f800001
	s_and_saveexec_b64 s[54:55], vcc
	s_cbranch_execz .LBB6_4457
; %bb.4456:                             ;   in Loop: Header=BB6_3191 Depth=2
	v_and_b32_e32 v3, 7, v13
	v_ffbh_u32_e32 v3, v3
	v_min_u32_e32 v3, 32, v3
	v_lshrrev_b32_e32 v5, 3, v1
	v_subrev_u32_e32 v19, 28, v3
	v_sub_u32_e32 v3, 29, v3
	v_cmp_gt_u32_e32 vcc, 8, v1
	v_mov_b32_e32 v50, v13
	v_mov_b32_e32 v51, v37
	v_cndmask_b32_e32 v1, v5, v3, vcc
	v_cndmask_b32_e32 v3, 0, v19, vcc
	v_lshlrev_b64 v[52:53], v3, v[50:51]
	v_lshlrev_b32_e32 v3, 20, v52
	v_lshlrev_b32_e32 v5, 24, v50
	v_and_b32_e32 v3, 0x700000, v3
	v_and_b32_e32 v5, 0x80000000, v5
	v_lshl_add_u32 v1, v1, 23, v21
	v_or3_b32 v3, v5, v1, v3
.LBB6_4457:                             ;   in Loop: Header=BB6_3191 Depth=2
	s_or_b64 exec, exec, s[54:55]
.LBB6_4458:                             ;   in Loop: Header=BB6_3191 Depth=2
	s_or_b64 exec, exec, s[52:53]
.LBB6_4459:                             ;   in Loop: Header=BB6_3191 Depth=2
	s_or_b64 exec, exec, s[18:19]
	v_add_f32_e32 v29, v2, v3
	v_and_b32_sdwa v19, v29, s71 dst_sel:DWORD dst_unused:UNUSED_PAD src0_sel:BYTE_3 src1_sel:DWORD
	v_and_b32_e32 v50, 0x7f800000, v29
	v_mov_b32_e32 v51, v37
	v_and_b32_e32 v2, 0x7fffff, v29
	v_mov_b32_e32 v3, v37
	v_or_b32_e32 v1, 0x7e, v19
	v_cmp_ne_u64_e32 vcc, s[38:39], v[50:51]
	s_and_saveexec_b64 s[18:19], vcc
	s_xor_b64 s[52:53], exec, s[18:19]
	s_cbranch_execz .LBB6_4469
; %bb.4460:                             ;   in Loop: Header=BB6_3191 Depth=2
	v_and_b32_e32 v50, 0x7fffffff, v29
	v_mov_b32_e32 v51, v37
	v_cmp_gt_u64_e32 vcc, s[40:41], v[50:51]
	s_and_saveexec_b64 s[54:55], vcc
	s_cbranch_execz .LBB6_4468
; %bb.4461:                             ;   in Loop: Header=BB6_3191 Depth=2
	v_cmp_ne_u32_e32 vcc, 0, v29
	v_mov_b32_e32 v1, 0
	s_and_saveexec_b64 s[56:57], vcc
	s_cbranch_execz .LBB6_4467
; %bb.4462:                             ;   in Loop: Header=BB6_3191 Depth=2
	v_bfe_u32 v1, v29, 23, 8
	v_sub_u32_e32 v29, 0x79, v1
	v_cmp_gt_u32_e32 vcc, s72, v1
	v_add_u32_e32 v5, 0xffffff81, v1
	v_cndmask_b32_e32 v29, 0, v29, vcc
	v_cmp_eq_u32_e32 vcc, 0, v1
	v_mov_b32_e32 v1, 0xffffff82
	v_cndmask_b32_e32 v1, v5, v1, vcc
	v_mov_b32_e32 v5, 0x78
	v_cndmask_b32_e32 v5, v29, v5, vcc
	v_add_u32_e32 v29, 20, v5
	v_or_b32_e32 v32, 0x800000, v2
	v_lshlrev_b64 v[50:51], v29, -1
	v_cndmask_b32_e32 v2, v32, v2, vcc
	v_not_b32_e32 v29, v51
	v_not_b32_e32 v32, v50
	v_and_b32_e32 v51, 0, v29
	v_and_b32_e32 v50, v2, v32
	v_add_u32_e32 v29, 19, v5
	v_lshrrev_b64 v[2:3], v5, v[2:3]
	v_lshlrev_b64 v[52:53], v29, 1
	v_lshrrev_b32_e32 v29, 23, v2
	v_add3_u32 v32, v5, v1, v29
	v_bfe_u32 v1, v2, 20, 1
	v_add_u32_e32 v1, -1, v1
	v_cmp_eq_u64_e32 vcc, v[50:51], v[52:53]
	v_cndmask_b32_e32 v1, 0, v1, vcc
	v_add_u32_e32 v1, v1, v2
	v_and_b32_e32 v1, 0xfffff, v1
	v_add_co_u32_e32 v2, vcc, v1, v2
	v_add_u32_e32 v29, 6, v32
	v_addc_co_u32_e32 v3, vcc, 0, v3, vcc
	v_cmp_ne_u32_e32 vcc, 0, v29
                                        ; implicit-def: $vgpr1
	s_and_saveexec_b64 s[18:19], vcc
	s_xor_b64 s[18:19], exec, s[18:19]
; %bb.4463:                             ;   in Loop: Header=BB6_3191 Depth=2
	v_cmp_lt_u64_e32 vcc, s[44:45], v[2:3]
	v_add_u32_e32 v1, 7, v32
	v_cndmask_b32_e64 v5, 0, 1, vcc
	v_cndmask_b32_e32 v1, v29, v1, vcc
	v_lshrrev_b64 v[2:3], v5, v[2:3]
; %bb.4464:                             ;   in Loop: Header=BB6_3191 Depth=2
	s_andn2_saveexec_b64 s[18:19], s[18:19]
; %bb.4465:                             ;   in Loop: Header=BB6_3191 Depth=2
	v_bfe_u32 v1, v2, 23, 1
; %bb.4466:                             ;   in Loop: Header=BB6_3191 Depth=2
	s_or_b64 exec, exec, s[18:19]
	v_lshrrev_b64 v[2:3], 20, v[2:3]
	v_cmp_gt_i32_e32 vcc, 16, v1
	v_cndmask_b32_e32 v3, 0, v3, vcc
	v_cndmask_b32_e32 v2, 7, v2, vcc
	v_cmp_eq_u32_e32 vcc, 0, v1
	v_min_i32_e32 v1, 15, v1
	v_cmp_eq_u64_e64 s[18:19], 0, v[2:3]
	v_lshlrev_b32_e32 v1, 3, v1
	v_and_or_b32 v1, v2, 7, v1
	s_and_b64 s[18:19], vcc, s[18:19]
	v_cndmask_b32_e64 v1, v1, 0, s[18:19]
	v_or_b32_e32 v1, v1, v19
.LBB6_4467:                             ;   in Loop: Header=BB6_3191 Depth=2
	s_or_b64 exec, exec, s[56:57]
.LBB6_4468:                             ;   in Loop: Header=BB6_3191 Depth=2
	s_or_b64 exec, exec, s[54:55]
                                        ; implicit-def: $vgpr29
                                        ; implicit-def: $vgpr2_vgpr3
.LBB6_4469:                             ;   in Loop: Header=BB6_3191 Depth=2
	s_andn2_saveexec_b64 s[18:19], s[52:53]
; %bb.4470:                             ;   in Loop: Header=BB6_3191 Depth=2
	v_or_b32_sdwa v5, v29, s69 dst_sel:DWORD dst_unused:UNUSED_PAD src0_sel:BYTE_3 src1_sel:DWORD
	v_cmp_eq_u64_e32 vcc, 0, v[2:3]
	v_cndmask_b32_e32 v1, v5, v1, vcc
; %bb.4471:                             ;   in Loop: Header=BB6_3191 Depth=2
	s_or_b64 exec, exec, s[18:19]
	v_lshrrev_b16_e32 v2, 8, v10
	v_cmp_ne_u16_e32 vcc, 0, v2
	v_mov_b32_e32 v3, 0
	v_mov_b32_e32 v19, 0
	s_and_saveexec_b64 s[18:19], vcc
	s_cbranch_execz .LBB6_4477
; %bb.4472:                             ;   in Loop: Header=BB6_3191 Depth=2
	v_cmp_ne_u16_e32 vcc, s71, v2
	v_bfrev_b32_e32 v19, 1
	s_and_saveexec_b64 s[52:53], vcc
	s_cbranch_execz .LBB6_4476
; %bb.4473:                             ;   in Loop: Header=BB6_3191 Depth=2
	v_and_b32_e32 v29, 0x7f, v2
	v_cmp_ne_u32_e32 vcc, s69, v29
	v_mov_b32_e32 v19, 0x7f800001
	s_and_saveexec_b64 s[54:55], vcc
	s_cbranch_execz .LBB6_4475
; %bb.4474:                             ;   in Loop: Header=BB6_3191 Depth=2
	v_and_b32_e32 v5, 7, v2
	v_ffbh_u32_e32 v32, v5
	v_min_u32_e32 v32, 32, v32
	v_subrev_u32_e32 v48, 28, v32
	v_lshlrev_b64 v[50:51], v48, v[2:3]
	v_lshrrev_b32_e32 v19, 3, v29
	v_sub_u32_e32 v2, 29, v32
	v_and_b32_e32 v32, 7, v50
	v_cmp_gt_u32_e32 vcc, 8, v29
	v_cndmask_b32_e32 v2, v19, v2, vcc
	v_cndmask_b32_e32 v5, v5, v32, vcc
	v_lshlrev_b32_e32 v10, 16, v10
	v_lshlrev_b32_e32 v5, 20, v5
	v_and_b32_e32 v10, 0x80000000, v10
	v_lshl_add_u32 v2, v2, 23, v21
	v_or3_b32 v19, v10, v2, v5
.LBB6_4475:                             ;   in Loop: Header=BB6_3191 Depth=2
	s_or_b64 exec, exec, s[54:55]
.LBB6_4476:                             ;   in Loop: Header=BB6_3191 Depth=2
	s_or_b64 exec, exec, s[52:53]
.LBB6_4477:                             ;   in Loop: Header=BB6_3191 Depth=2
	s_or_b64 exec, exec, s[18:19]
	v_mov_b32_e32 v2, v13
	v_lshrrev_b16_e32 v10, 8, v2
	v_cmp_ne_u16_e32 vcc, 0, v10
	s_and_saveexec_b64 s[18:19], vcc
	s_cbranch_execz .LBB6_4483
; %bb.4478:                             ;   in Loop: Header=BB6_3191 Depth=2
	v_cmp_ne_u16_e32 vcc, s71, v10
	v_bfrev_b32_e32 v3, 1
	s_and_saveexec_b64 s[52:53], vcc
	s_cbranch_execz .LBB6_4482
; %bb.4479:                             ;   in Loop: Header=BB6_3191 Depth=2
	v_and_b32_e32 v29, 0x7f, v10
	v_cmp_ne_u32_e32 vcc, s69, v29
	v_mov_b32_e32 v3, 0x7f800001
	s_and_saveexec_b64 s[54:55], vcc
	s_cbranch_execz .LBB6_4481
; %bb.4480:                             ;   in Loop: Header=BB6_3191 Depth=2
	v_and_b32_e32 v3, 7, v10
	v_ffbh_u32_e32 v32, v3
	v_min_u32_e32 v32, 32, v32
	v_subrev_u32_e32 v48, 28, v32
	v_lshlrev_b64 v[50:51], v48, v[10:11]
	v_lshrrev_b32_e32 v5, 3, v29
	v_sub_u32_e32 v10, 29, v32
	v_and_b32_e32 v32, 7, v50
	v_cmp_gt_u32_e32 vcc, 8, v29
	v_cndmask_b32_e32 v5, v5, v10, vcc
	v_cndmask_b32_e32 v3, v3, v32, vcc
	v_lshlrev_b32_e32 v2, 16, v2
	v_lshlrev_b32_e32 v3, 20, v3
	v_and_b32_e32 v2, 0x80000000, v2
	v_lshl_add_u32 v5, v5, 23, v21
	v_or3_b32 v3, v2, v5, v3
.LBB6_4481:                             ;   in Loop: Header=BB6_3191 Depth=2
	s_or_b64 exec, exec, s[54:55]
.LBB6_4482:                             ;   in Loop: Header=BB6_3191 Depth=2
	s_or_b64 exec, exec, s[52:53]
.LBB6_4483:                             ;   in Loop: Header=BB6_3191 Depth=2
	s_or_b64 exec, exec, s[18:19]
	v_add_f32_e32 v29, v19, v3
	v_and_b32_sdwa v19, v29, s71 dst_sel:DWORD dst_unused:UNUSED_PAD src0_sel:BYTE_3 src1_sel:DWORD
	v_and_b32_e32 v50, 0x7f800000, v29
	v_mov_b32_e32 v51, v37
	v_and_b32_e32 v2, 0x7fffff, v29
	v_mov_b32_e32 v3, v37
	v_or_b32_e32 v10, 0x7e, v19
	v_cmp_ne_u64_e32 vcc, s[38:39], v[50:51]
	s_and_saveexec_b64 s[18:19], vcc
	s_xor_b64 s[52:53], exec, s[18:19]
	s_cbranch_execz .LBB6_4493
; %bb.4484:                             ;   in Loop: Header=BB6_3191 Depth=2
	v_and_b32_e32 v50, 0x7fffffff, v29
	v_mov_b32_e32 v51, v37
	v_cmp_gt_u64_e32 vcc, s[40:41], v[50:51]
	s_and_saveexec_b64 s[54:55], vcc
	s_cbranch_execz .LBB6_4492
; %bb.4485:                             ;   in Loop: Header=BB6_3191 Depth=2
	v_cmp_ne_u32_e32 vcc, 0, v29
	v_mov_b32_e32 v10, 0
	s_and_saveexec_b64 s[56:57], vcc
	s_cbranch_execz .LBB6_4491
; %bb.4486:                             ;   in Loop: Header=BB6_3191 Depth=2
	v_bfe_u32 v5, v29, 23, 8
	v_sub_u32_e32 v29, 0x79, v5
	v_cmp_gt_u32_e32 vcc, s72, v5
	v_add_u32_e32 v10, 0xffffff81, v5
	v_cndmask_b32_e32 v29, 0, v29, vcc
	v_cmp_eq_u32_e32 vcc, 0, v5
	v_mov_b32_e32 v5, 0xffffff82
	v_cndmask_b32_e32 v5, v10, v5, vcc
	v_mov_b32_e32 v10, 0x78
	v_cndmask_b32_e32 v10, v29, v10, vcc
	v_add_u32_e32 v29, 20, v10
	v_or_b32_e32 v32, 0x800000, v2
	v_lshlrev_b64 v[50:51], v29, -1
	v_cndmask_b32_e32 v2, v32, v2, vcc
	v_not_b32_e32 v29, v51
	v_not_b32_e32 v32, v50
	v_and_b32_e32 v51, 0, v29
	v_and_b32_e32 v50, v2, v32
	v_add_u32_e32 v29, 19, v10
	v_lshrrev_b64 v[2:3], v10, v[2:3]
	v_lshlrev_b64 v[52:53], v29, 1
	v_lshrrev_b32_e32 v29, 23, v2
	v_add3_u32 v32, v10, v5, v29
	v_bfe_u32 v5, v2, 20, 1
	v_add_u32_e32 v5, -1, v5
	v_cmp_eq_u64_e32 vcc, v[50:51], v[52:53]
	v_cndmask_b32_e32 v5, 0, v5, vcc
	v_add_u32_e32 v5, v5, v2
	v_and_b32_e32 v5, 0xfffff, v5
	v_add_co_u32_e32 v2, vcc, v5, v2
	v_add_u32_e32 v29, 6, v32
	v_addc_co_u32_e32 v3, vcc, 0, v3, vcc
	v_cmp_ne_u32_e32 vcc, 0, v29
                                        ; implicit-def: $vgpr10
	s_and_saveexec_b64 s[18:19], vcc
	s_xor_b64 s[18:19], exec, s[18:19]
; %bb.4487:                             ;   in Loop: Header=BB6_3191 Depth=2
	v_add_u32_e32 v5, 7, v32
	v_cmp_lt_u64_e32 vcc, s[44:45], v[2:3]
	v_cndmask_b32_e32 v10, v29, v5, vcc
	v_cndmask_b32_e64 v5, 0, 1, vcc
	v_lshrrev_b64 v[2:3], v5, v[2:3]
; %bb.4488:                             ;   in Loop: Header=BB6_3191 Depth=2
	s_andn2_saveexec_b64 s[18:19], s[18:19]
; %bb.4489:                             ;   in Loop: Header=BB6_3191 Depth=2
	v_bfe_u32 v10, v2, 23, 1
; %bb.4490:                             ;   in Loop: Header=BB6_3191 Depth=2
	s_or_b64 exec, exec, s[18:19]
	v_lshrrev_b64 v[2:3], 20, v[2:3]
	v_cmp_gt_i32_e32 vcc, 16, v10
	v_cndmask_b32_e32 v3, 0, v3, vcc
	v_cndmask_b32_e32 v2, 7, v2, vcc
	v_cmp_eq_u64_e64 s[18:19], 0, v[2:3]
	v_min_i32_e32 v3, 15, v10
	v_cmp_eq_u32_e32 vcc, 0, v10
	v_lshlrev_b32_e32 v3, 3, v3
	v_and_or_b32 v2, v2, 7, v3
	s_and_b64 s[18:19], vcc, s[18:19]
	v_cndmask_b32_e64 v2, v2, 0, s[18:19]
	v_or_b32_e32 v10, v2, v19
.LBB6_4491:                             ;   in Loop: Header=BB6_3191 Depth=2
	s_or_b64 exec, exec, s[56:57]
.LBB6_4492:                             ;   in Loop: Header=BB6_3191 Depth=2
	s_or_b64 exec, exec, s[54:55]
                                        ; implicit-def: $vgpr29
                                        ; implicit-def: $vgpr2_vgpr3
.LBB6_4493:                             ;   in Loop: Header=BB6_3191 Depth=2
	s_andn2_saveexec_b64 s[18:19], s[52:53]
; %bb.4494:                             ;   in Loop: Header=BB6_3191 Depth=2
	v_or_b32_sdwa v5, v29, s69 dst_sel:DWORD dst_unused:UNUSED_PAD src0_sel:BYTE_3 src1_sel:DWORD
	v_cmp_eq_u64_e32 vcc, 0, v[2:3]
	v_cndmask_b32_e32 v10, v5, v10, vcc
; %bb.4495:                             ;   in Loop: Header=BB6_3191 Depth=2
	s_or_b64 exec, exec, s[18:19]
	v_lshrrev_b32_e32 v2, 16, v36
	v_cmp_ne_u16_sdwa vcc, v2, v37 src0_sel:BYTE_0 src1_sel:DWORD
	v_mov_b32_e32 v3, 0
	v_mov_b32_e32 v19, 0
	s_and_saveexec_b64 s[18:19], vcc
	s_cbranch_execz .LBB6_4501
; %bb.4496:                             ;   in Loop: Header=BB6_3191 Depth=2
	v_cmp_ne_u16_sdwa vcc, v2, s71 src0_sel:BYTE_0 src1_sel:DWORD
	v_bfrev_b32_e32 v19, 1
	s_and_saveexec_b64 s[52:53], vcc
	s_cbranch_execz .LBB6_4500
; %bb.4497:                             ;   in Loop: Header=BB6_3191 Depth=2
	v_bfe_u32 v29, v36, 16, 7
	v_cmp_ne_u32_e32 vcc, s69, v29
	v_mov_b32_e32 v19, 0x7f800001
	s_and_saveexec_b64 s[54:55], vcc
	s_cbranch_execz .LBB6_4499
; %bb.4498:                             ;   in Loop: Header=BB6_3191 Depth=2
	v_and_b32_e32 v5, 7, v2
	v_ffbh_u32_e32 v32, v5
	v_min_u32_e32 v32, 32, v32
	v_subrev_u32_e32 v48, 28, v32
	v_lshlrev_b64 v[50:51], v48, v[2:3]
	v_lshrrev_b32_e32 v19, 3, v29
	v_sub_u32_e32 v32, 29, v32
	v_and_b32_e32 v48, 7, v50
	v_cmp_gt_u32_e32 vcc, 8, v29
	v_cndmask_b32_e32 v19, v19, v32, vcc
	v_cndmask_b32_e32 v5, v5, v48, vcc
	v_lshlrev_b32_e32 v2, 24, v2
	v_lshlrev_b32_e32 v5, 20, v5
	v_and_b32_e32 v2, 0x80000000, v2
	v_lshl_add_u32 v19, v19, 23, v21
	v_or3_b32 v19, v2, v19, v5
.LBB6_4499:                             ;   in Loop: Header=BB6_3191 Depth=2
	s_or_b64 exec, exec, s[54:55]
.LBB6_4500:                             ;   in Loop: Header=BB6_3191 Depth=2
	s_or_b64 exec, exec, s[52:53]
.LBB6_4501:                             ;   in Loop: Header=BB6_3191 Depth=2
	s_or_b64 exec, exec, s[18:19]
	v_lshrrev_b32_e32 v2, 16, v13
	v_cmp_ne_u16_sdwa vcc, v2, v37 src0_sel:BYTE_0 src1_sel:DWORD
	s_and_saveexec_b64 s[18:19], vcc
	s_cbranch_execz .LBB6_4507
; %bb.4502:                             ;   in Loop: Header=BB6_3191 Depth=2
	v_cmp_ne_u16_sdwa vcc, v2, s71 src0_sel:BYTE_0 src1_sel:DWORD
	v_bfrev_b32_e32 v3, 1
	s_and_saveexec_b64 s[52:53], vcc
	s_cbranch_execz .LBB6_4506
; %bb.4503:                             ;   in Loop: Header=BB6_3191 Depth=2
	v_bfe_u32 v29, v13, 16, 7
	v_cmp_ne_u32_e32 vcc, s69, v29
	v_mov_b32_e32 v3, 0x7f800001
	s_and_saveexec_b64 s[54:55], vcc
	s_cbranch_execz .LBB6_4505
; %bb.4504:                             ;   in Loop: Header=BB6_3191 Depth=2
	v_and_b32_e32 v5, 7, v2
	v_ffbh_u32_e32 v3, v5
	v_min_u32_e32 v48, 32, v3
	v_subrev_u32_e32 v3, 28, v48
	v_lshlrev_b64 v[2:3], v3, v[2:3]
	v_lshrrev_b32_e32 v32, 3, v29
	v_sub_u32_e32 v3, 29, v48
	v_and_b32_e32 v2, 7, v2
	v_cmp_gt_u32_e32 vcc, 8, v29
	v_cndmask_b32_e32 v3, v32, v3, vcc
	v_cndmask_b32_e32 v2, v5, v2, vcc
	v_lshlrev_b32_e32 v5, 8, v13
	v_lshlrev_b32_e32 v2, 20, v2
	v_and_b32_e32 v5, 0x80000000, v5
	v_lshl_add_u32 v3, v3, 23, v21
	v_or3_b32 v3, v5, v3, v2
.LBB6_4505:                             ;   in Loop: Header=BB6_3191 Depth=2
	s_or_b64 exec, exec, s[54:55]
.LBB6_4506:                             ;   in Loop: Header=BB6_3191 Depth=2
	s_or_b64 exec, exec, s[52:53]
.LBB6_4507:                             ;   in Loop: Header=BB6_3191 Depth=2
	s_or_b64 exec, exec, s[18:19]
	v_add_f32_e32 v32, v19, v3
	v_and_b32_sdwa v29, v32, s71 dst_sel:DWORD dst_unused:UNUSED_PAD src0_sel:BYTE_3 src1_sel:DWORD
	v_and_b32_e32 v50, 0x7f800000, v32
	v_mov_b32_e32 v51, v37
	v_and_b32_e32 v2, 0x7fffff, v32
	v_mov_b32_e32 v3, v37
	v_or_b32_e32 v19, 0x7e, v29
	v_cmp_ne_u64_e32 vcc, s[38:39], v[50:51]
	s_and_saveexec_b64 s[18:19], vcc
	s_xor_b64 s[52:53], exec, s[18:19]
	s_cbranch_execz .LBB6_4517
; %bb.4508:                             ;   in Loop: Header=BB6_3191 Depth=2
	v_and_b32_e32 v50, 0x7fffffff, v32
	v_mov_b32_e32 v51, v37
	v_cmp_gt_u64_e32 vcc, s[40:41], v[50:51]
	s_and_saveexec_b64 s[54:55], vcc
	s_cbranch_execz .LBB6_4516
; %bb.4509:                             ;   in Loop: Header=BB6_3191 Depth=2
	v_cmp_ne_u32_e32 vcc, 0, v32
	v_mov_b32_e32 v19, 0
	s_and_saveexec_b64 s[56:57], vcc
	s_cbranch_execz .LBB6_4515
; %bb.4510:                             ;   in Loop: Header=BB6_3191 Depth=2
	v_bfe_u32 v5, v32, 23, 8
	v_sub_u32_e32 v32, 0x79, v5
	v_cmp_gt_u32_e32 vcc, s72, v5
	v_add_u32_e32 v19, 0xffffff81, v5
	v_cndmask_b32_e32 v32, 0, v32, vcc
	v_cmp_eq_u32_e32 vcc, 0, v5
	v_mov_b32_e32 v5, 0xffffff82
	v_cndmask_b32_e32 v5, v19, v5, vcc
	v_mov_b32_e32 v19, 0x78
	v_cndmask_b32_e32 v19, v32, v19, vcc
	v_add_u32_e32 v32, 20, v19
	v_or_b32_e32 v48, 0x800000, v2
	v_lshlrev_b64 v[50:51], v32, -1
	v_cndmask_b32_e32 v2, v48, v2, vcc
	v_not_b32_e32 v32, v51
	v_not_b32_e32 v48, v50
	v_and_b32_e32 v51, 0, v32
	v_and_b32_e32 v50, v2, v48
	v_add_u32_e32 v32, 19, v19
	v_lshrrev_b64 v[2:3], v19, v[2:3]
	v_lshlrev_b64 v[52:53], v32, 1
	v_lshrrev_b32_e32 v32, 23, v2
	v_add3_u32 v48, v19, v5, v32
	v_bfe_u32 v5, v2, 20, 1
	v_add_u32_e32 v5, -1, v5
	v_cmp_eq_u64_e32 vcc, v[50:51], v[52:53]
	v_cndmask_b32_e32 v5, 0, v5, vcc
	v_add_u32_e32 v5, v5, v2
	v_and_b32_e32 v5, 0xfffff, v5
	v_add_co_u32_e32 v2, vcc, v5, v2
	v_add_u32_e32 v32, 6, v48
	v_addc_co_u32_e32 v3, vcc, 0, v3, vcc
	v_cmp_ne_u32_e32 vcc, 0, v32
                                        ; implicit-def: $vgpr19
	s_and_saveexec_b64 s[18:19], vcc
	s_xor_b64 s[18:19], exec, s[18:19]
; %bb.4511:                             ;   in Loop: Header=BB6_3191 Depth=2
	v_add_u32_e32 v5, 7, v48
	v_cmp_lt_u64_e32 vcc, s[44:45], v[2:3]
	v_cndmask_b32_e32 v19, v32, v5, vcc
	v_cndmask_b32_e64 v5, 0, 1, vcc
	v_lshrrev_b64 v[2:3], v5, v[2:3]
; %bb.4512:                             ;   in Loop: Header=BB6_3191 Depth=2
	s_andn2_saveexec_b64 s[18:19], s[18:19]
; %bb.4513:                             ;   in Loop: Header=BB6_3191 Depth=2
	v_bfe_u32 v19, v2, 23, 1
; %bb.4514:                             ;   in Loop: Header=BB6_3191 Depth=2
	s_or_b64 exec, exec, s[18:19]
	v_lshrrev_b64 v[2:3], 20, v[2:3]
	v_cmp_gt_i32_e32 vcc, 16, v19
	v_cndmask_b32_e32 v3, 0, v3, vcc
	v_cndmask_b32_e32 v2, 7, v2, vcc
	v_cmp_eq_u64_e64 s[18:19], 0, v[2:3]
	v_min_i32_e32 v3, 15, v19
	v_lshlrev_b32_e32 v3, 3, v3
	v_cmp_eq_u32_e32 vcc, 0, v19
	v_and_b32_e32 v3, 0xf8, v3
	v_and_or_b32 v2, v2, 7, v3
	s_and_b64 s[18:19], vcc, s[18:19]
	v_cndmask_b32_e64 v2, v2, 0, s[18:19]
	v_or_b32_e32 v19, v2, v29
.LBB6_4515:                             ;   in Loop: Header=BB6_3191 Depth=2
	s_or_b64 exec, exec, s[56:57]
.LBB6_4516:                             ;   in Loop: Header=BB6_3191 Depth=2
	s_or_b64 exec, exec, s[54:55]
                                        ; implicit-def: $vgpr32
                                        ; implicit-def: $vgpr2_vgpr3
.LBB6_4517:                             ;   in Loop: Header=BB6_3191 Depth=2
	s_andn2_saveexec_b64 s[18:19], s[52:53]
; %bb.4518:                             ;   in Loop: Header=BB6_3191 Depth=2
	v_or_b32_sdwa v5, v32, s69 dst_sel:DWORD dst_unused:UNUSED_PAD src0_sel:BYTE_3 src1_sel:DWORD
	v_cmp_eq_u64_e32 vcc, 0, v[2:3]
	v_cndmask_b32_e32 v19, v5, v19, vcc
; %bb.4519:                             ;   in Loop: Header=BB6_3191 Depth=2
	s_or_b64 exec, exec, s[18:19]
	v_cmp_lt_u32_e32 vcc, s43, v36
	v_mov_b32_e32 v3, 0
	v_mov_b32_e32 v29, 0
	s_and_saveexec_b64 s[18:19], vcc
	s_cbranch_execz .LBB6_4525
; %bb.4520:                             ;   in Loop: Header=BB6_3191 Depth=2
	v_lshrrev_b32_e32 v2, 24, v36
	v_cmp_ne_u32_sdwa vcc, v36, s71 src0_sel:BYTE_3 src1_sel:DWORD
	v_bfrev_b32_e32 v29, 1
	s_and_saveexec_b64 s[52:53], vcc
	s_cbranch_execz .LBB6_4524
; %bb.4521:                             ;   in Loop: Header=BB6_3191 Depth=2
	v_bfe_u32 v32, v36, 24, 7
	v_cmp_ne_u32_e32 vcc, s69, v32
	v_mov_b32_e32 v29, 0x7f800001
	s_and_saveexec_b64 s[54:55], vcc
	s_cbranch_execz .LBB6_4523
; %bb.4522:                             ;   in Loop: Header=BB6_3191 Depth=2
	v_and_b32_e32 v5, 7, v2
	v_ffbh_u32_e32 v48, v5
	v_min_u32_e32 v48, 32, v48
	v_subrev_u32_e32 v50, 28, v48
	v_lshrrev_b32_e32 v29, 3, v32
	v_lshlrev_b64 v[50:51], v50, v[2:3]
	v_sub_u32_e32 v2, 29, v48
	v_cmp_gt_u32_e32 vcc, 8, v32
	v_and_b32_e32 v48, 7, v50
	v_cndmask_b32_e32 v2, v29, v2, vcc
	v_mov_b32_e32 v29, 24
	v_cndmask_b32_e32 v5, v5, v48, vcc
	v_lshlrev_b32_sdwa v29, v29, v36 dst_sel:DWORD dst_unused:UNUSED_PAD src0_sel:DWORD src1_sel:BYTE_3
	v_lshlrev_b32_e32 v5, 20, v5
	v_and_b32_e32 v29, 0x80000000, v29
	v_lshl_add_u32 v2, v2, 23, v21
	v_or3_b32 v29, v29, v2, v5
.LBB6_4523:                             ;   in Loop: Header=BB6_3191 Depth=2
	s_or_b64 exec, exec, s[54:55]
.LBB6_4524:                             ;   in Loop: Header=BB6_3191 Depth=2
	s_or_b64 exec, exec, s[52:53]
.LBB6_4525:                             ;   in Loop: Header=BB6_3191 Depth=2
	s_or_b64 exec, exec, s[18:19]
	v_cmp_lt_u64_e32 vcc, s[42:43], v[12:13]
	s_and_saveexec_b64 s[18:19], vcc
	s_cbranch_execz .LBB6_4531
; %bb.4526:                             ;   in Loop: Header=BB6_3191 Depth=2
	v_lshrrev_b32_e32 v2, 24, v13
	v_cmp_ne_u32_e32 vcc, s71, v2
	v_bfrev_b32_e32 v3, 1
	s_and_saveexec_b64 s[52:53], vcc
	s_cbranch_execz .LBB6_4530
; %bb.4527:                             ;   in Loop: Header=BB6_3191 Depth=2
	v_bfe_u32 v12, v13, 24, 7
	v_cmp_ne_u32_e32 vcc, s69, v12
	v_mov_b32_e32 v3, 0x7f800001
	s_and_saveexec_b64 s[54:55], vcc
	s_cbranch_execz .LBB6_4529
; %bb.4528:                             ;   in Loop: Header=BB6_3191 Depth=2
	v_and_b32_e32 v3, 7, v2
	v_ffbh_u32_e32 v13, v3
	v_min_u32_e32 v13, 32, v13
	v_subrev_u32_e32 v32, 28, v13
	v_lshlrev_b64 v[50:51], v32, v[2:3]
	v_lshrrev_b32_e32 v5, 3, v12
	v_sub_u32_e32 v13, 29, v13
	v_and_b32_e32 v32, 7, v50
	v_cmp_gt_u32_e32 vcc, 8, v12
	v_cndmask_b32_e32 v5, v5, v13, vcc
	v_cndmask_b32_e32 v3, v3, v32, vcc
	v_lshlrev_b32_e32 v2, 24, v2
	v_lshlrev_b32_e32 v3, 20, v3
	v_and_b32_e32 v2, 0x80000000, v2
	v_lshl_add_u32 v5, v5, 23, v21
	v_or3_b32 v3, v2, v5, v3
.LBB6_4529:                             ;   in Loop: Header=BB6_3191 Depth=2
	s_or_b64 exec, exec, s[54:55]
.LBB6_4530:                             ;   in Loop: Header=BB6_3191 Depth=2
	s_or_b64 exec, exec, s[52:53]
.LBB6_4531:                             ;   in Loop: Header=BB6_3191 Depth=2
	s_or_b64 exec, exec, s[18:19]
	v_add_f32_e32 v3, v29, v3
	v_and_b32_sdwa v12, v3, s71 dst_sel:DWORD dst_unused:UNUSED_PAD src0_sel:BYTE_3 src1_sel:DWORD
	v_and_b32_e32 v50, 0x7f800000, v3
	v_mov_b32_e32 v51, v37
	v_and_b32_e32 v36, 0x7fffff, v3
	v_or_b32_e32 v2, 0x7e, v12
	v_cmp_ne_u64_e32 vcc, s[38:39], v[50:51]
	s_and_saveexec_b64 s[18:19], vcc
	s_xor_b64 s[52:53], exec, s[18:19]
	s_cbranch_execz .LBB6_4541
; %bb.4532:                             ;   in Loop: Header=BB6_3191 Depth=2
	v_and_b32_e32 v50, 0x7fffffff, v3
	v_mov_b32_e32 v51, v37
	v_cmp_gt_u64_e32 vcc, s[40:41], v[50:51]
	s_and_saveexec_b64 s[54:55], vcc
	s_cbranch_execz .LBB6_4540
; %bb.4533:                             ;   in Loop: Header=BB6_3191 Depth=2
	v_cmp_ne_u32_e32 vcc, 0, v3
	v_mov_b32_e32 v2, 0
	s_and_saveexec_b64 s[56:57], vcc
	s_cbranch_execz .LBB6_4539
; %bb.4534:                             ;   in Loop: Header=BB6_3191 Depth=2
	v_bfe_u32 v2, v3, 23, 8
	v_sub_u32_e32 v5, 0x79, v2
	v_cmp_gt_u32_e32 vcc, s72, v2
	v_add_u32_e32 v3, 0xffffff81, v2
	v_cndmask_b32_e32 v5, 0, v5, vcc
	v_cmp_eq_u32_e32 vcc, 0, v2
	v_mov_b32_e32 v2, 0xffffff82
	v_cndmask_b32_e32 v29, v3, v2, vcc
	v_mov_b32_e32 v2, 0x78
	v_or_b32_e32 v13, 0x800000, v36
	v_cndmask_b32_e32 v5, v5, v2, vcc
	v_cndmask_b32_e32 v36, v13, v36, vcc
	v_add_u32_e32 v2, 20, v5
	v_lshlrev_b64 v[2:3], v2, -1
	v_add_u32_e32 v13, 19, v5
	v_lshrrev_b64 v[52:53], v5, v[36:37]
	v_not_b32_e32 v3, v3
	v_not_b32_e32 v2, v2
	v_lshlrev_b64 v[50:51], v13, 1
	v_lshrrev_b32_e32 v13, 23, v52
	v_and_b32_e32 v3, 0, v3
	v_and_b32_e32 v2, v36, v2
	v_add3_u32 v32, v5, v29, v13
	v_bfe_u32 v5, v52, 20, 1
	v_add_u32_e32 v5, -1, v5
	v_cmp_eq_u64_e32 vcc, v[2:3], v[50:51]
	v_cndmask_b32_e32 v2, 0, v5, vcc
	v_add_u32_e32 v2, v2, v52
	v_and_b32_e32 v2, 0xfffff, v2
	v_add_co_u32_e32 v2, vcc, v2, v52
	v_add_u32_e32 v29, 6, v32
	v_addc_co_u32_e32 v3, vcc, 0, v53, vcc
	v_cmp_ne_u32_e32 vcc, 0, v29
                                        ; implicit-def: $vgpr13
	s_and_saveexec_b64 s[18:19], vcc
	s_xor_b64 s[18:19], exec, s[18:19]
; %bb.4535:                             ;   in Loop: Header=BB6_3191 Depth=2
	v_add_u32_e32 v5, 7, v32
	v_cmp_lt_u64_e32 vcc, s[44:45], v[2:3]
	v_cndmask_b32_e32 v13, v29, v5, vcc
	v_cndmask_b32_e64 v5, 0, 1, vcc
	v_lshrrev_b64 v[2:3], v5, v[2:3]
; %bb.4536:                             ;   in Loop: Header=BB6_3191 Depth=2
	s_andn2_saveexec_b64 s[18:19], s[18:19]
; %bb.4537:                             ;   in Loop: Header=BB6_3191 Depth=2
	v_bfe_u32 v13, v2, 23, 1
; %bb.4538:                             ;   in Loop: Header=BB6_3191 Depth=2
	s_or_b64 exec, exec, s[18:19]
	v_lshrrev_b64 v[2:3], 20, v[2:3]
	v_cmp_gt_i32_e32 vcc, 16, v13
	v_cndmask_b32_e32 v3, 0, v3, vcc
	v_cndmask_b32_e32 v2, 7, v2, vcc
	v_cmp_eq_u64_e64 s[18:19], 0, v[2:3]
	v_min_i32_e32 v3, 15, v13
	v_lshlrev_b32_e32 v3, 3, v3
	v_cmp_eq_u32_e32 vcc, 0, v13
	v_and_b32_e32 v3, 0xf8, v3
	v_and_or_b32 v2, v2, 7, v3
	s_and_b64 s[18:19], vcc, s[18:19]
	v_cndmask_b32_e64 v2, v2, 0, s[18:19]
	v_or_b32_e32 v2, v2, v12
.LBB6_4539:                             ;   in Loop: Header=BB6_3191 Depth=2
	s_or_b64 exec, exec, s[56:57]
.LBB6_4540:                             ;   in Loop: Header=BB6_3191 Depth=2
	s_or_b64 exec, exec, s[54:55]
                                        ; implicit-def: $vgpr3
.LBB6_4541:                             ;   in Loop: Header=BB6_3191 Depth=2
	s_andn2_saveexec_b64 s[18:19], s[52:53]
	s_cbranch_execz .LBB6_3190
; %bb.4542:                             ;   in Loop: Header=BB6_3191 Depth=2
	v_or_b32_sdwa v3, v3, s69 dst_sel:DWORD dst_unused:UNUSED_PAD src0_sel:BYTE_3 src1_sel:DWORD
	v_cmp_eq_u64_e32 vcc, 0, v[36:37]
	v_cndmask_b32_e32 v2, v3, v2, vcc
	s_branch .LBB6_3190
.LBB6_4543:                             ;   in Loop: Header=BB6_3118 Depth=1
	s_or_b64 exec, exec, s[50:51]
.LBB6_4544:                             ;   in Loop: Header=BB6_3118 Depth=1
	s_or_b64 exec, exec, s[20:21]
	v_accvgpr_read_b32 v0, a44
	v_and_b32_e32 v3, 0x3ffff800, v0
	v_cmp_ne_u32_e32 vcc, v3, v0
	s_mov_b64 s[18:19], 0
	v_mov_b32_e32 v0, 0
                                        ; implicit-def: $vgpr1
                                        ; implicit-def: $vgpr16
                                        ; implicit-def: $vgpr2
	s_and_saveexec_b64 s[50:51], vcc
	s_cbranch_execz .LBB6_5232
; %bb.4545:                             ;   in Loop: Header=BB6_3118 Depth=1
	v_lshlrev_b32_e32 v0, 6, v20
	v_accvgpr_read_b32 v1, a21
	v_sub_u32_e32 v0, v1, v0
	v_ashrrev_i32_e32 v1, 31, v0
	v_lshrrev_b32_e32 v1, 26, v1
	v_add_u32_e32 v1, v0, v1
	v_accvgpr_read_b32 v7, a44
	v_ashrrev_i32_e32 v5, 6, v1
	v_and_b32_e32 v1, 0xffffffc0, v1
	v_and_b32_e32 v2, 0x7ff, v7
	v_sub_u32_e32 v4, v0, v1
	v_bfe_u32 v6, v7, 10, 1
	v_and_b32_e32 v7, 0x400, v7
	v_lshlrev_b32_e32 v0, 4, v4
	v_sub_u32_e32 v18, v2, v7
	v_lshl_add_u32 v1, v5, 10, v0
	v_cmp_lt_i32_e64 s[18:19], 15, v18
	v_sub_u32_e32 v0, v2, v1
	v_addc_co_u32_e64 v2, vcc, 0, v6, s[18:19]
	v_sub_u32_e32 v5, v2, v5
	v_cmp_lt_i32_e32 vcc, 15, v0
	s_and_saveexec_b64 s[52:53], vcc
	s_cbranch_execz .LBB6_5229
; %bb.4546:                             ;   in Loop: Header=BB6_3118 Depth=1
	s_trap 2
	ds_read_b128 v[6:9], v0
	ds_read_b64 v[14:15], v0
	v_add_u32_e32 v1, v1, v3
	v_ashrrev_i32_e32 v2, 31, v1
	s_waitcnt lgkmcnt(0)
	v_add_co_u32_e32 v16, vcc, v6, v1
	v_addc_co_u32_e32 v17, vcc, v7, v2, vcc
	v_add_co_u32_e32 v54, vcc, v8, v1
	s_waitcnt lgkmcnt(0)
	v_readfirstlane_b32 s20, v14
	v_addc_co_u32_e32 v55, vcc, v9, v2, vcc
	s_and_b32 s21, s20, 7
	v_add_co_u32_e32 v40, vcc, v14, v1
	s_flbit_i32_b32 s21, s21
	v_addc_co_u32_e32 v41, vcc, v15, v2, vcc
	s_min_u32 s21, s21, 32
	s_and_b32 vcc_lo, s20, 0x7f
	s_bfe_u32 vcc_hi, s20, 0x40003
	s_sub_i32 s54, s21, 28
	s_sub_i32 s21, 29, s21
	s_cmp_lt_u32 vcc_lo, 8
	s_cselect_b32 s21, s21, vcc_hi
	s_cselect_b32 vcc_hi, s54, 0
	s_lshl_b32 s20, s20, 24
	s_lshl_b32 s21, s21, 23
	v_lshlrev_b64 v[2:3], vcc_hi, v[14:15]
	s_and_b32 s20, s20, 0x80000000
	s_add_i32 s21, s21, 0x3c000000
	v_lshlrev_b32_e32 v1, 20, v2
	s_or_b32 s20, s20, s21
	v_and_b32_e32 v1, 0x700000, v1
	s_cmpk_lg_i32 vcc_lo, 0x7f
	v_or_b32_e32 v1, s20, v1
	s_cselect_b64 vcc, -1, 0
	v_mov_b32_e32 v2, 0x7f800001
	v_cndmask_b32_e32 v1, v2, v1, vcc
	s_mov_b64 s[54:55], 0
	s_branch .LBB6_4548
.LBB6_4547:                             ;   in Loop: Header=BB6_4548 Depth=2
	s_or_b64 exec, exec, s[20:21]
	v_lshlrev_b32_e32 v3, 8, v30
	v_perm_b32 v3, v3, v22, s73
	v_lshl_or_b32 v3, v31, 16, v3
	v_lshl_or_b32 v23, v24, 24, v3
	v_and_b32_e32 v3, 0xff, v20
	v_lshlrev_b32_e32 v9, 8, v9
	v_lshlrev_b32_e32 v12, 24, v26
	;; [unrolled: 1-line block ×3, first 2 shown]
	v_perm_b32 v6, v9, v6, s73
	v_or3_b32 v22, v12, v3, v6
	v_and_b32_e32 v3, 0xff, v25
	v_lshlrev_b32_e32 v6, 24, v8
	v_lshlrev_b32_e32 v8, 8, v11
	;; [unrolled: 1-line block ×3, first 2 shown]
	v_perm_b32 v8, v8, v15, s73
	v_or3_b32 v24, v6, v3, v8
	v_lshlrev_b32_e32 v3, 8, v10
	v_perm_b32 v3, v3, v7, s73
	v_lshl_or_b32 v3, v19, 16, v3
	v_lshl_or_b32 v25, v2, 24, v3
	v_accvgpr_read_b32 v2, a36
	v_add_co_u32_e32 v16, vcc, v16, v2
	v_accvgpr_read_b32 v3, a37
	v_addc_co_u32_e32 v17, vcc, v17, v3, vcc
	v_add_co_u32_e32 v54, vcc, v54, v2
	v_addc_co_u32_e32 v55, vcc, v55, v3, vcc
	global_store_dwordx4 v[40:41], v[22:25], off glc slc
	v_add_co_u32_e32 v40, vcc, v40, v2
	v_accvgpr_read_b32 v2, a35
	v_addc_co_u32_e32 v41, vcc, v41, v3, vcc
	v_sub_u32_e32 v0, v0, v2
	v_cmp_gt_i32_e32 vcc, 16, v0
	v_accvgpr_read_b32 v2, a30
	s_or_b64 s[54:55], vcc, s[54:55]
	v_sub_u32_e32 v5, v5, v2
	s_andn2_b64 exec, exec, s[54:55]
	s_cbranch_execz .LBB6_5228
.LBB6_4548:                             ;   Parent Loop BB6_3118 Depth=1
                                        ; =>  This Inner Loop Header: Depth=2
	v_cmp_lt_i16_sdwa s[20:21], v14, s71 src0_sel:BYTE_0 src1_sel:DWORD
	s_and_b64 vcc, exec, s[20:21]
	s_cbranch_vccnz .LBB6_4552
; %bb.4549:                             ;   in Loop: Header=BB6_4548 Depth=2
	v_cmp_eq_u16_sdwa vcc, v14, s71 src0_sel:BYTE_0 src1_sel:DWORD
	s_mov_b64 s[20:21], -1
	s_and_b64 vcc, exec, vcc
                                        ; implicit-def: $sgpr56
	s_cbranch_vccz .LBB6_4551
; %bb.4550:                             ;   in Loop: Header=BB6_4548 Depth=2
	s_mov_b64 s[20:21], 0
	s_brev_b32 s56, 1
.LBB6_4551:                             ;   in Loop: Header=BB6_4548 Depth=2
	s_branch .LBB6_4554
.LBB6_4552:                             ;   in Loop: Header=BB6_4548 Depth=2
	s_mov_b64 s[20:21], 0
                                        ; implicit-def: $sgpr56
	s_cbranch_execz .LBB6_4554
; %bb.4553:                             ;   in Loop: Header=BB6_4548 Depth=2
	v_cmp_ne_u16_sdwa s[20:21], v14, v37 src0_sel:BYTE_0 src1_sel:DWORD
	s_mov_b32 s56, 0
.LBB6_4554:                             ;   in Loop: Header=BB6_4548 Depth=2
	s_andn2_b64 vcc, exec, s[20:21]
	v_mov_b32_e32 v9, s56
	s_cbranch_vccnz .LBB6_4556
; %bb.4555:                             ;   in Loop: Header=BB6_4548 Depth=2
	v_mov_b32_e32 v9, v1
.LBB6_4556:                             ;   in Loop: Header=BB6_4548 Depth=2
	global_load_dwordx4 v[10:13], v[16:17], off glc slc
	v_mov_b32_e32 v2, 0
	s_waitcnt vmcnt(0)
	v_cmp_ne_u16_sdwa vcc, v10, v37 src0_sel:BYTE_0 src1_sel:DWORD
	s_and_saveexec_b64 s[20:21], vcc
	s_cbranch_execz .LBB6_4562
; %bb.4557:                             ;   in Loop: Header=BB6_4548 Depth=2
	v_cmp_ne_u16_sdwa vcc, v10, s71 src0_sel:BYTE_0 src1_sel:DWORD
	v_bfrev_b32_e32 v2, 1
	s_and_saveexec_b64 s[56:57], vcc
	s_cbranch_execz .LBB6_4561
; %bb.4558:                             ;   in Loop: Header=BB6_4548 Depth=2
	v_and_b32_e32 v3, 0x7f, v10
	v_cmp_ne_u32_e32 vcc, s69, v3
	v_mov_b32_e32 v2, 0x7f800001
	s_and_saveexec_b64 s[58:59], vcc
	s_cbranch_execz .LBB6_4560
; %bb.4559:                             ;   in Loop: Header=BB6_4548 Depth=2
	v_and_b32_e32 v2, 7, v10
	v_ffbh_u32_e32 v2, v2
	v_min_u32_e32 v2, 32, v2
	v_lshrrev_b32_e32 v6, 3, v3
	v_subrev_u32_e32 v7, 28, v2
	v_sub_u32_e32 v2, 29, v2
	v_cmp_gt_u32_e32 vcc, 8, v3
	v_cndmask_b32_e32 v6, v6, v2, vcc
	v_cndmask_b32_e32 v2, 0, v7, vcc
	v_lshlrev_b64 v[2:3], v2, v[10:11]
	v_lshlrev_b32_e32 v2, 20, v2
	v_lshlrev_b32_e32 v3, 24, v10
	v_and_b32_e32 v2, 0x700000, v2
	v_and_b32_e32 v3, 0x80000000, v3
	v_lshl_add_u32 v6, v6, 23, v21
	v_or3_b32 v2, v3, v6, v2
.LBB6_4560:                             ;   in Loop: Header=BB6_4548 Depth=2
	s_or_b64 exec, exec, s[58:59]
.LBB6_4561:                             ;   in Loop: Header=BB6_4548 Depth=2
	s_or_b64 exec, exec, s[56:57]
.LBB6_4562:                             ;   in Loop: Header=BB6_4548 Depth=2
	s_or_b64 exec, exec, s[20:21]
	v_mul_f32_e32 v2, v9, v2
	v_and_b32_sdwa v7, v2, s71 dst_sel:DWORD dst_unused:UNUSED_PAD src0_sel:BYTE_3 src1_sel:DWORD
	v_and_b32_e32 v22, 0x7f800000, v2
	v_mov_b32_e32 v23, v37
	v_and_b32_e32 v36, 0x7fffff, v2
	v_or_b32_e32 v6, 0x7e, v7
	v_cmp_ne_u64_e32 vcc, s[38:39], v[22:23]
	s_and_saveexec_b64 s[20:21], vcc
	s_xor_b64 s[56:57], exec, s[20:21]
	s_cbranch_execz .LBB6_4572
; %bb.4563:                             ;   in Loop: Header=BB6_4548 Depth=2
	v_and_b32_e32 v22, 0x7fffffff, v2
	v_mov_b32_e32 v23, v37
	v_cmp_gt_u64_e32 vcc, s[40:41], v[22:23]
	s_and_saveexec_b64 s[58:59], vcc
	s_cbranch_execz .LBB6_4571
; %bb.4564:                             ;   in Loop: Header=BB6_4548 Depth=2
	v_cmp_ne_u32_e32 vcc, 0, v2
	v_mov_b32_e32 v6, 0
	s_and_saveexec_b64 s[60:61], vcc
	s_cbranch_execz .LBB6_4570
; %bb.4565:                             ;   in Loop: Header=BB6_4548 Depth=2
	v_bfe_u32 v2, v2, 23, 8
	v_sub_u32_e32 v6, 0x79, v2
	v_cmp_gt_u32_e32 vcc, s72, v2
	v_add_u32_e32 v3, 0xffffff81, v2
	v_cndmask_b32_e32 v6, 0, v6, vcc
	v_cmp_eq_u32_e32 vcc, 0, v2
	v_mov_b32_e32 v2, 0xffffff82
	v_cndmask_b32_e32 v15, v3, v2, vcc
	v_mov_b32_e32 v2, 0x78
	v_or_b32_e32 v8, 0x800000, v36
	v_cndmask_b32_e32 v6, v6, v2, vcc
	v_cndmask_b32_e32 v36, v8, v36, vcc
	v_add_u32_e32 v2, 20, v6
	v_lshlrev_b64 v[2:3], v2, -1
	v_add_u32_e32 v8, 19, v6
	v_lshrrev_b64 v[24:25], v6, v[36:37]
	v_not_b32_e32 v3, v3
	v_not_b32_e32 v2, v2
	v_lshlrev_b64 v[22:23], v8, 1
	v_lshrrev_b32_e32 v8, 23, v24
	v_and_b32_e32 v3, 0, v3
	v_and_b32_e32 v2, v36, v2
	v_add3_u32 v15, v6, v15, v8
	v_bfe_u32 v6, v24, 20, 1
	v_add_u32_e32 v6, -1, v6
	v_cmp_eq_u64_e32 vcc, v[2:3], v[22:23]
	v_cndmask_b32_e32 v2, 0, v6, vcc
	v_add_u32_e32 v2, v2, v24
	v_and_b32_e32 v2, 0xfffff, v2
	v_add_co_u32_e32 v2, vcc, v2, v24
	v_add_u32_e32 v8, 6, v15
	v_addc_co_u32_e32 v3, vcc, 0, v25, vcc
	v_cmp_ne_u32_e32 vcc, 0, v8
                                        ; implicit-def: $vgpr6
	s_and_saveexec_b64 s[20:21], vcc
	s_xor_b64 s[20:21], exec, s[20:21]
; %bb.4566:                             ;   in Loop: Header=BB6_4548 Depth=2
	v_add_u32_e32 v6, 7, v15
	v_cmp_lt_u64_e32 vcc, s[44:45], v[2:3]
	v_cndmask_b32_e32 v6, v8, v6, vcc
	v_cndmask_b32_e64 v8, 0, 1, vcc
	v_lshrrev_b64 v[2:3], v8, v[2:3]
; %bb.4567:                             ;   in Loop: Header=BB6_4548 Depth=2
	s_andn2_saveexec_b64 s[20:21], s[20:21]
; %bb.4568:                             ;   in Loop: Header=BB6_4548 Depth=2
	v_bfe_u32 v6, v2, 23, 1
; %bb.4569:                             ;   in Loop: Header=BB6_4548 Depth=2
	s_or_b64 exec, exec, s[20:21]
	v_lshrrev_b64 v[2:3], 20, v[2:3]
	v_cmp_gt_i32_e32 vcc, 16, v6
	v_cndmask_b32_e32 v3, 0, v3, vcc
	v_cndmask_b32_e32 v2, 7, v2, vcc
	v_cmp_eq_u64_e64 s[20:21], 0, v[2:3]
	v_min_i32_e32 v3, 15, v6
	v_cmp_eq_u32_e32 vcc, 0, v6
	v_lshlrev_b32_e32 v3, 3, v3
	v_and_or_b32 v2, v2, 7, v3
	s_and_b64 s[20:21], vcc, s[20:21]
	v_cndmask_b32_e64 v2, v2, 0, s[20:21]
	v_or_b32_e32 v6, v2, v7
.LBB6_4570:                             ;   in Loop: Header=BB6_4548 Depth=2
	s_or_b64 exec, exec, s[60:61]
.LBB6_4571:                             ;   in Loop: Header=BB6_4548 Depth=2
	s_or_b64 exec, exec, s[58:59]
                                        ; implicit-def: $vgpr2
.LBB6_4572:                             ;   in Loop: Header=BB6_4548 Depth=2
	s_andn2_saveexec_b64 s[20:21], s[56:57]
; %bb.4573:                             ;   in Loop: Header=BB6_4548 Depth=2
	v_or_b32_sdwa v2, v2, s69 dst_sel:DWORD dst_unused:UNUSED_PAD src0_sel:BYTE_3 src1_sel:DWORD
	v_cmp_eq_u64_e32 vcc, 0, v[36:37]
	v_cndmask_b32_e32 v6, v2, v6, vcc
; %bb.4574:                             ;   in Loop: Header=BB6_4548 Depth=2
	s_or_b64 exec, exec, s[20:21]
	v_lshrrev_b16_e32 v2, 8, v10
	v_cmp_ne_u16_e32 vcc, 0, v2
	v_mov_b32_e32 v3, 0
	s_and_saveexec_b64 s[20:21], vcc
	s_cbranch_execz .LBB6_4580
; %bb.4575:                             ;   in Loop: Header=BB6_4548 Depth=2
	v_cmp_ne_u16_e32 vcc, s71, v2
	v_bfrev_b32_e32 v3, 1
	s_and_saveexec_b64 s[56:57], vcc
	s_cbranch_execz .LBB6_4579
; %bb.4576:                             ;   in Loop: Header=BB6_4548 Depth=2
	v_and_b32_e32 v7, 0x7f, v2
	v_cmp_ne_u32_e32 vcc, s69, v7
	v_mov_b32_e32 v3, 0x7f800001
	s_and_saveexec_b64 s[58:59], vcc
	s_cbranch_execz .LBB6_4578
; %bb.4577:                             ;   in Loop: Header=BB6_4548 Depth=2
	v_and_b32_e32 v8, 7, v2
	v_ffbh_u32_e32 v3, v8
	v_min_u32_e32 v19, 32, v3
	v_subrev_u32_e32 v3, 28, v19
	v_lshlrev_b64 v[2:3], v3, v[2:3]
	v_lshrrev_b32_e32 v15, 3, v7
	v_sub_u32_e32 v3, 29, v19
	v_and_b32_e32 v2, 7, v2
	v_cmp_gt_u32_e32 vcc, 8, v7
	v_cndmask_b32_e32 v3, v15, v3, vcc
	v_cndmask_b32_e32 v2, v8, v2, vcc
	v_lshlrev_b32_e32 v7, 16, v10
	v_lshlrev_b32_e32 v2, 20, v2
	v_and_b32_e32 v7, 0x80000000, v7
	v_lshl_add_u32 v3, v3, 23, v21
	v_or3_b32 v3, v7, v3, v2
.LBB6_4578:                             ;   in Loop: Header=BB6_4548 Depth=2
	s_or_b64 exec, exec, s[58:59]
.LBB6_4579:                             ;   in Loop: Header=BB6_4548 Depth=2
	s_or_b64 exec, exec, s[56:57]
.LBB6_4580:                             ;   in Loop: Header=BB6_4548 Depth=2
	s_or_b64 exec, exec, s[20:21]
	v_mul_f32_e32 v2, v9, v3
	v_and_b32_sdwa v7, v2, s71 dst_sel:DWORD dst_unused:UNUSED_PAD src0_sel:BYTE_3 src1_sel:DWORD
	v_and_b32_e32 v22, 0x7f800000, v2
	v_mov_b32_e32 v23, v37
	v_and_b32_e32 v36, 0x7fffff, v2
	v_or_b32_e32 v20, 0x7e, v7
	v_cmp_ne_u64_e32 vcc, s[38:39], v[22:23]
	s_and_saveexec_b64 s[20:21], vcc
	s_xor_b64 s[56:57], exec, s[20:21]
	s_cbranch_execz .LBB6_4590
; %bb.4581:                             ;   in Loop: Header=BB6_4548 Depth=2
	v_and_b32_e32 v22, 0x7fffffff, v2
	v_mov_b32_e32 v23, v37
	v_cmp_gt_u64_e32 vcc, s[40:41], v[22:23]
	s_and_saveexec_b64 s[58:59], vcc
	s_cbranch_execz .LBB6_4589
; %bb.4582:                             ;   in Loop: Header=BB6_4548 Depth=2
	v_cmp_ne_u32_e32 vcc, 0, v2
	v_mov_b32_e32 v20, 0
	s_and_saveexec_b64 s[60:61], vcc
	s_cbranch_execz .LBB6_4588
; %bb.4583:                             ;   in Loop: Header=BB6_4548 Depth=2
	v_bfe_u32 v2, v2, 23, 8
	v_sub_u32_e32 v8, 0x79, v2
	v_cmp_gt_u32_e32 vcc, s72, v2
	v_add_u32_e32 v3, 0xffffff81, v2
	v_cndmask_b32_e32 v8, 0, v8, vcc
	v_cmp_eq_u32_e32 vcc, 0, v2
	v_mov_b32_e32 v2, 0xffffff82
	v_cndmask_b32_e32 v19, v3, v2, vcc
	v_mov_b32_e32 v2, 0x78
	v_or_b32_e32 v15, 0x800000, v36
	v_cndmask_b32_e32 v8, v8, v2, vcc
	v_cndmask_b32_e32 v36, v15, v36, vcc
	v_add_u32_e32 v2, 20, v8
	v_lshlrev_b64 v[2:3], v2, -1
	v_add_u32_e32 v15, 19, v8
	v_lshrrev_b64 v[24:25], v8, v[36:37]
	v_not_b32_e32 v3, v3
	v_not_b32_e32 v2, v2
	v_lshlrev_b64 v[22:23], v15, 1
	v_lshrrev_b32_e32 v15, 23, v24
	v_and_b32_e32 v3, 0, v3
	v_and_b32_e32 v2, v36, v2
	v_add3_u32 v19, v8, v19, v15
	v_bfe_u32 v8, v24, 20, 1
	v_add_u32_e32 v8, -1, v8
	v_cmp_eq_u64_e32 vcc, v[2:3], v[22:23]
	v_cndmask_b32_e32 v2, 0, v8, vcc
	v_add_u32_e32 v2, v2, v24
	v_and_b32_e32 v2, 0xfffff, v2
	v_add_co_u32_e32 v2, vcc, v2, v24
	v_add_u32_e32 v15, 6, v19
	v_addc_co_u32_e32 v3, vcc, 0, v25, vcc
	v_cmp_ne_u32_e32 vcc, 0, v15
                                        ; implicit-def: $vgpr8
	s_and_saveexec_b64 s[20:21], vcc
	s_xor_b64 s[20:21], exec, s[20:21]
; %bb.4584:                             ;   in Loop: Header=BB6_4548 Depth=2
	v_add_u32_e32 v8, 7, v19
	v_cmp_lt_u64_e32 vcc, s[44:45], v[2:3]
	v_cndmask_b32_e32 v8, v15, v8, vcc
	v_cndmask_b32_e64 v15, 0, 1, vcc
	v_lshrrev_b64 v[2:3], v15, v[2:3]
; %bb.4585:                             ;   in Loop: Header=BB6_4548 Depth=2
	s_andn2_saveexec_b64 s[20:21], s[20:21]
; %bb.4586:                             ;   in Loop: Header=BB6_4548 Depth=2
	v_bfe_u32 v8, v2, 23, 1
; %bb.4587:                             ;   in Loop: Header=BB6_4548 Depth=2
	s_or_b64 exec, exec, s[20:21]
	v_lshrrev_b64 v[2:3], 20, v[2:3]
	v_cmp_gt_i32_e32 vcc, 16, v8
	v_cndmask_b32_e32 v3, 0, v3, vcc
	v_cndmask_b32_e32 v2, 7, v2, vcc
	v_cmp_eq_u64_e64 s[20:21], 0, v[2:3]
	v_min_i32_e32 v3, 15, v8
	v_cmp_eq_u32_e32 vcc, 0, v8
	v_lshlrev_b32_e32 v3, 3, v3
	v_and_or_b32 v2, v2, 7, v3
	s_and_b64 s[20:21], vcc, s[20:21]
	v_cndmask_b32_e64 v2, v2, 0, s[20:21]
	v_or_b32_e32 v20, v2, v7
.LBB6_4588:                             ;   in Loop: Header=BB6_4548 Depth=2
	s_or_b64 exec, exec, s[60:61]
.LBB6_4589:                             ;   in Loop: Header=BB6_4548 Depth=2
	s_or_b64 exec, exec, s[58:59]
                                        ; implicit-def: $vgpr2
.LBB6_4590:                             ;   in Loop: Header=BB6_4548 Depth=2
	s_andn2_saveexec_b64 s[20:21], s[56:57]
; %bb.4591:                             ;   in Loop: Header=BB6_4548 Depth=2
	v_or_b32_sdwa v2, v2, s69 dst_sel:DWORD dst_unused:UNUSED_PAD src0_sel:BYTE_3 src1_sel:DWORD
	v_cmp_eq_u64_e32 vcc, 0, v[36:37]
	v_cndmask_b32_e32 v20, v2, v20, vcc
; %bb.4592:                             ;   in Loop: Header=BB6_4548 Depth=2
	s_or_b64 exec, exec, s[20:21]
	v_lshrrev_b32_e32 v2, 16, v10
	v_cmp_ne_u16_sdwa vcc, v2, v37 src0_sel:BYTE_0 src1_sel:DWORD
	v_mov_b32_e32 v3, 0
	s_and_saveexec_b64 s[20:21], vcc
	s_cbranch_execz .LBB6_4598
; %bb.4593:                             ;   in Loop: Header=BB6_4548 Depth=2
	v_cmp_ne_u16_sdwa vcc, v2, s71 src0_sel:BYTE_0 src1_sel:DWORD
	v_bfrev_b32_e32 v3, 1
	s_and_saveexec_b64 s[56:57], vcc
	s_cbranch_execz .LBB6_4597
; %bb.4594:                             ;   in Loop: Header=BB6_4548 Depth=2
	v_bfe_u32 v7, v10, 16, 7
	v_cmp_ne_u32_e32 vcc, s69, v7
	v_mov_b32_e32 v3, 0x7f800001
	s_and_saveexec_b64 s[58:59], vcc
	s_cbranch_execz .LBB6_4596
; %bb.4595:                             ;   in Loop: Header=BB6_4548 Depth=2
	v_and_b32_e32 v3, 7, v2
	v_ffbh_u32_e32 v15, v3
	v_min_u32_e32 v15, 32, v15
	v_subrev_u32_e32 v19, 28, v15
	v_lshlrev_b64 v[22:23], v19, v[2:3]
	v_lshrrev_b32_e32 v8, 3, v7
	v_sub_u32_e32 v15, 29, v15
	v_and_b32_e32 v19, 7, v22
	v_cmp_gt_u32_e32 vcc, 8, v7
	v_cndmask_b32_e32 v7, v8, v15, vcc
	v_cndmask_b32_e32 v3, v3, v19, vcc
	v_lshlrev_b32_e32 v2, 24, v2
	v_lshlrev_b32_e32 v3, 20, v3
	v_and_b32_e32 v2, 0x80000000, v2
	v_lshl_add_u32 v7, v7, 23, v21
	v_or3_b32 v3, v2, v7, v3
.LBB6_4596:                             ;   in Loop: Header=BB6_4548 Depth=2
	s_or_b64 exec, exec, s[58:59]
.LBB6_4597:                             ;   in Loop: Header=BB6_4548 Depth=2
	s_or_b64 exec, exec, s[56:57]
.LBB6_4598:                             ;   in Loop: Header=BB6_4548 Depth=2
	s_or_b64 exec, exec, s[20:21]
	v_mul_f32_e32 v2, v9, v3
	v_and_b32_sdwa v7, v2, s71 dst_sel:DWORD dst_unused:UNUSED_PAD src0_sel:BYTE_3 src1_sel:DWORD
	v_and_b32_e32 v22, 0x7f800000, v2
	v_mov_b32_e32 v23, v37
	v_and_b32_e32 v36, 0x7fffff, v2
	v_or_b32_e32 v42, 0x7e, v7
	v_cmp_ne_u64_e32 vcc, s[38:39], v[22:23]
	s_and_saveexec_b64 s[20:21], vcc
	s_xor_b64 s[56:57], exec, s[20:21]
	s_cbranch_execz .LBB6_4608
; %bb.4599:                             ;   in Loop: Header=BB6_4548 Depth=2
	v_and_b32_e32 v22, 0x7fffffff, v2
	v_mov_b32_e32 v23, v37
	v_cmp_gt_u64_e32 vcc, s[40:41], v[22:23]
	s_and_saveexec_b64 s[58:59], vcc
	s_cbranch_execz .LBB6_4607
; %bb.4600:                             ;   in Loop: Header=BB6_4548 Depth=2
	v_cmp_ne_u32_e32 vcc, 0, v2
	v_mov_b32_e32 v42, 0
	s_and_saveexec_b64 s[60:61], vcc
	s_cbranch_execz .LBB6_4606
; %bb.4601:                             ;   in Loop: Header=BB6_4548 Depth=2
	v_bfe_u32 v2, v2, 23, 8
	v_sub_u32_e32 v8, 0x79, v2
	v_cmp_gt_u32_e32 vcc, s72, v2
	v_add_u32_e32 v3, 0xffffff81, v2
	v_cndmask_b32_e32 v8, 0, v8, vcc
	v_cmp_eq_u32_e32 vcc, 0, v2
	v_mov_b32_e32 v2, 0xffffff82
	v_cndmask_b32_e32 v19, v3, v2, vcc
	v_mov_b32_e32 v2, 0x78
	v_or_b32_e32 v15, 0x800000, v36
	v_cndmask_b32_e32 v8, v8, v2, vcc
	v_cndmask_b32_e32 v36, v15, v36, vcc
	v_add_u32_e32 v2, 20, v8
	v_lshlrev_b64 v[2:3], v2, -1
	v_add_u32_e32 v15, 19, v8
	v_lshrrev_b64 v[24:25], v8, v[36:37]
	v_not_b32_e32 v3, v3
	v_not_b32_e32 v2, v2
	v_lshlrev_b64 v[22:23], v15, 1
	v_lshrrev_b32_e32 v15, 23, v24
	v_and_b32_e32 v3, 0, v3
	v_and_b32_e32 v2, v36, v2
	v_add3_u32 v19, v8, v19, v15
	v_bfe_u32 v8, v24, 20, 1
	v_add_u32_e32 v8, -1, v8
	v_cmp_eq_u64_e32 vcc, v[2:3], v[22:23]
	v_cndmask_b32_e32 v2, 0, v8, vcc
	v_add_u32_e32 v2, v2, v24
	v_and_b32_e32 v2, 0xfffff, v2
	v_add_co_u32_e32 v2, vcc, v2, v24
	v_add_u32_e32 v15, 6, v19
	v_addc_co_u32_e32 v3, vcc, 0, v25, vcc
	v_cmp_ne_u32_e32 vcc, 0, v15
                                        ; implicit-def: $vgpr8
	s_and_saveexec_b64 s[20:21], vcc
	s_xor_b64 s[20:21], exec, s[20:21]
; %bb.4602:                             ;   in Loop: Header=BB6_4548 Depth=2
	v_add_u32_e32 v8, 7, v19
	v_cmp_lt_u64_e32 vcc, s[44:45], v[2:3]
	v_cndmask_b32_e32 v8, v15, v8, vcc
	v_cndmask_b32_e64 v15, 0, 1, vcc
	v_lshrrev_b64 v[2:3], v15, v[2:3]
; %bb.4603:                             ;   in Loop: Header=BB6_4548 Depth=2
	s_andn2_saveexec_b64 s[20:21], s[20:21]
; %bb.4604:                             ;   in Loop: Header=BB6_4548 Depth=2
	v_bfe_u32 v8, v2, 23, 1
; %bb.4605:                             ;   in Loop: Header=BB6_4548 Depth=2
	s_or_b64 exec, exec, s[20:21]
	v_lshrrev_b64 v[2:3], 20, v[2:3]
	v_cmp_gt_i32_e32 vcc, 16, v8
	v_cndmask_b32_e32 v3, 0, v3, vcc
	v_cndmask_b32_e32 v2, 7, v2, vcc
	v_cmp_eq_u64_e64 s[20:21], 0, v[2:3]
	v_min_i32_e32 v3, 15, v8
	v_cmp_eq_u32_e32 vcc, 0, v8
	v_lshlrev_b32_e32 v3, 3, v3
	v_and_or_b32 v2, v2, 7, v3
	s_and_b64 s[20:21], vcc, s[20:21]
	v_cndmask_b32_e64 v2, v2, 0, s[20:21]
	v_or_b32_e32 v42, v2, v7
.LBB6_4606:                             ;   in Loop: Header=BB6_4548 Depth=2
	s_or_b64 exec, exec, s[60:61]
.LBB6_4607:                             ;   in Loop: Header=BB6_4548 Depth=2
	s_or_b64 exec, exec, s[58:59]
                                        ; implicit-def: $vgpr2
.LBB6_4608:                             ;   in Loop: Header=BB6_4548 Depth=2
	s_andn2_saveexec_b64 s[20:21], s[56:57]
; %bb.4609:                             ;   in Loop: Header=BB6_4548 Depth=2
	v_or_b32_sdwa v2, v2, s69 dst_sel:DWORD dst_unused:UNUSED_PAD src0_sel:BYTE_3 src1_sel:DWORD
	v_cmp_eq_u64_e32 vcc, 0, v[36:37]
	v_cndmask_b32_e32 v42, v2, v42, vcc
; %bb.4610:                             ;   in Loop: Header=BB6_4548 Depth=2
	s_or_b64 exec, exec, s[20:21]
	v_cmp_lt_u32_e32 vcc, s43, v10
	v_mov_b32_e32 v3, 0
	s_and_saveexec_b64 s[20:21], vcc
	s_cbranch_execz .LBB6_4616
; %bb.4611:                             ;   in Loop: Header=BB6_4548 Depth=2
	v_lshrrev_b32_e32 v2, 24, v10
	v_cmp_ne_u32_e32 vcc, s71, v2
	v_bfrev_b32_e32 v3, 1
	s_and_saveexec_b64 s[56:57], vcc
	s_cbranch_execz .LBB6_4615
; %bb.4612:                             ;   in Loop: Header=BB6_4548 Depth=2
	v_bfe_u32 v7, v10, 24, 7
	v_cmp_ne_u32_e32 vcc, s69, v7
	v_mov_b32_e32 v3, 0x7f800001
	s_and_saveexec_b64 s[58:59], vcc
	s_cbranch_execz .LBB6_4614
; %bb.4613:                             ;   in Loop: Header=BB6_4548 Depth=2
	v_and_b32_e32 v3, 7, v2
	v_ffbh_u32_e32 v15, v3
	v_min_u32_e32 v15, 32, v15
	v_subrev_u32_e32 v19, 28, v15
	v_lshlrev_b64 v[22:23], v19, v[2:3]
	v_lshrrev_b32_e32 v8, 3, v7
	v_sub_u32_e32 v15, 29, v15
	v_and_b32_e32 v19, 7, v22
	v_cmp_gt_u32_e32 vcc, 8, v7
	v_cndmask_b32_e32 v7, v8, v15, vcc
	v_cndmask_b32_e32 v3, v3, v19, vcc
	v_lshlrev_b32_e32 v2, 24, v2
	v_lshlrev_b32_e32 v3, 20, v3
	v_and_b32_e32 v2, 0x80000000, v2
	v_lshl_add_u32 v7, v7, 23, v21
	v_or3_b32 v3, v2, v7, v3
.LBB6_4614:                             ;   in Loop: Header=BB6_4548 Depth=2
	s_or_b64 exec, exec, s[58:59]
.LBB6_4615:                             ;   in Loop: Header=BB6_4548 Depth=2
	s_or_b64 exec, exec, s[56:57]
.LBB6_4616:                             ;   in Loop: Header=BB6_4548 Depth=2
	s_or_b64 exec, exec, s[20:21]
	v_mul_f32_e32 v2, v9, v3
	v_and_b32_sdwa v7, v2, s71 dst_sel:DWORD dst_unused:UNUSED_PAD src0_sel:BYTE_3 src1_sel:DWORD
	v_and_b32_e32 v22, 0x7f800000, v2
	v_mov_b32_e32 v23, v37
	v_and_b32_e32 v36, 0x7fffff, v2
	v_or_b32_e32 v26, 0x7e, v7
	v_cmp_ne_u64_e32 vcc, s[38:39], v[22:23]
	s_and_saveexec_b64 s[20:21], vcc
	s_xor_b64 s[56:57], exec, s[20:21]
	s_cbranch_execz .LBB6_4626
; %bb.4617:                             ;   in Loop: Header=BB6_4548 Depth=2
	v_and_b32_e32 v22, 0x7fffffff, v2
	v_mov_b32_e32 v23, v37
	v_cmp_gt_u64_e32 vcc, s[40:41], v[22:23]
	s_and_saveexec_b64 s[58:59], vcc
	s_cbranch_execz .LBB6_4625
; %bb.4618:                             ;   in Loop: Header=BB6_4548 Depth=2
	v_cmp_ne_u32_e32 vcc, 0, v2
	v_mov_b32_e32 v26, 0
	s_and_saveexec_b64 s[60:61], vcc
	s_cbranch_execz .LBB6_4624
; %bb.4619:                             ;   in Loop: Header=BB6_4548 Depth=2
	v_bfe_u32 v2, v2, 23, 8
	v_sub_u32_e32 v8, 0x79, v2
	v_cmp_gt_u32_e32 vcc, s72, v2
	v_add_u32_e32 v3, 0xffffff81, v2
	v_cndmask_b32_e32 v8, 0, v8, vcc
	v_cmp_eq_u32_e32 vcc, 0, v2
	v_mov_b32_e32 v2, 0xffffff82
	v_cndmask_b32_e32 v19, v3, v2, vcc
	v_mov_b32_e32 v2, 0x78
	v_or_b32_e32 v15, 0x800000, v36
	v_cndmask_b32_e32 v8, v8, v2, vcc
	v_cndmask_b32_e32 v36, v15, v36, vcc
	v_add_u32_e32 v2, 20, v8
	v_lshlrev_b64 v[2:3], v2, -1
	v_add_u32_e32 v15, 19, v8
	v_lshrrev_b64 v[24:25], v8, v[36:37]
	v_not_b32_e32 v3, v3
	v_not_b32_e32 v2, v2
	v_lshlrev_b64 v[22:23], v15, 1
	v_lshrrev_b32_e32 v15, 23, v24
	v_and_b32_e32 v3, 0, v3
	v_and_b32_e32 v2, v36, v2
	v_add3_u32 v19, v8, v19, v15
	v_bfe_u32 v8, v24, 20, 1
	v_add_u32_e32 v8, -1, v8
	v_cmp_eq_u64_e32 vcc, v[2:3], v[22:23]
	v_cndmask_b32_e32 v2, 0, v8, vcc
	v_add_u32_e32 v2, v2, v24
	v_and_b32_e32 v2, 0xfffff, v2
	v_add_co_u32_e32 v2, vcc, v2, v24
	v_add_u32_e32 v15, 6, v19
	v_addc_co_u32_e32 v3, vcc, 0, v25, vcc
	v_cmp_ne_u32_e32 vcc, 0, v15
                                        ; implicit-def: $vgpr8
	s_and_saveexec_b64 s[20:21], vcc
	s_xor_b64 s[20:21], exec, s[20:21]
; %bb.4620:                             ;   in Loop: Header=BB6_4548 Depth=2
	v_add_u32_e32 v8, 7, v19
	v_cmp_lt_u64_e32 vcc, s[44:45], v[2:3]
	v_cndmask_b32_e32 v8, v15, v8, vcc
	v_cndmask_b32_e64 v15, 0, 1, vcc
	v_lshrrev_b64 v[2:3], v15, v[2:3]
; %bb.4621:                             ;   in Loop: Header=BB6_4548 Depth=2
	s_andn2_saveexec_b64 s[20:21], s[20:21]
; %bb.4622:                             ;   in Loop: Header=BB6_4548 Depth=2
	v_bfe_u32 v8, v2, 23, 1
; %bb.4623:                             ;   in Loop: Header=BB6_4548 Depth=2
	s_or_b64 exec, exec, s[20:21]
	v_lshrrev_b64 v[2:3], 20, v[2:3]
	v_cmp_gt_i32_e32 vcc, 16, v8
	v_cndmask_b32_e32 v3, 0, v3, vcc
	v_cndmask_b32_e32 v2, 7, v2, vcc
	v_cmp_eq_u64_e64 s[20:21], 0, v[2:3]
	v_min_i32_e32 v3, 15, v8
	v_cmp_eq_u32_e32 vcc, 0, v8
	v_lshlrev_b32_e32 v3, 3, v3
	v_and_or_b32 v2, v2, 7, v3
	s_and_b64 s[20:21], vcc, s[20:21]
	v_cndmask_b32_e64 v2, v2, 0, s[20:21]
	v_or_b32_e32 v26, v2, v7
.LBB6_4624:                             ;   in Loop: Header=BB6_4548 Depth=2
	s_or_b64 exec, exec, s[60:61]
.LBB6_4625:                             ;   in Loop: Header=BB6_4548 Depth=2
	s_or_b64 exec, exec, s[58:59]
                                        ; implicit-def: $vgpr2
.LBB6_4626:                             ;   in Loop: Header=BB6_4548 Depth=2
	s_andn2_saveexec_b64 s[20:21], s[56:57]
; %bb.4627:                             ;   in Loop: Header=BB6_4548 Depth=2
	v_or_b32_sdwa v2, v2, s69 dst_sel:DWORD dst_unused:UNUSED_PAD src0_sel:BYTE_3 src1_sel:DWORD
	v_cmp_eq_u64_e32 vcc, 0, v[36:37]
	v_cndmask_b32_e32 v26, v2, v26, vcc
; %bb.4628:                             ;   in Loop: Header=BB6_4548 Depth=2
	s_or_b64 exec, exec, s[20:21]
	v_mov_b32_e32 v36, v11
	v_cmp_ne_u16_sdwa vcc, v11, v37 src0_sel:BYTE_0 src1_sel:DWORD
	v_mov_b32_e32 v2, 0
	s_and_saveexec_b64 s[20:21], vcc
	s_cbranch_execz .LBB6_4634
; %bb.4629:                             ;   in Loop: Header=BB6_4548 Depth=2
	v_cmp_ne_u16_sdwa vcc, v11, s71 src0_sel:BYTE_0 src1_sel:DWORD
	v_bfrev_b32_e32 v2, 1
	s_and_saveexec_b64 s[56:57], vcc
	s_cbranch_execz .LBB6_4633
; %bb.4630:                             ;   in Loop: Header=BB6_4548 Depth=2
	v_and_b32_e32 v3, 0x7f, v11
	v_cmp_ne_u32_e32 vcc, s69, v3
	v_mov_b32_e32 v2, 0x7f800001
	s_and_saveexec_b64 s[58:59], vcc
	s_cbranch_execz .LBB6_4632
; %bb.4631:                             ;   in Loop: Header=BB6_4548 Depth=2
	v_and_b32_e32 v2, 7, v11
	v_ffbh_u32_e32 v2, v2
	v_min_u32_e32 v2, 32, v2
	v_lshrrev_b32_e32 v7, 3, v3
	v_subrev_u32_e32 v8, 28, v2
	v_sub_u32_e32 v2, 29, v2
	v_cmp_gt_u32_e32 vcc, 8, v3
	v_cndmask_b32_e32 v7, v7, v2, vcc
	v_cndmask_b32_e32 v2, 0, v8, vcc
	v_lshlrev_b64 v[2:3], v2, v[36:37]
	v_lshlrev_b32_e32 v2, 20, v2
	v_lshlrev_b32_e32 v3, 24, v36
	v_and_b32_e32 v2, 0x700000, v2
	v_and_b32_e32 v3, 0x80000000, v3
	v_lshl_add_u32 v7, v7, 23, v21
	v_or3_b32 v2, v3, v7, v2
.LBB6_4632:                             ;   in Loop: Header=BB6_4548 Depth=2
	s_or_b64 exec, exec, s[58:59]
.LBB6_4633:                             ;   in Loop: Header=BB6_4548 Depth=2
	s_or_b64 exec, exec, s[56:57]
.LBB6_4634:                             ;   in Loop: Header=BB6_4548 Depth=2
	s_or_b64 exec, exec, s[20:21]
	v_mul_f32_e32 v8, v9, v2
	v_and_b32_sdwa v7, v8, s71 dst_sel:DWORD dst_unused:UNUSED_PAD src0_sel:BYTE_3 src1_sel:DWORD
	v_and_b32_e32 v24, 0x7f800000, v8
	v_mov_b32_e32 v25, v37
	v_and_b32_e32 v2, 0x7fffff, v8
	v_mov_b32_e32 v3, v37
	v_or_b32_e32 v22, 0x7e, v7
	v_cmp_ne_u64_e32 vcc, s[38:39], v[24:25]
	s_and_saveexec_b64 s[20:21], vcc
	s_xor_b64 s[56:57], exec, s[20:21]
	s_cbranch_execz .LBB6_4644
; %bb.4635:                             ;   in Loop: Header=BB6_4548 Depth=2
	v_and_b32_e32 v24, 0x7fffffff, v8
	v_mov_b32_e32 v25, v37
	v_cmp_gt_u64_e32 vcc, s[40:41], v[24:25]
	s_and_saveexec_b64 s[58:59], vcc
	s_cbranch_execz .LBB6_4643
; %bb.4636:                             ;   in Loop: Header=BB6_4548 Depth=2
	v_cmp_ne_u32_e32 vcc, 0, v8
	v_mov_b32_e32 v22, 0
	s_and_saveexec_b64 s[60:61], vcc
	s_cbranch_execz .LBB6_4642
; %bb.4637:                             ;   in Loop: Header=BB6_4548 Depth=2
	v_bfe_u32 v8, v8, 23, 8
	v_sub_u32_e32 v19, 0x79, v8
	v_cmp_gt_u32_e32 vcc, s72, v8
	v_add_u32_e32 v15, 0xffffff81, v8
	v_cndmask_b32_e32 v19, 0, v19, vcc
	v_cmp_eq_u32_e32 vcc, 0, v8
	v_mov_b32_e32 v8, 0xffffff82
	v_cndmask_b32_e32 v8, v15, v8, vcc
	v_mov_b32_e32 v15, 0x78
	v_cndmask_b32_e32 v15, v19, v15, vcc
	v_or_b32_e32 v22, 0x800000, v2
	v_add_u32_e32 v19, 20, v15
	v_cndmask_b32_e32 v2, v22, v2, vcc
	v_lshlrev_b64 v[22:23], v19, -1
	v_not_b32_e32 v19, v23
	v_not_b32_e32 v22, v22
	v_and_b32_e32 v23, 0, v19
	v_and_b32_e32 v22, v2, v22
	v_add_u32_e32 v19, 19, v15
	v_lshrrev_b64 v[2:3], v15, v[2:3]
	v_lshlrev_b64 v[24:25], v19, 1
	v_lshrrev_b32_e32 v19, 23, v2
	v_add3_u32 v19, v15, v8, v19
	v_bfe_u32 v8, v2, 20, 1
	v_add_u32_e32 v8, -1, v8
	v_cmp_eq_u64_e32 vcc, v[22:23], v[24:25]
	v_cndmask_b32_e32 v8, 0, v8, vcc
	v_add_u32_e32 v8, v8, v2
	v_and_b32_e32 v8, 0xfffff, v8
	v_add_co_u32_e32 v2, vcc, v8, v2
	v_add_u32_e32 v15, 6, v19
	v_addc_co_u32_e32 v3, vcc, 0, v3, vcc
	v_cmp_ne_u32_e32 vcc, 0, v15
                                        ; implicit-def: $vgpr8
	s_and_saveexec_b64 s[20:21], vcc
	s_xor_b64 s[20:21], exec, s[20:21]
; %bb.4638:                             ;   in Loop: Header=BB6_4548 Depth=2
	v_add_u32_e32 v8, 7, v19
	v_cmp_lt_u64_e32 vcc, s[44:45], v[2:3]
	v_cndmask_b32_e32 v8, v15, v8, vcc
	v_cndmask_b32_e64 v15, 0, 1, vcc
	v_lshrrev_b64 v[2:3], v15, v[2:3]
; %bb.4639:                             ;   in Loop: Header=BB6_4548 Depth=2
	s_andn2_saveexec_b64 s[20:21], s[20:21]
; %bb.4640:                             ;   in Loop: Header=BB6_4548 Depth=2
	v_bfe_u32 v8, v2, 23, 1
; %bb.4641:                             ;   in Loop: Header=BB6_4548 Depth=2
	s_or_b64 exec, exec, s[20:21]
	v_lshrrev_b64 v[2:3], 20, v[2:3]
	v_cmp_gt_i32_e32 vcc, 16, v8
	v_cndmask_b32_e32 v3, 0, v3, vcc
	v_cndmask_b32_e32 v2, 7, v2, vcc
	v_cmp_eq_u64_e64 s[20:21], 0, v[2:3]
	v_min_i32_e32 v3, 15, v8
	v_cmp_eq_u32_e32 vcc, 0, v8
	v_lshlrev_b32_e32 v3, 3, v3
	v_and_or_b32 v2, v2, 7, v3
	s_and_b64 s[20:21], vcc, s[20:21]
	v_cndmask_b32_e64 v2, v2, 0, s[20:21]
	v_or_b32_e32 v22, v2, v7
.LBB6_4642:                             ;   in Loop: Header=BB6_4548 Depth=2
	s_or_b64 exec, exec, s[60:61]
.LBB6_4643:                             ;   in Loop: Header=BB6_4548 Depth=2
	s_or_b64 exec, exec, s[58:59]
                                        ; implicit-def: $vgpr8
                                        ; implicit-def: $vgpr2_vgpr3
.LBB6_4644:                             ;   in Loop: Header=BB6_4548 Depth=2
	s_andn2_saveexec_b64 s[20:21], s[56:57]
; %bb.4645:                             ;   in Loop: Header=BB6_4548 Depth=2
	v_or_b32_sdwa v7, v8, s69 dst_sel:DWORD dst_unused:UNUSED_PAD src0_sel:BYTE_3 src1_sel:DWORD
	v_cmp_eq_u64_e32 vcc, 0, v[2:3]
	v_cndmask_b32_e32 v22, v7, v22, vcc
; %bb.4646:                             ;   in Loop: Header=BB6_4548 Depth=2
	s_or_b64 exec, exec, s[20:21]
	v_lshrrev_b16_e32 v2, 8, v36
	v_cmp_ne_u16_e32 vcc, 0, v2
	v_mov_b32_e32 v3, 0
	s_and_saveexec_b64 s[20:21], vcc
	s_cbranch_execz .LBB6_4652
; %bb.4647:                             ;   in Loop: Header=BB6_4548 Depth=2
	v_cmp_ne_u16_e32 vcc, s71, v2
	v_bfrev_b32_e32 v3, 1
	s_and_saveexec_b64 s[56:57], vcc
	s_cbranch_execz .LBB6_4651
; %bb.4648:                             ;   in Loop: Header=BB6_4548 Depth=2
	v_and_b32_e32 v7, 0x7f, v2
	v_cmp_ne_u32_e32 vcc, s69, v7
	v_mov_b32_e32 v3, 0x7f800001
	s_and_saveexec_b64 s[58:59], vcc
	s_cbranch_execz .LBB6_4650
; %bb.4649:                             ;   in Loop: Header=BB6_4548 Depth=2
	v_and_b32_e32 v8, 7, v2
	v_ffbh_u32_e32 v3, v8
	v_min_u32_e32 v19, 32, v3
	v_subrev_u32_e32 v3, 28, v19
	v_lshlrev_b64 v[2:3], v3, v[2:3]
	v_lshrrev_b32_e32 v15, 3, v7
	v_sub_u32_e32 v3, 29, v19
	v_and_b32_e32 v2, 7, v2
	v_cmp_gt_u32_e32 vcc, 8, v7
	v_cndmask_b32_e32 v3, v15, v3, vcc
	v_cndmask_b32_e32 v2, v8, v2, vcc
	v_lshlrev_b32_e32 v7, 16, v36
	v_lshlrev_b32_e32 v2, 20, v2
	v_and_b32_e32 v7, 0x80000000, v7
	v_lshl_add_u32 v3, v3, 23, v21
	v_or3_b32 v3, v7, v3, v2
.LBB6_4650:                             ;   in Loop: Header=BB6_4548 Depth=2
	s_or_b64 exec, exec, s[58:59]
.LBB6_4651:                             ;   in Loop: Header=BB6_4548 Depth=2
	s_or_b64 exec, exec, s[56:57]
.LBB6_4652:                             ;   in Loop: Header=BB6_4548 Depth=2
	s_or_b64 exec, exec, s[20:21]
	v_mul_f32_e32 v2, v9, v3
	v_and_b32_sdwa v7, v2, s71 dst_sel:DWORD dst_unused:UNUSED_PAD src0_sel:BYTE_3 src1_sel:DWORD
	v_and_b32_e32 v24, 0x7f800000, v2
	v_mov_b32_e32 v25, v37
	v_and_b32_e32 v36, 0x7fffff, v2
	v_or_b32_e32 v30, 0x7e, v7
	v_cmp_ne_u64_e32 vcc, s[38:39], v[24:25]
	s_and_saveexec_b64 s[20:21], vcc
	s_xor_b64 s[56:57], exec, s[20:21]
	s_cbranch_execz .LBB6_4662
; %bb.4653:                             ;   in Loop: Header=BB6_4548 Depth=2
	v_and_b32_e32 v24, 0x7fffffff, v2
	v_mov_b32_e32 v25, v37
	v_cmp_gt_u64_e32 vcc, s[40:41], v[24:25]
	s_and_saveexec_b64 s[58:59], vcc
	s_cbranch_execz .LBB6_4661
; %bb.4654:                             ;   in Loop: Header=BB6_4548 Depth=2
	v_cmp_ne_u32_e32 vcc, 0, v2
	v_mov_b32_e32 v30, 0
	s_and_saveexec_b64 s[60:61], vcc
	s_cbranch_execz .LBB6_4660
; %bb.4655:                             ;   in Loop: Header=BB6_4548 Depth=2
	v_bfe_u32 v2, v2, 23, 8
	v_sub_u32_e32 v8, 0x79, v2
	v_cmp_gt_u32_e32 vcc, s72, v2
	v_add_u32_e32 v3, 0xffffff81, v2
	v_cndmask_b32_e32 v8, 0, v8, vcc
	v_cmp_eq_u32_e32 vcc, 0, v2
	v_mov_b32_e32 v2, 0xffffff82
	v_cndmask_b32_e32 v19, v3, v2, vcc
	v_mov_b32_e32 v2, 0x78
	v_or_b32_e32 v15, 0x800000, v36
	v_cndmask_b32_e32 v8, v8, v2, vcc
	v_cndmask_b32_e32 v36, v15, v36, vcc
	v_add_u32_e32 v2, 20, v8
	v_lshlrev_b64 v[2:3], v2, -1
	v_add_u32_e32 v15, 19, v8
	v_lshrrev_b64 v[28:29], v8, v[36:37]
	v_not_b32_e32 v3, v3
	v_not_b32_e32 v2, v2
	v_lshlrev_b64 v[24:25], v15, 1
	v_lshrrev_b32_e32 v15, 23, v28
	v_and_b32_e32 v3, 0, v3
	v_and_b32_e32 v2, v36, v2
	v_add3_u32 v19, v8, v19, v15
	v_bfe_u32 v8, v28, 20, 1
	v_add_u32_e32 v8, -1, v8
	v_cmp_eq_u64_e32 vcc, v[2:3], v[24:25]
	v_cndmask_b32_e32 v2, 0, v8, vcc
	v_add_u32_e32 v2, v2, v28
	v_and_b32_e32 v2, 0xfffff, v2
	v_add_co_u32_e32 v2, vcc, v2, v28
	v_add_u32_e32 v15, 6, v19
	v_addc_co_u32_e32 v3, vcc, 0, v29, vcc
	v_cmp_ne_u32_e32 vcc, 0, v15
                                        ; implicit-def: $vgpr8
	s_and_saveexec_b64 s[20:21], vcc
	s_xor_b64 s[20:21], exec, s[20:21]
; %bb.4656:                             ;   in Loop: Header=BB6_4548 Depth=2
	v_add_u32_e32 v8, 7, v19
	v_cmp_lt_u64_e32 vcc, s[44:45], v[2:3]
	v_cndmask_b32_e32 v8, v15, v8, vcc
	v_cndmask_b32_e64 v15, 0, 1, vcc
	v_lshrrev_b64 v[2:3], v15, v[2:3]
; %bb.4657:                             ;   in Loop: Header=BB6_4548 Depth=2
	s_andn2_saveexec_b64 s[20:21], s[20:21]
; %bb.4658:                             ;   in Loop: Header=BB6_4548 Depth=2
	v_bfe_u32 v8, v2, 23, 1
; %bb.4659:                             ;   in Loop: Header=BB6_4548 Depth=2
	s_or_b64 exec, exec, s[20:21]
	v_lshrrev_b64 v[2:3], 20, v[2:3]
	v_cmp_gt_i32_e32 vcc, 16, v8
	v_cndmask_b32_e32 v3, 0, v3, vcc
	v_cndmask_b32_e32 v2, 7, v2, vcc
	v_cmp_eq_u64_e64 s[20:21], 0, v[2:3]
	v_min_i32_e32 v3, 15, v8
	v_lshlrev_b32_e32 v3, 3, v3
	v_cmp_eq_u32_e32 vcc, 0, v8
	v_and_b32_e32 v3, 0xf8, v3
	v_and_or_b32 v2, v2, 7, v3
	s_and_b64 s[20:21], vcc, s[20:21]
	v_cndmask_b32_e64 v2, v2, 0, s[20:21]
	v_or_b32_e32 v30, v2, v7
.LBB6_4660:                             ;   in Loop: Header=BB6_4548 Depth=2
	s_or_b64 exec, exec, s[60:61]
.LBB6_4661:                             ;   in Loop: Header=BB6_4548 Depth=2
	s_or_b64 exec, exec, s[58:59]
                                        ; implicit-def: $vgpr2
.LBB6_4662:                             ;   in Loop: Header=BB6_4548 Depth=2
	s_andn2_saveexec_b64 s[20:21], s[56:57]
; %bb.4663:                             ;   in Loop: Header=BB6_4548 Depth=2
	v_or_b32_sdwa v2, v2, s69 dst_sel:DWORD dst_unused:UNUSED_PAD src0_sel:BYTE_3 src1_sel:DWORD
	v_cmp_eq_u64_e32 vcc, 0, v[36:37]
	v_cndmask_b32_e32 v30, v2, v30, vcc
; %bb.4664:                             ;   in Loop: Header=BB6_4548 Depth=2
	s_or_b64 exec, exec, s[20:21]
	v_lshrrev_b32_e32 v2, 16, v11
	v_cmp_ne_u16_sdwa vcc, v2, v37 src0_sel:BYTE_0 src1_sel:DWORD
	v_mov_b32_e32 v3, 0
	s_and_saveexec_b64 s[20:21], vcc
	s_cbranch_execz .LBB6_4670
; %bb.4665:                             ;   in Loop: Header=BB6_4548 Depth=2
	v_cmp_ne_u16_sdwa vcc, v2, s71 src0_sel:BYTE_0 src1_sel:DWORD
	v_bfrev_b32_e32 v3, 1
	s_and_saveexec_b64 s[56:57], vcc
	s_cbranch_execz .LBB6_4669
; %bb.4666:                             ;   in Loop: Header=BB6_4548 Depth=2
	v_bfe_u32 v7, v11, 16, 7
	v_cmp_ne_u32_e32 vcc, s69, v7
	v_mov_b32_e32 v3, 0x7f800001
	s_and_saveexec_b64 s[58:59], vcc
	s_cbranch_execz .LBB6_4668
; %bb.4667:                             ;   in Loop: Header=BB6_4548 Depth=2
	v_and_b32_e32 v3, 7, v2
	v_ffbh_u32_e32 v15, v3
	v_min_u32_e32 v15, 32, v15
	v_subrev_u32_e32 v19, 28, v15
	v_lshlrev_b64 v[24:25], v19, v[2:3]
	v_lshrrev_b32_e32 v8, 3, v7
	v_sub_u32_e32 v15, 29, v15
	v_and_b32_e32 v19, 7, v24
	v_cmp_gt_u32_e32 vcc, 8, v7
	v_cndmask_b32_e32 v7, v8, v15, vcc
	v_cndmask_b32_e32 v3, v3, v19, vcc
	v_lshlrev_b32_e32 v2, 24, v2
	v_lshlrev_b32_e32 v3, 20, v3
	v_and_b32_e32 v2, 0x80000000, v2
	v_lshl_add_u32 v7, v7, 23, v21
	v_or3_b32 v3, v2, v7, v3
.LBB6_4668:                             ;   in Loop: Header=BB6_4548 Depth=2
	s_or_b64 exec, exec, s[58:59]
.LBB6_4669:                             ;   in Loop: Header=BB6_4548 Depth=2
	s_or_b64 exec, exec, s[56:57]
.LBB6_4670:                             ;   in Loop: Header=BB6_4548 Depth=2
	s_or_b64 exec, exec, s[20:21]
	v_mul_f32_e32 v2, v9, v3
	v_and_b32_sdwa v7, v2, s71 dst_sel:DWORD dst_unused:UNUSED_PAD src0_sel:BYTE_3 src1_sel:DWORD
	v_and_b32_e32 v24, 0x7f800000, v2
	v_mov_b32_e32 v25, v37
	v_and_b32_e32 v36, 0x7fffff, v2
	v_or_b32_e32 v31, 0x7e, v7
	v_cmp_ne_u64_e32 vcc, s[38:39], v[24:25]
	s_and_saveexec_b64 s[20:21], vcc
	s_xor_b64 s[56:57], exec, s[20:21]
	s_cbranch_execz .LBB6_4680
; %bb.4671:                             ;   in Loop: Header=BB6_4548 Depth=2
	v_and_b32_e32 v24, 0x7fffffff, v2
	v_mov_b32_e32 v25, v37
	v_cmp_gt_u64_e32 vcc, s[40:41], v[24:25]
	s_and_saveexec_b64 s[58:59], vcc
	s_cbranch_execz .LBB6_4679
; %bb.4672:                             ;   in Loop: Header=BB6_4548 Depth=2
	v_cmp_ne_u32_e32 vcc, 0, v2
	v_mov_b32_e32 v31, 0
	s_and_saveexec_b64 s[60:61], vcc
	s_cbranch_execz .LBB6_4678
; %bb.4673:                             ;   in Loop: Header=BB6_4548 Depth=2
	v_bfe_u32 v2, v2, 23, 8
	v_sub_u32_e32 v8, 0x79, v2
	v_cmp_gt_u32_e32 vcc, s72, v2
	v_add_u32_e32 v3, 0xffffff81, v2
	v_cndmask_b32_e32 v8, 0, v8, vcc
	v_cmp_eq_u32_e32 vcc, 0, v2
	v_mov_b32_e32 v2, 0xffffff82
	v_cndmask_b32_e32 v19, v3, v2, vcc
	v_mov_b32_e32 v2, 0x78
	v_or_b32_e32 v15, 0x800000, v36
	v_cndmask_b32_e32 v8, v8, v2, vcc
	v_cndmask_b32_e32 v36, v15, v36, vcc
	v_add_u32_e32 v2, 20, v8
	v_lshlrev_b64 v[2:3], v2, -1
	v_add_u32_e32 v15, 19, v8
	v_lshrrev_b64 v[28:29], v8, v[36:37]
	v_not_b32_e32 v3, v3
	v_not_b32_e32 v2, v2
	v_lshlrev_b64 v[24:25], v15, 1
	v_lshrrev_b32_e32 v15, 23, v28
	v_and_b32_e32 v3, 0, v3
	v_and_b32_e32 v2, v36, v2
	v_add3_u32 v19, v8, v19, v15
	v_bfe_u32 v8, v28, 20, 1
	v_add_u32_e32 v8, -1, v8
	v_cmp_eq_u64_e32 vcc, v[2:3], v[24:25]
	v_cndmask_b32_e32 v2, 0, v8, vcc
	v_add_u32_e32 v2, v2, v28
	v_and_b32_e32 v2, 0xfffff, v2
	v_add_co_u32_e32 v2, vcc, v2, v28
	v_add_u32_e32 v15, 6, v19
	v_addc_co_u32_e32 v3, vcc, 0, v29, vcc
	v_cmp_ne_u32_e32 vcc, 0, v15
                                        ; implicit-def: $vgpr8
	s_and_saveexec_b64 s[20:21], vcc
	s_xor_b64 s[20:21], exec, s[20:21]
; %bb.4674:                             ;   in Loop: Header=BB6_4548 Depth=2
	v_add_u32_e32 v8, 7, v19
	v_cmp_lt_u64_e32 vcc, s[44:45], v[2:3]
	v_cndmask_b32_e32 v8, v15, v8, vcc
	v_cndmask_b32_e64 v15, 0, 1, vcc
	v_lshrrev_b64 v[2:3], v15, v[2:3]
; %bb.4675:                             ;   in Loop: Header=BB6_4548 Depth=2
	s_andn2_saveexec_b64 s[20:21], s[20:21]
; %bb.4676:                             ;   in Loop: Header=BB6_4548 Depth=2
	v_bfe_u32 v8, v2, 23, 1
; %bb.4677:                             ;   in Loop: Header=BB6_4548 Depth=2
	s_or_b64 exec, exec, s[20:21]
	v_lshrrev_b64 v[2:3], 20, v[2:3]
	v_cmp_gt_i32_e32 vcc, 16, v8
	v_cndmask_b32_e32 v3, 0, v3, vcc
	v_cndmask_b32_e32 v2, 7, v2, vcc
	v_cmp_eq_u64_e64 s[20:21], 0, v[2:3]
	v_min_i32_e32 v3, 15, v8
	v_lshlrev_b32_e32 v3, 3, v3
	v_cmp_eq_u32_e32 vcc, 0, v8
	v_and_b32_e32 v3, 0xf8, v3
	v_and_or_b32 v2, v2, 7, v3
	s_and_b64 s[20:21], vcc, s[20:21]
	v_cndmask_b32_e64 v2, v2, 0, s[20:21]
	v_or_b32_e32 v31, v2, v7
.LBB6_4678:                             ;   in Loop: Header=BB6_4548 Depth=2
	s_or_b64 exec, exec, s[60:61]
.LBB6_4679:                             ;   in Loop: Header=BB6_4548 Depth=2
	s_or_b64 exec, exec, s[58:59]
                                        ; implicit-def: $vgpr2
.LBB6_4680:                             ;   in Loop: Header=BB6_4548 Depth=2
	s_andn2_saveexec_b64 s[20:21], s[56:57]
; %bb.4681:                             ;   in Loop: Header=BB6_4548 Depth=2
	v_or_b32_sdwa v2, v2, s69 dst_sel:DWORD dst_unused:UNUSED_PAD src0_sel:BYTE_3 src1_sel:DWORD
	v_cmp_eq_u64_e32 vcc, 0, v[36:37]
	v_cndmask_b32_e32 v31, v2, v31, vcc
; %bb.4682:                             ;   in Loop: Header=BB6_4548 Depth=2
	s_or_b64 exec, exec, s[20:21]
	v_cmp_lt_u64_e32 vcc, s[42:43], v[10:11]
	v_mov_b32_e32 v3, 0
	s_and_saveexec_b64 s[20:21], vcc
	s_cbranch_execz .LBB6_4688
; %bb.4683:                             ;   in Loop: Header=BB6_4548 Depth=2
	v_lshrrev_b32_e32 v2, 24, v11
	v_cmp_ne_u32_e32 vcc, s71, v2
	v_bfrev_b32_e32 v3, 1
	s_and_saveexec_b64 s[56:57], vcc
	s_cbranch_execz .LBB6_4687
; %bb.4684:                             ;   in Loop: Header=BB6_4548 Depth=2
	v_bfe_u32 v7, v11, 24, 7
	v_cmp_ne_u32_e32 vcc, s69, v7
	v_mov_b32_e32 v3, 0x7f800001
	s_and_saveexec_b64 s[58:59], vcc
	s_cbranch_execz .LBB6_4686
; %bb.4685:                             ;   in Loop: Header=BB6_4548 Depth=2
	v_and_b32_e32 v3, 7, v2
	v_ffbh_u32_e32 v10, v3
	v_min_u32_e32 v15, 32, v10
	v_subrev_u32_e32 v10, 28, v15
	v_lshlrev_b64 v[10:11], v10, v[2:3]
	v_lshrrev_b32_e32 v8, 3, v7
	v_sub_u32_e32 v11, 29, v15
	v_and_b32_e32 v10, 7, v10
	v_cmp_gt_u32_e32 vcc, 8, v7
	v_cndmask_b32_e32 v7, v8, v11, vcc
	v_cndmask_b32_e32 v3, v3, v10, vcc
	v_lshlrev_b32_e32 v2, 24, v2
	v_lshlrev_b32_e32 v3, 20, v3
	v_and_b32_e32 v2, 0x80000000, v2
	v_lshl_add_u32 v7, v7, 23, v21
	v_or3_b32 v3, v2, v7, v3
.LBB6_4686:                             ;   in Loop: Header=BB6_4548 Depth=2
	s_or_b64 exec, exec, s[58:59]
.LBB6_4687:                             ;   in Loop: Header=BB6_4548 Depth=2
	s_or_b64 exec, exec, s[56:57]
.LBB6_4688:                             ;   in Loop: Header=BB6_4548 Depth=2
	s_or_b64 exec, exec, s[20:21]
	v_mul_f32_e32 v2, v9, v3
	v_and_b32_sdwa v7, v2, s71 dst_sel:DWORD dst_unused:UNUSED_PAD src0_sel:BYTE_3 src1_sel:DWORD
	v_and_b32_e32 v10, 0x7f800000, v2
	v_mov_b32_e32 v11, v37
	v_and_b32_e32 v36, 0x7fffff, v2
	v_or_b32_e32 v32, 0x7e, v7
	v_cmp_ne_u64_e32 vcc, s[38:39], v[10:11]
	s_and_saveexec_b64 s[20:21], vcc
	s_xor_b64 s[56:57], exec, s[20:21]
	s_cbranch_execz .LBB6_4698
; %bb.4689:                             ;   in Loop: Header=BB6_4548 Depth=2
	v_and_b32_e32 v10, 0x7fffffff, v2
	v_mov_b32_e32 v11, v37
	v_cmp_gt_u64_e32 vcc, s[40:41], v[10:11]
	s_and_saveexec_b64 s[58:59], vcc
	s_cbranch_execz .LBB6_4697
; %bb.4690:                             ;   in Loop: Header=BB6_4548 Depth=2
	v_cmp_ne_u32_e32 vcc, 0, v2
	v_mov_b32_e32 v32, 0
	s_and_saveexec_b64 s[60:61], vcc
	s_cbranch_execz .LBB6_4696
; %bb.4691:                             ;   in Loop: Header=BB6_4548 Depth=2
	v_bfe_u32 v2, v2, 23, 8
	v_sub_u32_e32 v8, 0x79, v2
	v_cmp_gt_u32_e32 vcc, s72, v2
	v_add_u32_e32 v3, 0xffffff81, v2
	v_cndmask_b32_e32 v8, 0, v8, vcc
	v_cmp_eq_u32_e32 vcc, 0, v2
	v_mov_b32_e32 v2, 0xffffff82
	v_cndmask_b32_e32 v11, v3, v2, vcc
	v_mov_b32_e32 v2, 0x78
	v_or_b32_e32 v10, 0x800000, v36
	v_cndmask_b32_e32 v8, v8, v2, vcc
	v_cndmask_b32_e32 v36, v10, v36, vcc
	v_add_u32_e32 v2, 20, v8
	v_lshlrev_b64 v[2:3], v2, -1
	v_add_u32_e32 v10, 19, v8
	v_lshrrev_b64 v[28:29], v8, v[36:37]
	v_not_b32_e32 v3, v3
	v_not_b32_e32 v2, v2
	v_lshlrev_b64 v[24:25], v10, 1
	v_lshrrev_b32_e32 v10, 23, v28
	v_and_b32_e32 v3, 0, v3
	v_and_b32_e32 v2, v36, v2
	v_add3_u32 v11, v8, v11, v10
	v_bfe_u32 v8, v28, 20, 1
	v_add_u32_e32 v8, -1, v8
	v_cmp_eq_u64_e32 vcc, v[2:3], v[24:25]
	v_cndmask_b32_e32 v2, 0, v8, vcc
	v_add_u32_e32 v2, v2, v28
	v_and_b32_e32 v2, 0xfffff, v2
	v_add_co_u32_e32 v2, vcc, v2, v28
	v_add_u32_e32 v10, 6, v11
	v_addc_co_u32_e32 v3, vcc, 0, v29, vcc
	v_cmp_ne_u32_e32 vcc, 0, v10
                                        ; implicit-def: $vgpr8
	s_and_saveexec_b64 s[20:21], vcc
	s_xor_b64 s[20:21], exec, s[20:21]
; %bb.4692:                             ;   in Loop: Header=BB6_4548 Depth=2
	v_add_u32_e32 v8, 7, v11
	v_cmp_lt_u64_e32 vcc, s[44:45], v[2:3]
	v_cndmask_b32_e32 v8, v10, v8, vcc
	v_cndmask_b32_e64 v10, 0, 1, vcc
	v_lshrrev_b64 v[2:3], v10, v[2:3]
; %bb.4693:                             ;   in Loop: Header=BB6_4548 Depth=2
	s_andn2_saveexec_b64 s[20:21], s[20:21]
; %bb.4694:                             ;   in Loop: Header=BB6_4548 Depth=2
	v_bfe_u32 v8, v2, 23, 1
; %bb.4695:                             ;   in Loop: Header=BB6_4548 Depth=2
	s_or_b64 exec, exec, s[20:21]
	v_lshrrev_b64 v[2:3], 20, v[2:3]
	v_cmp_gt_i32_e32 vcc, 16, v8
	v_cndmask_b32_e32 v3, 0, v3, vcc
	v_cndmask_b32_e32 v2, 7, v2, vcc
	v_cmp_eq_u64_e64 s[20:21], 0, v[2:3]
	v_min_i32_e32 v3, 15, v8
	v_lshlrev_b32_e32 v3, 3, v3
	v_cmp_eq_u32_e32 vcc, 0, v8
	v_and_b32_e32 v3, 0xf8, v3
	v_and_or_b32 v2, v2, 7, v3
	s_and_b64 s[20:21], vcc, s[20:21]
	v_cndmask_b32_e64 v2, v2, 0, s[20:21]
	v_or_b32_e32 v32, v2, v7
.LBB6_4696:                             ;   in Loop: Header=BB6_4548 Depth=2
	s_or_b64 exec, exec, s[60:61]
.LBB6_4697:                             ;   in Loop: Header=BB6_4548 Depth=2
	s_or_b64 exec, exec, s[58:59]
                                        ; implicit-def: $vgpr2
.LBB6_4698:                             ;   in Loop: Header=BB6_4548 Depth=2
	s_andn2_saveexec_b64 s[20:21], s[56:57]
; %bb.4699:                             ;   in Loop: Header=BB6_4548 Depth=2
	v_or_b32_sdwa v2, v2, s69 dst_sel:DWORD dst_unused:UNUSED_PAD src0_sel:BYTE_3 src1_sel:DWORD
	v_cmp_eq_u64_e32 vcc, 0, v[36:37]
	v_cndmask_b32_e32 v32, v2, v32, vcc
; %bb.4700:                             ;   in Loop: Header=BB6_4548 Depth=2
	s_or_b64 exec, exec, s[20:21]
	v_cmp_ne_u16_sdwa vcc, v12, v37 src0_sel:BYTE_0 src1_sel:DWORD
	v_mov_b32_e32 v2, 0
	s_and_saveexec_b64 s[20:21], vcc
	s_cbranch_execz .LBB6_4706
; %bb.4701:                             ;   in Loop: Header=BB6_4548 Depth=2
	v_cmp_ne_u16_sdwa vcc, v12, s71 src0_sel:BYTE_0 src1_sel:DWORD
	v_bfrev_b32_e32 v2, 1
	s_and_saveexec_b64 s[56:57], vcc
	s_cbranch_execz .LBB6_4705
; %bb.4702:                             ;   in Loop: Header=BB6_4548 Depth=2
	v_and_b32_e32 v3, 0x7f, v12
	v_cmp_ne_u32_e32 vcc, s69, v3
	v_mov_b32_e32 v2, 0x7f800001
	s_and_saveexec_b64 s[58:59], vcc
	s_cbranch_execz .LBB6_4704
; %bb.4703:                             ;   in Loop: Header=BB6_4548 Depth=2
	v_and_b32_e32 v2, 7, v12
	v_ffbh_u32_e32 v2, v2
	v_min_u32_e32 v2, 32, v2
	v_lshrrev_b32_e32 v7, 3, v3
	v_subrev_u32_e32 v8, 28, v2
	v_sub_u32_e32 v2, 29, v2
	v_cmp_gt_u32_e32 vcc, 8, v3
	v_cndmask_b32_e32 v7, v7, v2, vcc
	v_cndmask_b32_e32 v2, 0, v8, vcc
	v_lshlrev_b64 v[2:3], v2, v[12:13]
	v_lshlrev_b32_e32 v2, 20, v2
	v_lshlrev_b32_e32 v3, 24, v12
	v_and_b32_e32 v2, 0x700000, v2
	v_and_b32_e32 v3, 0x80000000, v3
	v_lshl_add_u32 v7, v7, 23, v21
	v_or3_b32 v2, v3, v7, v2
.LBB6_4704:                             ;   in Loop: Header=BB6_4548 Depth=2
	s_or_b64 exec, exec, s[58:59]
.LBB6_4705:                             ;   in Loop: Header=BB6_4548 Depth=2
	s_or_b64 exec, exec, s[56:57]
.LBB6_4706:                             ;   in Loop: Header=BB6_4548 Depth=2
	s_or_b64 exec, exec, s[20:21]
	v_mul_f32_e32 v2, v9, v2
	v_and_b32_sdwa v7, v2, s71 dst_sel:DWORD dst_unused:UNUSED_PAD src0_sel:BYTE_3 src1_sel:DWORD
	v_and_b32_e32 v10, 0x7f800000, v2
	v_mov_b32_e32 v11, v37
	v_and_b32_e32 v36, 0x7fffff, v2
	v_or_b32_e32 v15, 0x7e, v7
	v_cmp_ne_u64_e32 vcc, s[38:39], v[10:11]
	s_and_saveexec_b64 s[20:21], vcc
	s_xor_b64 s[56:57], exec, s[20:21]
	s_cbranch_execz .LBB6_4716
; %bb.4707:                             ;   in Loop: Header=BB6_4548 Depth=2
	v_and_b32_e32 v10, 0x7fffffff, v2
	v_mov_b32_e32 v11, v37
	v_cmp_gt_u64_e32 vcc, s[40:41], v[10:11]
	s_and_saveexec_b64 s[58:59], vcc
	s_cbranch_execz .LBB6_4715
; %bb.4708:                             ;   in Loop: Header=BB6_4548 Depth=2
	v_cmp_ne_u32_e32 vcc, 0, v2
	v_mov_b32_e32 v15, 0
	s_and_saveexec_b64 s[60:61], vcc
	s_cbranch_execz .LBB6_4714
; %bb.4709:                             ;   in Loop: Header=BB6_4548 Depth=2
	v_bfe_u32 v2, v2, 23, 8
	v_sub_u32_e32 v8, 0x79, v2
	v_cmp_gt_u32_e32 vcc, s72, v2
	v_add_u32_e32 v3, 0xffffff81, v2
	v_cndmask_b32_e32 v8, 0, v8, vcc
	v_cmp_eq_u32_e32 vcc, 0, v2
	v_mov_b32_e32 v2, 0xffffff82
	v_cndmask_b32_e32 v11, v3, v2, vcc
	v_mov_b32_e32 v2, 0x78
	v_or_b32_e32 v10, 0x800000, v36
	v_cndmask_b32_e32 v8, v8, v2, vcc
	v_cndmask_b32_e32 v36, v10, v36, vcc
	v_add_u32_e32 v2, 20, v8
	v_lshlrev_b64 v[2:3], v2, -1
	v_add_u32_e32 v10, 19, v8
	v_lshrrev_b64 v[28:29], v8, v[36:37]
	v_not_b32_e32 v3, v3
	v_not_b32_e32 v2, v2
	v_lshlrev_b64 v[24:25], v10, 1
	v_lshrrev_b32_e32 v10, 23, v28
	v_and_b32_e32 v3, 0, v3
	v_and_b32_e32 v2, v36, v2
	v_add3_u32 v11, v8, v11, v10
	v_bfe_u32 v8, v28, 20, 1
	v_add_u32_e32 v8, -1, v8
	v_cmp_eq_u64_e32 vcc, v[2:3], v[24:25]
	v_cndmask_b32_e32 v2, 0, v8, vcc
	v_add_u32_e32 v2, v2, v28
	v_and_b32_e32 v2, 0xfffff, v2
	v_add_co_u32_e32 v2, vcc, v2, v28
	v_add_u32_e32 v10, 6, v11
	v_addc_co_u32_e32 v3, vcc, 0, v29, vcc
	v_cmp_ne_u32_e32 vcc, 0, v10
                                        ; implicit-def: $vgpr8
	s_and_saveexec_b64 s[20:21], vcc
	s_xor_b64 s[20:21], exec, s[20:21]
; %bb.4710:                             ;   in Loop: Header=BB6_4548 Depth=2
	v_add_u32_e32 v8, 7, v11
	v_cmp_lt_u64_e32 vcc, s[44:45], v[2:3]
	v_cndmask_b32_e32 v8, v10, v8, vcc
	v_cndmask_b32_e64 v10, 0, 1, vcc
	v_lshrrev_b64 v[2:3], v10, v[2:3]
; %bb.4711:                             ;   in Loop: Header=BB6_4548 Depth=2
	s_andn2_saveexec_b64 s[20:21], s[20:21]
; %bb.4712:                             ;   in Loop: Header=BB6_4548 Depth=2
	v_bfe_u32 v8, v2, 23, 1
; %bb.4713:                             ;   in Loop: Header=BB6_4548 Depth=2
	s_or_b64 exec, exec, s[20:21]
	v_lshrrev_b64 v[2:3], 20, v[2:3]
	v_cmp_gt_i32_e32 vcc, 16, v8
	v_cndmask_b32_e32 v3, 0, v3, vcc
	v_cndmask_b32_e32 v2, 7, v2, vcc
	v_cmp_eq_u64_e64 s[20:21], 0, v[2:3]
	v_min_i32_e32 v3, 15, v8
	v_cmp_eq_u32_e32 vcc, 0, v8
	v_lshlrev_b32_e32 v3, 3, v3
	v_and_or_b32 v2, v2, 7, v3
	s_and_b64 s[20:21], vcc, s[20:21]
	v_cndmask_b32_e64 v2, v2, 0, s[20:21]
	v_or_b32_e32 v15, v2, v7
.LBB6_4714:                             ;   in Loop: Header=BB6_4548 Depth=2
	s_or_b64 exec, exec, s[60:61]
.LBB6_4715:                             ;   in Loop: Header=BB6_4548 Depth=2
	s_or_b64 exec, exec, s[58:59]
                                        ; implicit-def: $vgpr2
.LBB6_4716:                             ;   in Loop: Header=BB6_4548 Depth=2
	s_andn2_saveexec_b64 s[20:21], s[56:57]
; %bb.4717:                             ;   in Loop: Header=BB6_4548 Depth=2
	v_or_b32_sdwa v2, v2, s69 dst_sel:DWORD dst_unused:UNUSED_PAD src0_sel:BYTE_3 src1_sel:DWORD
	v_cmp_eq_u64_e32 vcc, 0, v[36:37]
	v_cndmask_b32_e32 v15, v2, v15, vcc
; %bb.4718:                             ;   in Loop: Header=BB6_4548 Depth=2
	s_or_b64 exec, exec, s[20:21]
	v_lshrrev_b16_e32 v2, 8, v12
	v_cmp_ne_u16_e32 vcc, 0, v2
	v_mov_b32_e32 v3, 0
	s_and_saveexec_b64 s[20:21], vcc
	s_cbranch_execz .LBB6_4724
; %bb.4719:                             ;   in Loop: Header=BB6_4548 Depth=2
	v_cmp_ne_u16_e32 vcc, s71, v2
	v_bfrev_b32_e32 v3, 1
	s_and_saveexec_b64 s[56:57], vcc
	s_cbranch_execz .LBB6_4723
; %bb.4720:                             ;   in Loop: Header=BB6_4548 Depth=2
	v_and_b32_e32 v7, 0x7f, v2
	v_cmp_ne_u32_e32 vcc, s69, v7
	v_mov_b32_e32 v3, 0x7f800001
	s_and_saveexec_b64 s[58:59], vcc
	s_cbranch_execz .LBB6_4722
; %bb.4721:                             ;   in Loop: Header=BB6_4548 Depth=2
	v_and_b32_e32 v8, 7, v2
	v_ffbh_u32_e32 v3, v8
	v_min_u32_e32 v11, 32, v3
	v_subrev_u32_e32 v3, 28, v11
	v_lshlrev_b64 v[2:3], v3, v[2:3]
	v_lshrrev_b32_e32 v10, 3, v7
	v_sub_u32_e32 v3, 29, v11
	v_and_b32_e32 v2, 7, v2
	v_cmp_gt_u32_e32 vcc, 8, v7
	v_cndmask_b32_e32 v3, v10, v3, vcc
	v_cndmask_b32_e32 v2, v8, v2, vcc
	v_lshlrev_b32_e32 v7, 16, v12
	v_lshlrev_b32_e32 v2, 20, v2
	v_and_b32_e32 v7, 0x80000000, v7
	v_lshl_add_u32 v3, v3, 23, v21
	v_or3_b32 v3, v7, v3, v2
.LBB6_4722:                             ;   in Loop: Header=BB6_4548 Depth=2
	s_or_b64 exec, exec, s[58:59]
.LBB6_4723:                             ;   in Loop: Header=BB6_4548 Depth=2
	s_or_b64 exec, exec, s[56:57]
.LBB6_4724:                             ;   in Loop: Header=BB6_4548 Depth=2
	s_or_b64 exec, exec, s[20:21]
	v_mul_f32_e32 v2, v9, v3
	v_and_b32_sdwa v7, v2, s71 dst_sel:DWORD dst_unused:UNUSED_PAD src0_sel:BYTE_3 src1_sel:DWORD
	v_and_b32_e32 v10, 0x7f800000, v2
	v_mov_b32_e32 v11, v37
	v_and_b32_e32 v36, 0x7fffff, v2
	v_or_b32_e32 v25, 0x7e, v7
	v_cmp_ne_u64_e32 vcc, s[38:39], v[10:11]
	s_and_saveexec_b64 s[20:21], vcc
	s_xor_b64 s[56:57], exec, s[20:21]
	s_cbranch_execz .LBB6_4734
; %bb.4725:                             ;   in Loop: Header=BB6_4548 Depth=2
	v_and_b32_e32 v10, 0x7fffffff, v2
	v_mov_b32_e32 v11, v37
	v_cmp_gt_u64_e32 vcc, s[40:41], v[10:11]
	s_and_saveexec_b64 s[58:59], vcc
	s_cbranch_execz .LBB6_4733
; %bb.4726:                             ;   in Loop: Header=BB6_4548 Depth=2
	v_cmp_ne_u32_e32 vcc, 0, v2
	v_mov_b32_e32 v25, 0
	s_and_saveexec_b64 s[60:61], vcc
	s_cbranch_execz .LBB6_4732
; %bb.4727:                             ;   in Loop: Header=BB6_4548 Depth=2
	v_bfe_u32 v2, v2, 23, 8
	v_sub_u32_e32 v8, 0x79, v2
	v_cmp_gt_u32_e32 vcc, s72, v2
	v_add_u32_e32 v3, 0xffffff81, v2
	v_cndmask_b32_e32 v8, 0, v8, vcc
	v_cmp_eq_u32_e32 vcc, 0, v2
	v_mov_b32_e32 v2, 0xffffff82
	v_cndmask_b32_e32 v11, v3, v2, vcc
	v_mov_b32_e32 v2, 0x78
	v_or_b32_e32 v10, 0x800000, v36
	v_cndmask_b32_e32 v8, v8, v2, vcc
	v_cndmask_b32_e32 v36, v10, v36, vcc
	v_add_u32_e32 v2, 20, v8
	v_lshlrev_b64 v[2:3], v2, -1
	v_add_u32_e32 v10, 19, v8
	v_lshrrev_b64 v[28:29], v8, v[36:37]
	v_not_b32_e32 v3, v3
	v_not_b32_e32 v2, v2
	v_lshlrev_b64 v[24:25], v10, 1
	v_lshrrev_b32_e32 v10, 23, v28
	v_and_b32_e32 v3, 0, v3
	v_and_b32_e32 v2, v36, v2
	v_add3_u32 v11, v8, v11, v10
	v_bfe_u32 v8, v28, 20, 1
	v_add_u32_e32 v8, -1, v8
	v_cmp_eq_u64_e32 vcc, v[2:3], v[24:25]
	v_cndmask_b32_e32 v2, 0, v8, vcc
	v_add_u32_e32 v2, v2, v28
	v_and_b32_e32 v2, 0xfffff, v2
	v_add_co_u32_e32 v2, vcc, v2, v28
	v_add_u32_e32 v10, 6, v11
	v_addc_co_u32_e32 v3, vcc, 0, v29, vcc
	v_cmp_ne_u32_e32 vcc, 0, v10
                                        ; implicit-def: $vgpr8
	s_and_saveexec_b64 s[20:21], vcc
	s_xor_b64 s[20:21], exec, s[20:21]
; %bb.4728:                             ;   in Loop: Header=BB6_4548 Depth=2
	v_add_u32_e32 v8, 7, v11
	v_cmp_lt_u64_e32 vcc, s[44:45], v[2:3]
	v_cndmask_b32_e32 v8, v10, v8, vcc
	v_cndmask_b32_e64 v10, 0, 1, vcc
	v_lshrrev_b64 v[2:3], v10, v[2:3]
; %bb.4729:                             ;   in Loop: Header=BB6_4548 Depth=2
	s_andn2_saveexec_b64 s[20:21], s[20:21]
; %bb.4730:                             ;   in Loop: Header=BB6_4548 Depth=2
	v_bfe_u32 v8, v2, 23, 1
; %bb.4731:                             ;   in Loop: Header=BB6_4548 Depth=2
	s_or_b64 exec, exec, s[20:21]
	v_lshrrev_b64 v[2:3], 20, v[2:3]
	v_cmp_gt_i32_e32 vcc, 16, v8
	v_cndmask_b32_e32 v3, 0, v3, vcc
	v_cndmask_b32_e32 v2, 7, v2, vcc
	v_cmp_eq_u64_e64 s[20:21], 0, v[2:3]
	v_min_i32_e32 v3, 15, v8
	v_cmp_eq_u32_e32 vcc, 0, v8
	v_lshlrev_b32_e32 v3, 3, v3
	v_and_or_b32 v2, v2, 7, v3
	s_and_b64 s[20:21], vcc, s[20:21]
	v_cndmask_b32_e64 v2, v2, 0, s[20:21]
	v_or_b32_e32 v25, v2, v7
.LBB6_4732:                             ;   in Loop: Header=BB6_4548 Depth=2
	s_or_b64 exec, exec, s[60:61]
.LBB6_4733:                             ;   in Loop: Header=BB6_4548 Depth=2
	s_or_b64 exec, exec, s[58:59]
                                        ; implicit-def: $vgpr2
.LBB6_4734:                             ;   in Loop: Header=BB6_4548 Depth=2
	s_andn2_saveexec_b64 s[20:21], s[56:57]
; %bb.4735:                             ;   in Loop: Header=BB6_4548 Depth=2
	v_or_b32_sdwa v2, v2, s69 dst_sel:DWORD dst_unused:UNUSED_PAD src0_sel:BYTE_3 src1_sel:DWORD
	v_cmp_eq_u64_e32 vcc, 0, v[36:37]
	v_cndmask_b32_e32 v25, v2, v25, vcc
; %bb.4736:                             ;   in Loop: Header=BB6_4548 Depth=2
	s_or_b64 exec, exec, s[20:21]
	v_lshrrev_b32_e32 v2, 16, v12
	v_cmp_ne_u16_sdwa vcc, v2, v37 src0_sel:BYTE_0 src1_sel:DWORD
	v_mov_b32_e32 v3, 0
	s_and_saveexec_b64 s[20:21], vcc
	s_cbranch_execz .LBB6_4742
; %bb.4737:                             ;   in Loop: Header=BB6_4548 Depth=2
	v_cmp_ne_u16_sdwa vcc, v2, s71 src0_sel:BYTE_0 src1_sel:DWORD
	v_bfrev_b32_e32 v3, 1
	s_and_saveexec_b64 s[56:57], vcc
	s_cbranch_execz .LBB6_4741
; %bb.4738:                             ;   in Loop: Header=BB6_4548 Depth=2
	v_bfe_u32 v7, v12, 16, 7
	v_cmp_ne_u32_e32 vcc, s69, v7
	v_mov_b32_e32 v3, 0x7f800001
	s_and_saveexec_b64 s[58:59], vcc
	s_cbranch_execz .LBB6_4740
; %bb.4739:                             ;   in Loop: Header=BB6_4548 Depth=2
	v_and_b32_e32 v3, 7, v2
	v_ffbh_u32_e32 v10, v3
	v_min_u32_e32 v19, 32, v10
	v_subrev_u32_e32 v10, 28, v19
	v_lshlrev_b64 v[10:11], v10, v[2:3]
	v_lshrrev_b32_e32 v8, 3, v7
	v_sub_u32_e32 v11, 29, v19
	v_and_b32_e32 v10, 7, v10
	v_cmp_gt_u32_e32 vcc, 8, v7
	v_cndmask_b32_e32 v7, v8, v11, vcc
	v_cndmask_b32_e32 v3, v3, v10, vcc
	v_lshlrev_b32_e32 v2, 24, v2
	v_lshlrev_b32_e32 v3, 20, v3
	v_and_b32_e32 v2, 0x80000000, v2
	v_lshl_add_u32 v7, v7, 23, v21
	v_or3_b32 v3, v2, v7, v3
.LBB6_4740:                             ;   in Loop: Header=BB6_4548 Depth=2
	s_or_b64 exec, exec, s[58:59]
.LBB6_4741:                             ;   in Loop: Header=BB6_4548 Depth=2
	s_or_b64 exec, exec, s[56:57]
.LBB6_4742:                             ;   in Loop: Header=BB6_4548 Depth=2
	s_or_b64 exec, exec, s[20:21]
	v_mul_f32_e32 v3, v9, v3
	v_and_b32_sdwa v7, v3, s71 dst_sel:DWORD dst_unused:UNUSED_PAD src0_sel:BYTE_3 src1_sel:DWORD
	v_and_b32_e32 v10, 0x7f800000, v3
	v_mov_b32_e32 v11, v37
	v_and_b32_e32 v36, 0x7fffff, v3
	v_or_b32_e32 v2, 0x7e, v7
	v_cmp_ne_u64_e32 vcc, s[38:39], v[10:11]
	s_and_saveexec_b64 s[20:21], vcc
	s_xor_b64 s[56:57], exec, s[20:21]
	s_cbranch_execz .LBB6_4752
; %bb.4743:                             ;   in Loop: Header=BB6_4548 Depth=2
	v_and_b32_e32 v10, 0x7fffffff, v3
	v_mov_b32_e32 v11, v37
	v_cmp_gt_u64_e32 vcc, s[40:41], v[10:11]
	s_and_saveexec_b64 s[58:59], vcc
	s_cbranch_execz .LBB6_4751
; %bb.4744:                             ;   in Loop: Header=BB6_4548 Depth=2
	v_cmp_ne_u32_e32 vcc, 0, v3
	v_mov_b32_e32 v2, 0
	s_and_saveexec_b64 s[60:61], vcc
	s_cbranch_execz .LBB6_4750
; %bb.4745:                             ;   in Loop: Header=BB6_4548 Depth=2
	v_bfe_u32 v2, v3, 23, 8
	v_sub_u32_e32 v8, 0x79, v2
	v_cmp_gt_u32_e32 vcc, s72, v2
	v_add_u32_e32 v3, 0xffffff81, v2
	v_cndmask_b32_e32 v8, 0, v8, vcc
	v_cmp_eq_u32_e32 vcc, 0, v2
	v_mov_b32_e32 v2, 0xffffff82
	v_cndmask_b32_e32 v11, v3, v2, vcc
	v_mov_b32_e32 v2, 0x78
	v_or_b32_e32 v10, 0x800000, v36
	v_cndmask_b32_e32 v8, v8, v2, vcc
	v_cndmask_b32_e32 v36, v10, v36, vcc
	v_add_u32_e32 v2, 20, v8
	v_lshlrev_b64 v[2:3], v2, -1
	v_add_u32_e32 v10, 19, v8
	v_lshrrev_b64 v[34:35], v8, v[36:37]
	v_not_b32_e32 v3, v3
	v_not_b32_e32 v2, v2
	v_lshlrev_b64 v[28:29], v10, 1
	v_lshrrev_b32_e32 v10, 23, v34
	v_and_b32_e32 v3, 0, v3
	v_and_b32_e32 v2, v36, v2
	v_add3_u32 v11, v8, v11, v10
	v_bfe_u32 v8, v34, 20, 1
	v_add_u32_e32 v8, -1, v8
	v_cmp_eq_u64_e32 vcc, v[2:3], v[28:29]
	v_cndmask_b32_e32 v2, 0, v8, vcc
	v_add_u32_e32 v2, v2, v34
	v_and_b32_e32 v2, 0xfffff, v2
	v_add_co_u32_e32 v2, vcc, v2, v34
	v_add_u32_e32 v10, 6, v11
	v_addc_co_u32_e32 v3, vcc, 0, v35, vcc
	v_cmp_ne_u32_e32 vcc, 0, v10
                                        ; implicit-def: $vgpr8
	s_and_saveexec_b64 s[20:21], vcc
	s_xor_b64 s[20:21], exec, s[20:21]
; %bb.4746:                             ;   in Loop: Header=BB6_4548 Depth=2
	v_add_u32_e32 v8, 7, v11
	v_cmp_lt_u64_e32 vcc, s[44:45], v[2:3]
	v_cndmask_b32_e32 v8, v10, v8, vcc
	v_cndmask_b32_e64 v10, 0, 1, vcc
	v_lshrrev_b64 v[2:3], v10, v[2:3]
; %bb.4747:                             ;   in Loop: Header=BB6_4548 Depth=2
	s_andn2_saveexec_b64 s[20:21], s[20:21]
; %bb.4748:                             ;   in Loop: Header=BB6_4548 Depth=2
	v_bfe_u32 v8, v2, 23, 1
; %bb.4749:                             ;   in Loop: Header=BB6_4548 Depth=2
	s_or_b64 exec, exec, s[20:21]
	v_lshrrev_b64 v[2:3], 20, v[2:3]
	v_cmp_gt_i32_e32 vcc, 16, v8
	v_cndmask_b32_e32 v3, 0, v3, vcc
	v_cndmask_b32_e32 v2, 7, v2, vcc
	v_cmp_eq_u64_e64 s[20:21], 0, v[2:3]
	v_min_i32_e32 v3, 15, v8
	v_cmp_eq_u32_e32 vcc, 0, v8
	v_lshlrev_b32_e32 v3, 3, v3
	v_and_or_b32 v2, v2, 7, v3
	s_and_b64 s[20:21], vcc, s[20:21]
	v_cndmask_b32_e64 v2, v2, 0, s[20:21]
	v_or_b32_e32 v2, v2, v7
.LBB6_4750:                             ;   in Loop: Header=BB6_4548 Depth=2
	s_or_b64 exec, exec, s[60:61]
.LBB6_4751:                             ;   in Loop: Header=BB6_4548 Depth=2
	s_or_b64 exec, exec, s[58:59]
                                        ; implicit-def: $vgpr3
.LBB6_4752:                             ;   in Loop: Header=BB6_4548 Depth=2
	s_andn2_saveexec_b64 s[20:21], s[56:57]
; %bb.4753:                             ;   in Loop: Header=BB6_4548 Depth=2
	v_or_b32_sdwa v3, v3, s69 dst_sel:DWORD dst_unused:UNUSED_PAD src0_sel:BYTE_3 src1_sel:DWORD
	v_cmp_eq_u64_e32 vcc, 0, v[36:37]
	v_cndmask_b32_e32 v2, v3, v2, vcc
; %bb.4754:                             ;   in Loop: Header=BB6_4548 Depth=2
	s_or_b64 exec, exec, s[20:21]
	v_cmp_lt_u32_e32 vcc, s43, v12
	v_mov_b32_e32 v3, 0
	s_and_saveexec_b64 s[20:21], vcc
	s_cbranch_execz .LBB6_4760
; %bb.4755:                             ;   in Loop: Header=BB6_4548 Depth=2
	v_lshrrev_b32_e32 v10, 24, v12
	v_cmp_ne_u32_e32 vcc, s71, v10
	v_bfrev_b32_e32 v3, 1
	s_and_saveexec_b64 s[56:57], vcc
	s_cbranch_execz .LBB6_4759
; %bb.4756:                             ;   in Loop: Header=BB6_4548 Depth=2
	v_bfe_u32 v7, v12, 24, 7
	v_cmp_ne_u32_e32 vcc, s69, v7
	v_mov_b32_e32 v3, 0x7f800001
	s_and_saveexec_b64 s[58:59], vcc
	s_cbranch_execz .LBB6_4758
; %bb.4757:                             ;   in Loop: Header=BB6_4548 Depth=2
	v_and_b32_e32 v3, 7, v10
	v_ffbh_u32_e32 v11, v3
	v_min_u32_e32 v11, 32, v11
	v_subrev_u32_e32 v19, 28, v11
	v_lshlrev_b64 v[28:29], v19, v[10:11]
	v_lshrrev_b32_e32 v8, 3, v7
	v_sub_u32_e32 v11, 29, v11
	v_and_b32_e32 v19, 7, v28
	v_cmp_gt_u32_e32 vcc, 8, v7
	v_cndmask_b32_e32 v7, v8, v11, vcc
	v_cndmask_b32_e32 v3, v3, v19, vcc
	v_lshlrev_b32_e32 v8, 24, v10
	v_lshlrev_b32_e32 v3, 20, v3
	v_and_b32_e32 v8, 0x80000000, v8
	v_lshl_add_u32 v7, v7, 23, v21
	v_or3_b32 v3, v8, v7, v3
.LBB6_4758:                             ;   in Loop: Header=BB6_4548 Depth=2
	s_or_b64 exec, exec, s[58:59]
.LBB6_4759:                             ;   in Loop: Header=BB6_4548 Depth=2
	s_or_b64 exec, exec, s[56:57]
.LBB6_4760:                             ;   in Loop: Header=BB6_4548 Depth=2
	s_or_b64 exec, exec, s[20:21]
	v_mul_f32_e32 v7, v9, v3
	v_and_b32_sdwa v3, v7, s71 dst_sel:DWORD dst_unused:UNUSED_PAD src0_sel:BYTE_3 src1_sel:DWORD
	v_and_b32_e32 v10, 0x7f800000, v7
	v_mov_b32_e32 v11, v37
	v_and_b32_e32 v36, 0x7fffff, v7
	v_or_b32_e32 v8, 0x7e, v3
	v_cmp_ne_u64_e32 vcc, s[38:39], v[10:11]
	s_and_saveexec_b64 s[20:21], vcc
	s_xor_b64 s[56:57], exec, s[20:21]
	s_cbranch_execz .LBB6_4770
; %bb.4761:                             ;   in Loop: Header=BB6_4548 Depth=2
	v_and_b32_e32 v10, 0x7fffffff, v7
	v_mov_b32_e32 v11, v37
	v_cmp_gt_u64_e32 vcc, s[40:41], v[10:11]
	s_and_saveexec_b64 s[58:59], vcc
	s_cbranch_execz .LBB6_4769
; %bb.4762:                             ;   in Loop: Header=BB6_4548 Depth=2
	v_cmp_ne_u32_e32 vcc, 0, v7
	v_mov_b32_e32 v8, 0
	s_and_saveexec_b64 s[60:61], vcc
	s_cbranch_execz .LBB6_4768
; %bb.4763:                             ;   in Loop: Header=BB6_4548 Depth=2
	v_bfe_u32 v7, v7, 23, 8
	v_sub_u32_e32 v10, 0x79, v7
	v_cmp_gt_u32_e32 vcc, s72, v7
	v_add_u32_e32 v8, 0xffffff81, v7
	v_cndmask_b32_e32 v10, 0, v10, vcc
	v_cmp_eq_u32_e32 vcc, 0, v7
	v_mov_b32_e32 v7, 0xffffff82
	v_cndmask_b32_e32 v7, v8, v7, vcc
	v_mov_b32_e32 v8, 0x78
	v_or_b32_e32 v11, 0x800000, v36
	v_cndmask_b32_e32 v8, v10, v8, vcc
	v_cndmask_b32_e32 v36, v11, v36, vcc
	v_add_u32_e32 v10, 20, v8
	v_lshlrev_b64 v[10:11], v10, -1
	v_add_u32_e32 v19, 19, v8
	v_lshrrev_b64 v[34:35], v8, v[36:37]
	v_not_b32_e32 v11, v11
	v_not_b32_e32 v10, v10
	v_lshlrev_b64 v[28:29], v19, 1
	v_lshrrev_b32_e32 v19, 23, v34
	v_and_b32_e32 v11, 0, v11
	v_and_b32_e32 v10, v36, v10
	v_add3_u32 v19, v8, v7, v19
	v_bfe_u32 v7, v34, 20, 1
	v_add_u32_e32 v7, -1, v7
	v_cmp_eq_u64_e32 vcc, v[10:11], v[28:29]
	v_cndmask_b32_e32 v7, 0, v7, vcc
	v_add_u32_e32 v7, v7, v34
	v_and_b32_e32 v7, 0xfffff, v7
	v_add_co_u32_e32 v10, vcc, v7, v34
	v_add_u32_e32 v8, 6, v19
	v_addc_co_u32_e32 v11, vcc, 0, v35, vcc
	v_cmp_ne_u32_e32 vcc, 0, v8
                                        ; implicit-def: $vgpr7
	s_and_saveexec_b64 s[20:21], vcc
	s_xor_b64 s[20:21], exec, s[20:21]
; %bb.4764:                             ;   in Loop: Header=BB6_4548 Depth=2
	v_add_u32_e32 v7, 7, v19
	v_cmp_lt_u64_e32 vcc, s[44:45], v[10:11]
	v_cndmask_b32_e32 v7, v8, v7, vcc
	v_cndmask_b32_e64 v8, 0, 1, vcc
	v_lshrrev_b64 v[10:11], v8, v[10:11]
; %bb.4765:                             ;   in Loop: Header=BB6_4548 Depth=2
	s_andn2_saveexec_b64 s[20:21], s[20:21]
; %bb.4766:                             ;   in Loop: Header=BB6_4548 Depth=2
	v_bfe_u32 v7, v10, 23, 1
; %bb.4767:                             ;   in Loop: Header=BB6_4548 Depth=2
	s_or_b64 exec, exec, s[20:21]
	v_lshrrev_b64 v[10:11], 20, v[10:11]
	v_cmp_gt_i32_e32 vcc, 16, v7
	v_cndmask_b32_e32 v11, 0, v11, vcc
	v_cndmask_b32_e32 v10, 7, v10, vcc
	v_cmp_eq_u32_e32 vcc, 0, v7
	v_min_i32_e32 v7, 15, v7
	v_cmp_eq_u64_e64 s[20:21], 0, v[10:11]
	v_lshlrev_b32_e32 v7, 3, v7
	v_and_or_b32 v7, v10, 7, v7
	s_and_b64 s[20:21], vcc, s[20:21]
	v_cndmask_b32_e64 v7, v7, 0, s[20:21]
	v_or_b32_e32 v8, v7, v3
.LBB6_4768:                             ;   in Loop: Header=BB6_4548 Depth=2
	s_or_b64 exec, exec, s[60:61]
.LBB6_4769:                             ;   in Loop: Header=BB6_4548 Depth=2
	s_or_b64 exec, exec, s[58:59]
                                        ; implicit-def: $vgpr7
.LBB6_4770:                             ;   in Loop: Header=BB6_4548 Depth=2
	s_andn2_saveexec_b64 s[20:21], s[56:57]
; %bb.4771:                             ;   in Loop: Header=BB6_4548 Depth=2
	v_or_b32_sdwa v3, v7, s69 dst_sel:DWORD dst_unused:UNUSED_PAD src0_sel:BYTE_3 src1_sel:DWORD
	v_cmp_eq_u64_e32 vcc, 0, v[36:37]
	v_cndmask_b32_e32 v8, v3, v8, vcc
; %bb.4772:                             ;   in Loop: Header=BB6_4548 Depth=2
	s_or_b64 exec, exec, s[20:21]
	v_mov_b32_e32 v36, v13
	v_cmp_ne_u16_sdwa vcc, v13, v37 src0_sel:BYTE_0 src1_sel:DWORD
	v_mov_b32_e32 v3, 0
	s_and_saveexec_b64 s[20:21], vcc
	s_cbranch_execz .LBB6_4778
; %bb.4773:                             ;   in Loop: Header=BB6_4548 Depth=2
	v_cmp_ne_u16_sdwa vcc, v13, s71 src0_sel:BYTE_0 src1_sel:DWORD
	v_bfrev_b32_e32 v3, 1
	s_and_saveexec_b64 s[56:57], vcc
	s_cbranch_execz .LBB6_4777
; %bb.4774:                             ;   in Loop: Header=BB6_4548 Depth=2
	v_and_b32_e32 v7, 0x7f, v13
	v_cmp_ne_u32_e32 vcc, s69, v7
	v_mov_b32_e32 v3, 0x7f800001
	s_and_saveexec_b64 s[58:59], vcc
	s_cbranch_execz .LBB6_4776
; %bb.4775:                             ;   in Loop: Header=BB6_4548 Depth=2
	v_and_b32_e32 v3, 7, v13
	v_ffbh_u32_e32 v3, v3
	v_min_u32_e32 v3, 32, v3
	v_subrev_u32_e32 v11, 28, v3
	v_cmp_gt_u32_e32 vcc, 8, v7
	v_lshrrev_b32_e32 v10, 3, v7
	v_sub_u32_e32 v3, 29, v3
	v_cndmask_b32_e32 v7, 0, v11, vcc
	v_cndmask_b32_e32 v3, v10, v3, vcc
	v_lshlrev_b64 v[10:11], v7, v[36:37]
	v_lshlrev_b32_e32 v7, 20, v10
	v_lshlrev_b32_e32 v10, 24, v36
	v_and_b32_e32 v7, 0x700000, v7
	v_and_b32_e32 v10, 0x80000000, v10
	v_lshl_add_u32 v3, v3, 23, v21
	v_or3_b32 v3, v10, v3, v7
.LBB6_4776:                             ;   in Loop: Header=BB6_4548 Depth=2
	s_or_b64 exec, exec, s[58:59]
.LBB6_4777:                             ;   in Loop: Header=BB6_4548 Depth=2
	s_or_b64 exec, exec, s[56:57]
.LBB6_4778:                             ;   in Loop: Header=BB6_4548 Depth=2
	s_or_b64 exec, exec, s[20:21]
	v_mul_f32_e32 v19, v9, v3
	v_and_b32_sdwa v3, v19, s71 dst_sel:DWORD dst_unused:UNUSED_PAD src0_sel:BYTE_3 src1_sel:DWORD
	v_and_b32_e32 v28, 0x7f800000, v19
	v_mov_b32_e32 v29, v37
	v_and_b32_e32 v10, 0x7fffff, v19
	v_mov_b32_e32 v11, v37
	v_or_b32_e32 v7, 0x7e, v3
	v_cmp_ne_u64_e32 vcc, s[38:39], v[28:29]
	s_and_saveexec_b64 s[20:21], vcc
	s_xor_b64 s[56:57], exec, s[20:21]
	s_cbranch_execz .LBB6_4788
; %bb.4779:                             ;   in Loop: Header=BB6_4548 Depth=2
	v_and_b32_e32 v28, 0x7fffffff, v19
	v_mov_b32_e32 v29, v37
	v_cmp_gt_u64_e32 vcc, s[40:41], v[28:29]
	s_and_saveexec_b64 s[58:59], vcc
	s_cbranch_execz .LBB6_4787
; %bb.4780:                             ;   in Loop: Header=BB6_4548 Depth=2
	v_cmp_ne_u32_e32 vcc, 0, v19
	v_mov_b32_e32 v7, 0
	s_and_saveexec_b64 s[60:61], vcc
	s_cbranch_execz .LBB6_4786
; %bb.4781:                             ;   in Loop: Header=BB6_4548 Depth=2
	v_bfe_u32 v7, v19, 23, 8
	v_sub_u32_e32 v23, 0x79, v7
	v_cmp_gt_u32_e32 vcc, s72, v7
	v_add_u32_e32 v19, 0xffffff81, v7
	v_cndmask_b32_e32 v23, 0, v23, vcc
	v_cmp_eq_u32_e32 vcc, 0, v7
	v_mov_b32_e32 v7, 0xffffff82
	v_cndmask_b32_e32 v7, v19, v7, vcc
	v_mov_b32_e32 v19, 0x78
	v_cndmask_b32_e32 v19, v23, v19, vcc
	v_add_u32_e32 v23, 20, v19
	v_or_b32_e32 v24, 0x800000, v10
	v_lshlrev_b64 v[28:29], v23, -1
	v_cndmask_b32_e32 v10, v24, v10, vcc
	v_not_b32_e32 v23, v29
	v_not_b32_e32 v24, v28
	v_and_b32_e32 v29, 0, v23
	v_and_b32_e32 v28, v10, v24
	v_add_u32_e32 v23, 19, v19
	v_lshrrev_b64 v[10:11], v19, v[10:11]
	v_lshlrev_b64 v[34:35], v23, 1
	v_lshrrev_b32_e32 v23, 23, v10
	v_add3_u32 v23, v19, v7, v23
	v_bfe_u32 v7, v10, 20, 1
	v_add_u32_e32 v7, -1, v7
	v_cmp_eq_u64_e32 vcc, v[28:29], v[34:35]
	v_cndmask_b32_e32 v7, 0, v7, vcc
	v_add_u32_e32 v7, v7, v10
	v_and_b32_e32 v7, 0xfffff, v7
	v_add_co_u32_e32 v10, vcc, v7, v10
	v_add_u32_e32 v19, 6, v23
	v_addc_co_u32_e32 v11, vcc, 0, v11, vcc
	v_cmp_ne_u32_e32 vcc, 0, v19
                                        ; implicit-def: $vgpr7
	s_and_saveexec_b64 s[20:21], vcc
	s_xor_b64 s[20:21], exec, s[20:21]
; %bb.4782:                             ;   in Loop: Header=BB6_4548 Depth=2
	v_add_u32_e32 v7, 7, v23
	v_cmp_lt_u64_e32 vcc, s[44:45], v[10:11]
	v_cndmask_b32_e32 v7, v19, v7, vcc
	v_cndmask_b32_e64 v19, 0, 1, vcc
	v_lshrrev_b64 v[10:11], v19, v[10:11]
; %bb.4783:                             ;   in Loop: Header=BB6_4548 Depth=2
	s_andn2_saveexec_b64 s[20:21], s[20:21]
; %bb.4784:                             ;   in Loop: Header=BB6_4548 Depth=2
	v_bfe_u32 v7, v10, 23, 1
; %bb.4785:                             ;   in Loop: Header=BB6_4548 Depth=2
	s_or_b64 exec, exec, s[20:21]
	v_lshrrev_b64 v[10:11], 20, v[10:11]
	v_cmp_gt_i32_e32 vcc, 16, v7
	v_cndmask_b32_e32 v11, 0, v11, vcc
	v_cndmask_b32_e32 v10, 7, v10, vcc
	v_cmp_eq_u32_e32 vcc, 0, v7
	v_min_i32_e32 v7, 15, v7
	v_cmp_eq_u64_e64 s[20:21], 0, v[10:11]
	v_lshlrev_b32_e32 v7, 3, v7
	v_and_or_b32 v7, v10, 7, v7
	s_and_b64 s[20:21], vcc, s[20:21]
	v_cndmask_b32_e64 v7, v7, 0, s[20:21]
	v_or_b32_e32 v7, v7, v3
.LBB6_4786:                             ;   in Loop: Header=BB6_4548 Depth=2
	s_or_b64 exec, exec, s[60:61]
.LBB6_4787:                             ;   in Loop: Header=BB6_4548 Depth=2
	s_or_b64 exec, exec, s[58:59]
                                        ; implicit-def: $vgpr19
                                        ; implicit-def: $vgpr10_vgpr11
.LBB6_4788:                             ;   in Loop: Header=BB6_4548 Depth=2
	s_andn2_saveexec_b64 s[20:21], s[56:57]
; %bb.4789:                             ;   in Loop: Header=BB6_4548 Depth=2
	v_or_b32_sdwa v3, v19, s69 dst_sel:DWORD dst_unused:UNUSED_PAD src0_sel:BYTE_3 src1_sel:DWORD
	v_cmp_eq_u64_e32 vcc, 0, v[10:11]
	v_cndmask_b32_e32 v7, v3, v7, vcc
; %bb.4790:                             ;   in Loop: Header=BB6_4548 Depth=2
	s_or_b64 exec, exec, s[20:21]
	v_lshrrev_b16_e32 v10, 8, v36
	v_cmp_ne_u16_e32 vcc, 0, v10
	v_mov_b32_e32 v3, 0
	s_and_saveexec_b64 s[20:21], vcc
	s_cbranch_execz .LBB6_4796
; %bb.4791:                             ;   in Loop: Header=BB6_4548 Depth=2
	v_cmp_ne_u16_e32 vcc, s71, v10
	v_bfrev_b32_e32 v3, 1
	s_and_saveexec_b64 s[56:57], vcc
	s_cbranch_execz .LBB6_4795
; %bb.4792:                             ;   in Loop: Header=BB6_4548 Depth=2
	v_and_b32_e32 v11, 0x7f, v10
	v_cmp_ne_u32_e32 vcc, s69, v11
	v_mov_b32_e32 v3, 0x7f800001
	s_and_saveexec_b64 s[58:59], vcc
	s_cbranch_execz .LBB6_4794
; %bb.4793:                             ;   in Loop: Header=BB6_4548 Depth=2
	v_and_b32_e32 v3, 7, v10
	v_ffbh_u32_e32 v23, v3
	v_min_u32_e32 v23, 32, v23
	v_subrev_u32_e32 v24, 28, v23
	v_lshlrev_b64 v[28:29], v24, v[10:11]
	v_lshrrev_b32_e32 v19, 3, v11
	v_sub_u32_e32 v10, 29, v23
	v_and_b32_e32 v23, 7, v28
	v_cmp_gt_u32_e32 vcc, 8, v11
	v_cndmask_b32_e32 v10, v19, v10, vcc
	v_cndmask_b32_e32 v3, v3, v23, vcc
	v_lshlrev_b32_e32 v11, 16, v36
	v_lshlrev_b32_e32 v3, 20, v3
	v_and_b32_e32 v11, 0x80000000, v11
	v_lshl_add_u32 v10, v10, 23, v21
	v_or3_b32 v3, v11, v10, v3
.LBB6_4794:                             ;   in Loop: Header=BB6_4548 Depth=2
	s_or_b64 exec, exec, s[58:59]
.LBB6_4795:                             ;   in Loop: Header=BB6_4548 Depth=2
	s_or_b64 exec, exec, s[56:57]
.LBB6_4796:                             ;   in Loop: Header=BB6_4548 Depth=2
	s_or_b64 exec, exec, s[20:21]
	v_mul_f32_e32 v10, v9, v3
	v_and_b32_sdwa v3, v10, s71 dst_sel:DWORD dst_unused:UNUSED_PAD src0_sel:BYTE_3 src1_sel:DWORD
	v_and_b32_e32 v28, 0x7f800000, v10
	v_mov_b32_e32 v29, v37
	v_and_b32_e32 v36, 0x7fffff, v10
	v_or_b32_e32 v19, 0x7e, v3
	v_cmp_ne_u64_e32 vcc, s[38:39], v[28:29]
	s_and_saveexec_b64 s[20:21], vcc
	s_xor_b64 s[56:57], exec, s[20:21]
	s_cbranch_execz .LBB6_4806
; %bb.4797:                             ;   in Loop: Header=BB6_4548 Depth=2
	v_and_b32_e32 v28, 0x7fffffff, v10
	v_mov_b32_e32 v29, v37
	v_cmp_gt_u64_e32 vcc, s[40:41], v[28:29]
	s_and_saveexec_b64 s[58:59], vcc
	s_cbranch_execz .LBB6_4805
; %bb.4798:                             ;   in Loop: Header=BB6_4548 Depth=2
	v_cmp_ne_u32_e32 vcc, 0, v10
	v_mov_b32_e32 v19, 0
	s_and_saveexec_b64 s[60:61], vcc
	s_cbranch_execz .LBB6_4804
; %bb.4799:                             ;   in Loop: Header=BB6_4548 Depth=2
	v_bfe_u32 v10, v10, 23, 8
	v_sub_u32_e32 v19, 0x79, v10
	v_cmp_gt_u32_e32 vcc, s72, v10
	v_add_u32_e32 v11, 0xffffff81, v10
	v_cndmask_b32_e32 v19, 0, v19, vcc
	v_cmp_eq_u32_e32 vcc, 0, v10
	v_mov_b32_e32 v10, 0xffffff82
	v_cndmask_b32_e32 v24, v11, v10, vcc
	v_mov_b32_e32 v10, 0x78
	v_or_b32_e32 v23, 0x800000, v36
	v_cndmask_b32_e32 v19, v19, v10, vcc
	v_cndmask_b32_e32 v36, v23, v36, vcc
	v_add_u32_e32 v10, 20, v19
	v_lshlrev_b64 v[10:11], v10, -1
	v_add_u32_e32 v23, 19, v19
	v_lshrrev_b64 v[34:35], v19, v[36:37]
	v_not_b32_e32 v11, v11
	v_not_b32_e32 v10, v10
	v_lshlrev_b64 v[28:29], v23, 1
	v_lshrrev_b32_e32 v23, 23, v34
	v_and_b32_e32 v11, 0, v11
	v_and_b32_e32 v10, v36, v10
	v_add3_u32 v24, v19, v24, v23
	v_bfe_u32 v19, v34, 20, 1
	v_add_u32_e32 v19, -1, v19
	v_cmp_eq_u64_e32 vcc, v[10:11], v[28:29]
	v_cndmask_b32_e32 v10, 0, v19, vcc
	v_add_u32_e32 v10, v10, v34
	v_and_b32_e32 v10, 0xfffff, v10
	v_add_co_u32_e32 v10, vcc, v10, v34
	v_add_u32_e32 v23, 6, v24
	v_addc_co_u32_e32 v11, vcc, 0, v35, vcc
	v_cmp_ne_u32_e32 vcc, 0, v23
                                        ; implicit-def: $vgpr19
	s_and_saveexec_b64 s[20:21], vcc
	s_xor_b64 s[20:21], exec, s[20:21]
; %bb.4800:                             ;   in Loop: Header=BB6_4548 Depth=2
	v_add_u32_e32 v19, 7, v24
	v_cmp_lt_u64_e32 vcc, s[44:45], v[10:11]
	v_cndmask_b32_e32 v19, v23, v19, vcc
	v_cndmask_b32_e64 v23, 0, 1, vcc
	v_lshrrev_b64 v[10:11], v23, v[10:11]
; %bb.4801:                             ;   in Loop: Header=BB6_4548 Depth=2
	s_andn2_saveexec_b64 s[20:21], s[20:21]
; %bb.4802:                             ;   in Loop: Header=BB6_4548 Depth=2
	v_bfe_u32 v19, v10, 23, 1
; %bb.4803:                             ;   in Loop: Header=BB6_4548 Depth=2
	s_or_b64 exec, exec, s[20:21]
	v_lshrrev_b64 v[10:11], 20, v[10:11]
	v_cmp_gt_i32_e32 vcc, 16, v19
	v_cndmask_b32_e32 v11, 0, v11, vcc
	v_cndmask_b32_e32 v10, 7, v10, vcc
	v_cmp_eq_u64_e64 s[20:21], 0, v[10:11]
	v_min_i32_e32 v11, 15, v19
	v_lshlrev_b32_e32 v11, 3, v11
	v_cmp_eq_u32_e32 vcc, 0, v19
	v_and_b32_e32 v11, 0xf8, v11
	v_and_or_b32 v10, v10, 7, v11
	s_and_b64 s[20:21], vcc, s[20:21]
	v_cndmask_b32_e64 v10, v10, 0, s[20:21]
	v_or_b32_e32 v19, v10, v3
.LBB6_4804:                             ;   in Loop: Header=BB6_4548 Depth=2
	s_or_b64 exec, exec, s[60:61]
.LBB6_4805:                             ;   in Loop: Header=BB6_4548 Depth=2
	s_or_b64 exec, exec, s[58:59]
                                        ; implicit-def: $vgpr10
.LBB6_4806:                             ;   in Loop: Header=BB6_4548 Depth=2
	s_andn2_saveexec_b64 s[20:21], s[56:57]
; %bb.4807:                             ;   in Loop: Header=BB6_4548 Depth=2
	v_or_b32_sdwa v3, v10, s69 dst_sel:DWORD dst_unused:UNUSED_PAD src0_sel:BYTE_3 src1_sel:DWORD
	v_cmp_eq_u64_e32 vcc, 0, v[36:37]
	v_cndmask_b32_e32 v19, v3, v19, vcc
; %bb.4808:                             ;   in Loop: Header=BB6_4548 Depth=2
	s_or_b64 exec, exec, s[20:21]
	v_lshrrev_b32_e32 v10, 16, v13
	v_cmp_ne_u16_sdwa vcc, v10, v37 src0_sel:BYTE_0 src1_sel:DWORD
	v_mov_b32_e32 v3, 0
	s_and_saveexec_b64 s[20:21], vcc
	s_cbranch_execz .LBB6_4814
; %bb.4809:                             ;   in Loop: Header=BB6_4548 Depth=2
	v_cmp_ne_u16_sdwa vcc, v10, s71 src0_sel:BYTE_0 src1_sel:DWORD
	v_bfrev_b32_e32 v3, 1
	s_and_saveexec_b64 s[56:57], vcc
	s_cbranch_execz .LBB6_4813
; %bb.4810:                             ;   in Loop: Header=BB6_4548 Depth=2
	v_bfe_u32 v11, v13, 16, 7
	v_cmp_ne_u32_e32 vcc, s69, v11
	v_mov_b32_e32 v3, 0x7f800001
	s_and_saveexec_b64 s[58:59], vcc
	s_cbranch_execz .LBB6_4812
; %bb.4811:                             ;   in Loop: Header=BB6_4548 Depth=2
	v_and_b32_e32 v3, 7, v10
	v_ffbh_u32_e32 v24, v3
	v_min_u32_e32 v24, 32, v24
	v_subrev_u32_e32 v27, 28, v24
	v_lshlrev_b64 v[28:29], v27, v[10:11]
	v_lshrrev_b32_e32 v23, 3, v11
	v_sub_u32_e32 v24, 29, v24
	v_and_b32_e32 v27, 7, v28
	v_cmp_gt_u32_e32 vcc, 8, v11
	v_cndmask_b32_e32 v11, v23, v24, vcc
	v_cndmask_b32_e32 v3, v3, v27, vcc
	v_lshlrev_b32_e32 v10, 24, v10
	v_lshlrev_b32_e32 v3, 20, v3
	v_and_b32_e32 v10, 0x80000000, v10
	v_lshl_add_u32 v11, v11, 23, v21
	v_or3_b32 v3, v10, v11, v3
.LBB6_4812:                             ;   in Loop: Header=BB6_4548 Depth=2
	s_or_b64 exec, exec, s[58:59]
.LBB6_4813:                             ;   in Loop: Header=BB6_4548 Depth=2
	s_or_b64 exec, exec, s[56:57]
.LBB6_4814:                             ;   in Loop: Header=BB6_4548 Depth=2
	s_or_b64 exec, exec, s[20:21]
	v_mul_f32_e32 v10, v9, v3
	v_and_b32_sdwa v3, v10, s71 dst_sel:DWORD dst_unused:UNUSED_PAD src0_sel:BYTE_3 src1_sel:DWORD
	v_and_b32_e32 v28, 0x7f800000, v10
	v_mov_b32_e32 v29, v37
	v_and_b32_e32 v36, 0x7fffff, v10
	v_or_b32_e32 v23, 0x7e, v3
	v_cmp_ne_u64_e32 vcc, s[38:39], v[28:29]
	s_and_saveexec_b64 s[20:21], vcc
	s_xor_b64 s[56:57], exec, s[20:21]
	s_cbranch_execz .LBB6_4824
; %bb.4815:                             ;   in Loop: Header=BB6_4548 Depth=2
	v_and_b32_e32 v28, 0x7fffffff, v10
	v_mov_b32_e32 v29, v37
	v_cmp_gt_u64_e32 vcc, s[40:41], v[28:29]
	s_and_saveexec_b64 s[58:59], vcc
	s_cbranch_execz .LBB6_4823
; %bb.4816:                             ;   in Loop: Header=BB6_4548 Depth=2
	v_cmp_ne_u32_e32 vcc, 0, v10
	v_mov_b32_e32 v23, 0
	s_and_saveexec_b64 s[60:61], vcc
	s_cbranch_execz .LBB6_4822
; %bb.4817:                             ;   in Loop: Header=BB6_4548 Depth=2
	v_bfe_u32 v10, v10, 23, 8
	v_sub_u32_e32 v23, 0x79, v10
	v_cmp_gt_u32_e32 vcc, s72, v10
	v_add_u32_e32 v11, 0xffffff81, v10
	v_cndmask_b32_e32 v23, 0, v23, vcc
	v_cmp_eq_u32_e32 vcc, 0, v10
	v_mov_b32_e32 v10, 0xffffff82
	v_cndmask_b32_e32 v27, v11, v10, vcc
	v_mov_b32_e32 v10, 0x78
	v_or_b32_e32 v24, 0x800000, v36
	v_cndmask_b32_e32 v23, v23, v10, vcc
	v_cndmask_b32_e32 v36, v24, v36, vcc
	v_add_u32_e32 v10, 20, v23
	v_lshlrev_b64 v[10:11], v10, -1
	v_add_u32_e32 v24, 19, v23
	v_lshrrev_b64 v[34:35], v23, v[36:37]
	v_not_b32_e32 v11, v11
	v_not_b32_e32 v10, v10
	v_lshlrev_b64 v[28:29], v24, 1
	v_lshrrev_b32_e32 v24, 23, v34
	v_and_b32_e32 v11, 0, v11
	v_and_b32_e32 v10, v36, v10
	v_add3_u32 v27, v23, v27, v24
	v_bfe_u32 v23, v34, 20, 1
	v_add_u32_e32 v23, -1, v23
	v_cmp_eq_u64_e32 vcc, v[10:11], v[28:29]
	v_cndmask_b32_e32 v10, 0, v23, vcc
	v_add_u32_e32 v10, v10, v34
	v_and_b32_e32 v10, 0xfffff, v10
	v_add_co_u32_e32 v10, vcc, v10, v34
	v_add_u32_e32 v24, 6, v27
	v_addc_co_u32_e32 v11, vcc, 0, v35, vcc
	v_cmp_ne_u32_e32 vcc, 0, v24
                                        ; implicit-def: $vgpr23
	s_and_saveexec_b64 s[20:21], vcc
	s_xor_b64 s[20:21], exec, s[20:21]
; %bb.4818:                             ;   in Loop: Header=BB6_4548 Depth=2
	v_add_u32_e32 v23, 7, v27
	v_cmp_lt_u64_e32 vcc, s[44:45], v[10:11]
	v_cndmask_b32_e32 v23, v24, v23, vcc
	v_cndmask_b32_e64 v24, 0, 1, vcc
	v_lshrrev_b64 v[10:11], v24, v[10:11]
; %bb.4819:                             ;   in Loop: Header=BB6_4548 Depth=2
	s_andn2_saveexec_b64 s[20:21], s[20:21]
; %bb.4820:                             ;   in Loop: Header=BB6_4548 Depth=2
	v_bfe_u32 v23, v10, 23, 1
; %bb.4821:                             ;   in Loop: Header=BB6_4548 Depth=2
	s_or_b64 exec, exec, s[20:21]
	v_lshrrev_b64 v[10:11], 20, v[10:11]
	v_cmp_gt_i32_e32 vcc, 16, v23
	v_cndmask_b32_e32 v11, 0, v11, vcc
	v_cndmask_b32_e32 v10, 7, v10, vcc
	v_cmp_eq_u64_e64 s[20:21], 0, v[10:11]
	v_min_i32_e32 v11, 15, v23
	v_lshlrev_b32_e32 v11, 3, v11
	v_cmp_eq_u32_e32 vcc, 0, v23
	v_and_b32_e32 v11, 0xf8, v11
	v_and_or_b32 v10, v10, 7, v11
	s_and_b64 s[20:21], vcc, s[20:21]
	v_cndmask_b32_e64 v10, v10, 0, s[20:21]
	v_or_b32_e32 v23, v10, v3
.LBB6_4822:                             ;   in Loop: Header=BB6_4548 Depth=2
	s_or_b64 exec, exec, s[60:61]
.LBB6_4823:                             ;   in Loop: Header=BB6_4548 Depth=2
	s_or_b64 exec, exec, s[58:59]
                                        ; implicit-def: $vgpr10
.LBB6_4824:                             ;   in Loop: Header=BB6_4548 Depth=2
	s_andn2_saveexec_b64 s[20:21], s[56:57]
; %bb.4825:                             ;   in Loop: Header=BB6_4548 Depth=2
	v_or_b32_sdwa v3, v10, s69 dst_sel:DWORD dst_unused:UNUSED_PAD src0_sel:BYTE_3 src1_sel:DWORD
	v_cmp_eq_u64_e32 vcc, 0, v[36:37]
	v_cndmask_b32_e32 v23, v3, v23, vcc
; %bb.4826:                             ;   in Loop: Header=BB6_4548 Depth=2
	s_or_b64 exec, exec, s[20:21]
	v_cmp_lt_u64_e32 vcc, s[42:43], v[12:13]
	v_mov_b32_e32 v3, 0
	s_and_saveexec_b64 s[20:21], vcc
	s_cbranch_execz .LBB6_4832
; %bb.4827:                             ;   in Loop: Header=BB6_4548 Depth=2
	v_lshrrev_b32_e32 v10, 24, v13
	v_cmp_ne_u32_e32 vcc, s71, v10
	v_bfrev_b32_e32 v3, 1
	s_and_saveexec_b64 s[56:57], vcc
	s_cbranch_execz .LBB6_4831
; %bb.4828:                             ;   in Loop: Header=BB6_4548 Depth=2
	v_bfe_u32 v11, v13, 24, 7
	v_cmp_ne_u32_e32 vcc, s69, v11
	v_mov_b32_e32 v3, 0x7f800001
	s_and_saveexec_b64 s[58:59], vcc
	s_cbranch_execz .LBB6_4830
; %bb.4829:                             ;   in Loop: Header=BB6_4548 Depth=2
	v_and_b32_e32 v3, 7, v10
	v_ffbh_u32_e32 v12, v3
	v_min_u32_e32 v27, 32, v12
	v_subrev_u32_e32 v12, 28, v27
	v_lshlrev_b64 v[12:13], v12, v[10:11]
	v_lshrrev_b32_e32 v24, 3, v11
	v_sub_u32_e32 v13, 29, v27
	v_and_b32_e32 v12, 7, v12
	v_cmp_gt_u32_e32 vcc, 8, v11
	v_cndmask_b32_e32 v11, v24, v13, vcc
	v_cndmask_b32_e32 v3, v3, v12, vcc
	v_lshlrev_b32_e32 v10, 24, v10
	v_lshlrev_b32_e32 v3, 20, v3
	v_and_b32_e32 v10, 0x80000000, v10
	v_lshl_add_u32 v11, v11, 23, v21
	v_or3_b32 v3, v10, v11, v3
.LBB6_4830:                             ;   in Loop: Header=BB6_4548 Depth=2
	s_or_b64 exec, exec, s[58:59]
.LBB6_4831:                             ;   in Loop: Header=BB6_4548 Depth=2
	s_or_b64 exec, exec, s[56:57]
.LBB6_4832:                             ;   in Loop: Header=BB6_4548 Depth=2
	s_or_b64 exec, exec, s[20:21]
	v_mul_f32_e32 v9, v9, v3
	v_and_b32_sdwa v3, v9, s71 dst_sel:DWORD dst_unused:UNUSED_PAD src0_sel:BYTE_3 src1_sel:DWORD
	v_and_b32_e32 v10, 0x7f800000, v9
	v_mov_b32_e32 v11, v37
	v_and_b32_e32 v36, 0x7fffff, v9
	v_or_b32_e32 v27, 0x7e, v3
	v_cmp_ne_u64_e32 vcc, s[38:39], v[10:11]
	s_and_saveexec_b64 s[20:21], vcc
	s_xor_b64 s[56:57], exec, s[20:21]
	s_cbranch_execz .LBB6_4842
; %bb.4833:                             ;   in Loop: Header=BB6_4548 Depth=2
	v_and_b32_e32 v10, 0x7fffffff, v9
	v_mov_b32_e32 v11, v37
	v_cmp_gt_u64_e32 vcc, s[40:41], v[10:11]
	s_and_saveexec_b64 s[58:59], vcc
	s_cbranch_execz .LBB6_4841
; %bb.4834:                             ;   in Loop: Header=BB6_4548 Depth=2
	v_cmp_ne_u32_e32 vcc, 0, v9
	v_mov_b32_e32 v27, 0
	s_and_saveexec_b64 s[60:61], vcc
	s_cbranch_execz .LBB6_4840
; %bb.4835:                             ;   in Loop: Header=BB6_4548 Depth=2
	v_bfe_u32 v9, v9, 23, 8
	v_sub_u32_e32 v11, 0x79, v9
	v_cmp_gt_u32_e32 vcc, s72, v9
	v_add_u32_e32 v10, 0xffffff81, v9
	v_cndmask_b32_e32 v11, 0, v11, vcc
	v_cmp_eq_u32_e32 vcc, 0, v9
	v_mov_b32_e32 v9, 0xffffff82
	v_cndmask_b32_e32 v9, v10, v9, vcc
	v_mov_b32_e32 v10, 0x78
	v_or_b32_e32 v12, 0x800000, v36
	v_cndmask_b32_e32 v13, v11, v10, vcc
	v_cndmask_b32_e32 v36, v12, v36, vcc
	v_add_u32_e32 v10, 20, v13
	v_lshlrev_b64 v[10:11], v10, -1
	v_add_u32_e32 v12, 19, v13
	v_lshrrev_b64 v[34:35], v13, v[36:37]
	v_not_b32_e32 v11, v11
	v_not_b32_e32 v10, v10
	v_lshlrev_b64 v[28:29], v12, 1
	v_lshrrev_b32_e32 v12, 23, v34
	v_and_b32_e32 v11, 0, v11
	v_and_b32_e32 v10, v36, v10
	v_add3_u32 v13, v13, v9, v12
	v_bfe_u32 v9, v34, 20, 1
	v_add_u32_e32 v9, -1, v9
	v_cmp_eq_u64_e32 vcc, v[10:11], v[28:29]
	v_cndmask_b32_e32 v9, 0, v9, vcc
	v_add_u32_e32 v9, v9, v34
	v_and_b32_e32 v9, 0xfffff, v9
	v_add_co_u32_e32 v10, vcc, v9, v34
	v_add_u32_e32 v12, 6, v13
	v_addc_co_u32_e32 v11, vcc, 0, v35, vcc
	v_cmp_ne_u32_e32 vcc, 0, v12
                                        ; implicit-def: $vgpr9
	s_and_saveexec_b64 s[20:21], vcc
	s_xor_b64 s[20:21], exec, s[20:21]
; %bb.4836:                             ;   in Loop: Header=BB6_4548 Depth=2
	v_add_u32_e32 v9, 7, v13
	v_cmp_lt_u64_e32 vcc, s[44:45], v[10:11]
	v_cndmask_b32_e32 v9, v12, v9, vcc
	v_cndmask_b32_e64 v12, 0, 1, vcc
	v_lshrrev_b64 v[10:11], v12, v[10:11]
; %bb.4837:                             ;   in Loop: Header=BB6_4548 Depth=2
	s_andn2_saveexec_b64 s[20:21], s[20:21]
; %bb.4838:                             ;   in Loop: Header=BB6_4548 Depth=2
	v_bfe_u32 v9, v10, 23, 1
; %bb.4839:                             ;   in Loop: Header=BB6_4548 Depth=2
	s_or_b64 exec, exec, s[20:21]
	v_lshrrev_b64 v[10:11], 20, v[10:11]
	v_cmp_gt_i32_e32 vcc, 16, v9
	v_cndmask_b32_e32 v11, 0, v11, vcc
	v_cndmask_b32_e32 v10, 7, v10, vcc
	v_cmp_eq_u32_e32 vcc, 0, v9
	v_min_i32_e32 v9, 15, v9
	v_lshlrev_b32_e32 v9, 3, v9
	v_cmp_eq_u64_e64 s[20:21], 0, v[10:11]
	v_and_b32_e32 v9, 0xf8, v9
	v_and_or_b32 v9, v10, 7, v9
	s_and_b64 s[20:21], vcc, s[20:21]
	v_cndmask_b32_e64 v9, v9, 0, s[20:21]
	v_or_b32_e32 v27, v9, v3
.LBB6_4840:                             ;   in Loop: Header=BB6_4548 Depth=2
	s_or_b64 exec, exec, s[60:61]
.LBB6_4841:                             ;   in Loop: Header=BB6_4548 Depth=2
	s_or_b64 exec, exec, s[58:59]
                                        ; implicit-def: $vgpr9
.LBB6_4842:                             ;   in Loop: Header=BB6_4548 Depth=2
	s_andn2_saveexec_b64 s[20:21], s[56:57]
; %bb.4843:                             ;   in Loop: Header=BB6_4548 Depth=2
	v_or_b32_sdwa v3, v9, s69 dst_sel:DWORD dst_unused:UNUSED_PAD src0_sel:BYTE_3 src1_sel:DWORD
	v_cmp_eq_u64_e32 vcc, 0, v[36:37]
	v_cndmask_b32_e32 v27, v3, v27, vcc
; %bb.4844:                             ;   in Loop: Header=BB6_4548 Depth=2
	s_or_b64 exec, exec, s[20:21]
	global_load_dwordx4 v[10:13], v[54:55], off glc slc
	v_lshlrev_b32_e32 v3, 8, v20
	v_cmp_ne_u16_sdwa vcc, v6, v37 src0_sel:BYTE_0 src1_sel:DWORD
	v_mov_b32_e32 v9, 0
	v_mov_b32_e32 v20, 0
	s_and_saveexec_b64 s[20:21], vcc
	s_cbranch_execz .LBB6_4850
; %bb.4845:                             ;   in Loop: Header=BB6_4548 Depth=2
	v_cmp_ne_u16_sdwa vcc, v6, s71 src0_sel:BYTE_0 src1_sel:DWORD
	v_bfrev_b32_e32 v20, 1
	s_and_saveexec_b64 s[56:57], vcc
	s_cbranch_execz .LBB6_4849
; %bb.4846:                             ;   in Loop: Header=BB6_4548 Depth=2
	v_and_b32_e32 v24, 0x7f, v6
	v_cmp_ne_u32_e32 vcc, s69, v24
	v_mov_b32_e32 v20, 0x7f800001
	s_and_saveexec_b64 s[58:59], vcc
	s_cbranch_execz .LBB6_4848
; %bb.4847:                             ;   in Loop: Header=BB6_4548 Depth=2
	v_and_b32_e32 v28, 7, v6
	v_ffbh_u32_e32 v28, v28
	v_min_u32_e32 v28, 32, v28
	v_lshrrev_b32_e32 v29, 3, v24
	v_subrev_u32_e32 v33, 28, v28
	v_sub_u32_e32 v28, 29, v28
	v_cmp_gt_u32_e32 vcc, 8, v24
	v_perm_b32 v20, v3, v6, s73
	v_cndmask_b32_e32 v24, v29, v28, vcc
	v_cndmask_b32_e32 v28, 0, v33, vcc
	v_lshlrev_b64 v[28:29], v28, v[20:21]
	v_lshlrev_b32_e32 v20, 20, v28
	v_lshlrev_b32_e32 v6, 24, v6
	v_and_b32_e32 v20, 0x700000, v20
	v_and_b32_e32 v6, 0x80000000, v6
	v_lshl_add_u32 v24, v24, 23, v21
	v_or3_b32 v20, v6, v24, v20
.LBB6_4848:                             ;   in Loop: Header=BB6_4548 Depth=2
	s_or_b64 exec, exec, s[58:59]
.LBB6_4849:                             ;   in Loop: Header=BB6_4548 Depth=2
	s_or_b64 exec, exec, s[56:57]
.LBB6_4850:                             ;   in Loop: Header=BB6_4548 Depth=2
	s_or_b64 exec, exec, s[20:21]
	s_waitcnt vmcnt(0)
	v_cmp_ne_u16_sdwa vcc, v10, v37 src0_sel:BYTE_0 src1_sel:DWORD
	s_and_saveexec_b64 s[20:21], vcc
	s_cbranch_execz .LBB6_4856
; %bb.4851:                             ;   in Loop: Header=BB6_4548 Depth=2
	v_cmp_ne_u16_sdwa vcc, v10, s71 src0_sel:BYTE_0 src1_sel:DWORD
	v_bfrev_b32_e32 v9, 1
	s_and_saveexec_b64 s[56:57], vcc
	s_cbranch_execz .LBB6_4855
; %bb.4852:                             ;   in Loop: Header=BB6_4548 Depth=2
	v_and_b32_e32 v6, 0x7f, v10
	v_cmp_ne_u32_e32 vcc, s69, v6
	v_mov_b32_e32 v9, 0x7f800001
	s_and_saveexec_b64 s[58:59], vcc
	s_cbranch_execz .LBB6_4854
; %bb.4853:                             ;   in Loop: Header=BB6_4548 Depth=2
	v_and_b32_e32 v9, 7, v10
	v_ffbh_u32_e32 v9, v9
	v_min_u32_e32 v9, 32, v9
	v_lshrrev_b32_e32 v24, 3, v6
	v_subrev_u32_e32 v28, 28, v9
	v_sub_u32_e32 v9, 29, v9
	v_cmp_gt_u32_e32 vcc, 8, v6
	v_cndmask_b32_e32 v6, v24, v9, vcc
	v_cndmask_b32_e32 v9, 0, v28, vcc
	v_lshlrev_b64 v[28:29], v9, v[10:11]
	v_lshlrev_b32_e32 v9, 20, v28
	v_lshlrev_b32_e32 v24, 24, v10
	v_and_b32_e32 v9, 0x700000, v9
	v_and_b32_e32 v24, 0x80000000, v24
	v_lshl_add_u32 v6, v6, 23, v21
	v_or3_b32 v9, v24, v6, v9
.LBB6_4854:                             ;   in Loop: Header=BB6_4548 Depth=2
	s_or_b64 exec, exec, s[58:59]
.LBB6_4855:                             ;   in Loop: Header=BB6_4548 Depth=2
	s_or_b64 exec, exec, s[56:57]
.LBB6_4856:                             ;   in Loop: Header=BB6_4548 Depth=2
	s_or_b64 exec, exec, s[20:21]
	v_add_f32_e32 v20, v20, v9
	v_and_b32_sdwa v9, v20, s71 dst_sel:DWORD dst_unused:UNUSED_PAD src0_sel:BYTE_3 src1_sel:DWORD
	v_and_b32_e32 v28, 0x7f800000, v20
	v_mov_b32_e32 v29, v37
	v_and_b32_e32 v36, 0x7fffff, v20
	v_or_b32_e32 v6, 0x7e, v9
	v_cmp_ne_u64_e32 vcc, s[38:39], v[28:29]
	s_and_saveexec_b64 s[20:21], vcc
	s_xor_b64 s[56:57], exec, s[20:21]
	s_cbranch_execz .LBB6_4866
; %bb.4857:                             ;   in Loop: Header=BB6_4548 Depth=2
	v_and_b32_e32 v28, 0x7fffffff, v20
	v_mov_b32_e32 v29, v37
	v_cmp_gt_u64_e32 vcc, s[40:41], v[28:29]
	s_and_saveexec_b64 s[58:59], vcc
	s_cbranch_execz .LBB6_4865
; %bb.4858:                             ;   in Loop: Header=BB6_4548 Depth=2
	v_cmp_ne_u32_e32 vcc, 0, v20
	v_mov_b32_e32 v6, 0
	s_and_saveexec_b64 s[60:61], vcc
	s_cbranch_execz .LBB6_4864
; %bb.4859:                             ;   in Loop: Header=BB6_4548 Depth=2
	v_bfe_u32 v6, v20, 23, 8
	v_sub_u32_e32 v24, 0x79, v6
	v_cmp_gt_u32_e32 vcc, s72, v6
	v_add_u32_e32 v20, 0xffffff81, v6
	v_cndmask_b32_e32 v24, 0, v24, vcc
	v_cmp_eq_u32_e32 vcc, 0, v6
	v_mov_b32_e32 v6, 0xffffff82
	v_cndmask_b32_e32 v6, v20, v6, vcc
	v_mov_b32_e32 v20, 0x78
	v_cndmask_b32_e32 v20, v24, v20, vcc
	v_or_b32_e32 v28, 0x800000, v36
	v_add_u32_e32 v24, 20, v20
	v_cndmask_b32_e32 v36, v28, v36, vcc
	v_lshlrev_b64 v[28:29], v24, -1
	v_not_b32_e32 v24, v29
	v_and_b32_e32 v29, 0, v24
	v_add_u32_e32 v24, 19, v20
	v_lshrrev_b64 v[38:39], v20, v[36:37]
	v_not_b32_e32 v28, v28
	v_lshlrev_b64 v[34:35], v24, 1
	v_lshrrev_b32_e32 v24, 23, v38
	v_and_b32_e32 v28, v36, v28
	v_add3_u32 v24, v20, v6, v24
	v_bfe_u32 v6, v38, 20, 1
	v_add_u32_e32 v6, -1, v6
	v_cmp_eq_u64_e32 vcc, v[28:29], v[34:35]
	v_cndmask_b32_e32 v6, 0, v6, vcc
	v_add_u32_e32 v6, v6, v38
	v_and_b32_e32 v6, 0xfffff, v6
	v_add_co_u32_e32 v44, vcc, v6, v38
	v_add_u32_e32 v20, 6, v24
	v_addc_co_u32_e32 v45, vcc, 0, v39, vcc
	v_cmp_ne_u32_e32 vcc, 0, v20
                                        ; implicit-def: $vgpr6
	s_and_saveexec_b64 s[20:21], vcc
	s_xor_b64 s[20:21], exec, s[20:21]
; %bb.4860:                             ;   in Loop: Header=BB6_4548 Depth=2
	v_add_u32_e32 v6, 7, v24
	v_cmp_lt_u64_e32 vcc, s[44:45], v[44:45]
	v_cndmask_b32_e32 v6, v20, v6, vcc
	v_cndmask_b32_e64 v20, 0, 1, vcc
	v_lshrrev_b64 v[44:45], v20, v[44:45]
; %bb.4861:                             ;   in Loop: Header=BB6_4548 Depth=2
	s_andn2_saveexec_b64 s[20:21], s[20:21]
; %bb.4862:                             ;   in Loop: Header=BB6_4548 Depth=2
	v_bfe_u32 v6, v44, 23, 1
; %bb.4863:                             ;   in Loop: Header=BB6_4548 Depth=2
	s_or_b64 exec, exec, s[20:21]
	v_lshrrev_b64 v[28:29], 20, v[44:45]
	v_cmp_gt_i32_e32 vcc, 16, v6
	v_cndmask_b32_e32 v29, 0, v29, vcc
	v_cndmask_b32_e32 v28, 7, v28, vcc
	v_cmp_eq_u32_e32 vcc, 0, v6
	v_min_i32_e32 v6, 15, v6
	v_cmp_eq_u64_e64 s[20:21], 0, v[28:29]
	v_lshlrev_b32_e32 v6, 3, v6
	v_and_or_b32 v6, v28, 7, v6
	s_and_b64 s[20:21], vcc, s[20:21]
	v_cndmask_b32_e64 v6, v6, 0, s[20:21]
	v_or_b32_e32 v6, v6, v9
.LBB6_4864:                             ;   in Loop: Header=BB6_4548 Depth=2
	s_or_b64 exec, exec, s[60:61]
.LBB6_4865:                             ;   in Loop: Header=BB6_4548 Depth=2
	s_or_b64 exec, exec, s[58:59]
                                        ; implicit-def: $vgpr20
.LBB6_4866:                             ;   in Loop: Header=BB6_4548 Depth=2
	s_andn2_saveexec_b64 s[20:21], s[56:57]
; %bb.4867:                             ;   in Loop: Header=BB6_4548 Depth=2
	v_or_b32_sdwa v9, v20, s69 dst_sel:DWORD dst_unused:UNUSED_PAD src0_sel:BYTE_3 src1_sel:DWORD
	v_cmp_eq_u64_e32 vcc, 0, v[36:37]
	v_cndmask_b32_e32 v6, v9, v6, vcc
; %bb.4868:                             ;   in Loop: Header=BB6_4548 Depth=2
	s_or_b64 exec, exec, s[20:21]
	v_lshrrev_b16_e32 v24, 8, v3
	v_cmp_ne_u16_e32 vcc, 0, v24
	v_mov_b32_e32 v9, 0
	v_mov_b32_e32 v20, 0
	s_and_saveexec_b64 s[20:21], vcc
	s_cbranch_execz .LBB6_4874
; %bb.4869:                             ;   in Loop: Header=BB6_4548 Depth=2
	v_cmp_ne_u16_e32 vcc, s71, v24
	v_bfrev_b32_e32 v20, 1
	s_and_saveexec_b64 s[56:57], vcc
	s_cbranch_execz .LBB6_4873
; %bb.4870:                             ;   in Loop: Header=BB6_4548 Depth=2
	v_and_b32_e32 v28, 0x7f, v24
	v_cmp_ne_u32_e32 vcc, s69, v28
	v_mov_b32_e32 v20, 0x7f800001
	s_and_saveexec_b64 s[58:59], vcc
	s_cbranch_execz .LBB6_4872
; %bb.4871:                             ;   in Loop: Header=BB6_4548 Depth=2
	v_and_b32_e32 v20, 7, v24
	v_ffbh_u32_e32 v33, v20
	v_min_u32_e32 v33, 32, v33
	v_subrev_u32_e32 v34, 28, v33
	v_lshlrev_b64 v[34:35], v34, v[24:25]
	v_lshrrev_b32_e32 v29, 3, v28
	v_sub_u32_e32 v24, 29, v33
	v_and_b32_e32 v33, 7, v34
	v_cmp_gt_u32_e32 vcc, 8, v28
	v_cndmask_b32_e32 v24, v29, v24, vcc
	v_cndmask_b32_e32 v20, v20, v33, vcc
	v_lshlrev_b32_e32 v3, 16, v3
	v_lshlrev_b32_e32 v20, 20, v20
	v_and_b32_e32 v3, 0x80000000, v3
	v_lshl_add_u32 v24, v24, 23, v21
	v_or3_b32 v20, v3, v24, v20
.LBB6_4872:                             ;   in Loop: Header=BB6_4548 Depth=2
	s_or_b64 exec, exec, s[58:59]
.LBB6_4873:                             ;   in Loop: Header=BB6_4548 Depth=2
	s_or_b64 exec, exec, s[56:57]
.LBB6_4874:                             ;   in Loop: Header=BB6_4548 Depth=2
	s_or_b64 exec, exec, s[20:21]
	v_lshrrev_b16_e32 v24, 8, v10
	v_cmp_ne_u16_e32 vcc, 0, v24
	s_and_saveexec_b64 s[20:21], vcc
	s_cbranch_execz .LBB6_4880
; %bb.4875:                             ;   in Loop: Header=BB6_4548 Depth=2
	v_cmp_ne_u16_e32 vcc, s71, v24
	v_bfrev_b32_e32 v9, 1
	s_and_saveexec_b64 s[56:57], vcc
	s_cbranch_execz .LBB6_4879
; %bb.4876:                             ;   in Loop: Header=BB6_4548 Depth=2
	v_and_b32_e32 v3, 0x7f, v24
	v_cmp_ne_u32_e32 vcc, s69, v3
	v_mov_b32_e32 v9, 0x7f800001
	s_and_saveexec_b64 s[58:59], vcc
	s_cbranch_execz .LBB6_4878
; %bb.4877:                             ;   in Loop: Header=BB6_4548 Depth=2
	v_and_b32_e32 v9, 7, v24
	v_ffbh_u32_e32 v28, v9
	v_min_u32_e32 v34, 32, v28
	v_subrev_u32_e32 v28, 28, v34
	v_lshlrev_b64 v[28:29], v28, v[24:25]
	v_lshrrev_b32_e32 v33, 3, v3
	v_sub_u32_e32 v24, 29, v34
	v_and_b32_e32 v28, 7, v28
	v_cmp_gt_u32_e32 vcc, 8, v3
	v_cndmask_b32_e32 v3, v33, v24, vcc
	v_cndmask_b32_e32 v9, v9, v28, vcc
	v_lshlrev_b32_e32 v24, 16, v10
	v_lshlrev_b32_e32 v9, 20, v9
	v_and_b32_e32 v24, 0x80000000, v24
	v_lshl_add_u32 v3, v3, 23, v21
	v_or3_b32 v9, v24, v3, v9
.LBB6_4878:                             ;   in Loop: Header=BB6_4548 Depth=2
	s_or_b64 exec, exec, s[58:59]
.LBB6_4879:                             ;   in Loop: Header=BB6_4548 Depth=2
	s_or_b64 exec, exec, s[56:57]
.LBB6_4880:                             ;   in Loop: Header=BB6_4548 Depth=2
	s_or_b64 exec, exec, s[20:21]
	v_add_f32_e32 v20, v20, v9
	v_and_b32_sdwa v3, v20, s71 dst_sel:DWORD dst_unused:UNUSED_PAD src0_sel:BYTE_3 src1_sel:DWORD
	v_and_b32_e32 v28, 0x7f800000, v20
	v_mov_b32_e32 v29, v37
	v_and_b32_e32 v36, 0x7fffff, v20
	v_or_b32_e32 v9, 0x7e, v3
	v_cmp_ne_u64_e32 vcc, s[38:39], v[28:29]
	s_and_saveexec_b64 s[20:21], vcc
	s_xor_b64 s[56:57], exec, s[20:21]
	s_cbranch_execz .LBB6_4890
; %bb.4881:                             ;   in Loop: Header=BB6_4548 Depth=2
	v_and_b32_e32 v28, 0x7fffffff, v20
	v_mov_b32_e32 v29, v37
	v_cmp_gt_u64_e32 vcc, s[40:41], v[28:29]
	s_and_saveexec_b64 s[58:59], vcc
	s_cbranch_execz .LBB6_4889
; %bb.4882:                             ;   in Loop: Header=BB6_4548 Depth=2
	v_cmp_ne_u32_e32 vcc, 0, v20
	v_mov_b32_e32 v9, 0
	s_and_saveexec_b64 s[60:61], vcc
	s_cbranch_execz .LBB6_4888
; %bb.4883:                             ;   in Loop: Header=BB6_4548 Depth=2
	v_bfe_u32 v9, v20, 23, 8
	v_sub_u32_e32 v24, 0x79, v9
	v_cmp_gt_u32_e32 vcc, s72, v9
	v_add_u32_e32 v20, 0xffffff81, v9
	v_cndmask_b32_e32 v24, 0, v24, vcc
	v_cmp_eq_u32_e32 vcc, 0, v9
	v_mov_b32_e32 v9, 0xffffff82
	v_cndmask_b32_e32 v9, v20, v9, vcc
	v_mov_b32_e32 v20, 0x78
	v_cndmask_b32_e32 v20, v24, v20, vcc
	v_or_b32_e32 v28, 0x800000, v36
	v_add_u32_e32 v24, 20, v20
	v_cndmask_b32_e32 v36, v28, v36, vcc
	v_lshlrev_b64 v[28:29], v24, -1
	v_not_b32_e32 v24, v29
	v_and_b32_e32 v29, 0, v24
	v_add_u32_e32 v24, 19, v20
	v_lshrrev_b64 v[38:39], v20, v[36:37]
	v_not_b32_e32 v28, v28
	v_lshlrev_b64 v[34:35], v24, 1
	v_lshrrev_b32_e32 v24, 23, v38
	v_and_b32_e32 v28, v36, v28
	v_add3_u32 v24, v20, v9, v24
	v_bfe_u32 v9, v38, 20, 1
	v_add_u32_e32 v9, -1, v9
	v_cmp_eq_u64_e32 vcc, v[28:29], v[34:35]
	v_cndmask_b32_e32 v9, 0, v9, vcc
	v_add_u32_e32 v9, v9, v38
	v_and_b32_e32 v9, 0xfffff, v9
	v_add_co_u32_e32 v44, vcc, v9, v38
	v_add_u32_e32 v20, 6, v24
	v_addc_co_u32_e32 v45, vcc, 0, v39, vcc
	v_cmp_ne_u32_e32 vcc, 0, v20
                                        ; implicit-def: $vgpr9
	s_and_saveexec_b64 s[20:21], vcc
	s_xor_b64 s[20:21], exec, s[20:21]
; %bb.4884:                             ;   in Loop: Header=BB6_4548 Depth=2
	v_add_u32_e32 v9, 7, v24
	v_cmp_lt_u64_e32 vcc, s[44:45], v[44:45]
	v_cndmask_b32_e32 v9, v20, v9, vcc
	v_cndmask_b32_e64 v20, 0, 1, vcc
	v_lshrrev_b64 v[44:45], v20, v[44:45]
; %bb.4885:                             ;   in Loop: Header=BB6_4548 Depth=2
	s_andn2_saveexec_b64 s[20:21], s[20:21]
; %bb.4886:                             ;   in Loop: Header=BB6_4548 Depth=2
	v_bfe_u32 v9, v44, 23, 1
; %bb.4887:                             ;   in Loop: Header=BB6_4548 Depth=2
	s_or_b64 exec, exec, s[20:21]
	v_lshrrev_b64 v[28:29], 20, v[44:45]
	v_cmp_gt_i32_e32 vcc, 16, v9
	v_cndmask_b32_e32 v29, 0, v29, vcc
	v_cndmask_b32_e32 v28, 7, v28, vcc
	v_cmp_eq_u32_e32 vcc, 0, v9
	v_min_i32_e32 v9, 15, v9
	v_cmp_eq_u64_e64 s[20:21], 0, v[28:29]
	v_lshlrev_b32_e32 v9, 3, v9
	v_and_or_b32 v9, v28, 7, v9
	s_and_b64 s[20:21], vcc, s[20:21]
	v_cndmask_b32_e64 v9, v9, 0, s[20:21]
	v_or_b32_e32 v9, v9, v3
.LBB6_4888:                             ;   in Loop: Header=BB6_4548 Depth=2
	s_or_b64 exec, exec, s[60:61]
.LBB6_4889:                             ;   in Loop: Header=BB6_4548 Depth=2
	s_or_b64 exec, exec, s[58:59]
                                        ; implicit-def: $vgpr20
.LBB6_4890:                             ;   in Loop: Header=BB6_4548 Depth=2
	s_andn2_saveexec_b64 s[20:21], s[56:57]
; %bb.4891:                             ;   in Loop: Header=BB6_4548 Depth=2
	v_or_b32_sdwa v3, v20, s69 dst_sel:DWORD dst_unused:UNUSED_PAD src0_sel:BYTE_3 src1_sel:DWORD
	v_cmp_eq_u64_e32 vcc, 0, v[36:37]
	v_cndmask_b32_e32 v9, v3, v9, vcc
; %bb.4892:                             ;   in Loop: Header=BB6_4548 Depth=2
	s_or_b64 exec, exec, s[20:21]
	v_cmp_ne_u16_sdwa vcc, v42, v37 src0_sel:BYTE_0 src1_sel:DWORD
	v_mov_b32_e32 v3, 0
	v_mov_b32_e32 v20, 0
	s_and_saveexec_b64 s[20:21], vcc
	s_cbranch_execz .LBB6_4898
; %bb.4893:                             ;   in Loop: Header=BB6_4548 Depth=2
	v_cmp_ne_u16_sdwa vcc, v42, s71 src0_sel:BYTE_0 src1_sel:DWORD
	v_bfrev_b32_e32 v20, 1
	s_and_saveexec_b64 s[56:57], vcc
	s_cbranch_execz .LBB6_4897
; %bb.4894:                             ;   in Loop: Header=BB6_4548 Depth=2
	v_and_b32_e32 v24, 0x7f, v42
	v_cmp_ne_u32_e32 vcc, s69, v24
	v_mov_b32_e32 v20, 0x7f800001
	s_and_saveexec_b64 s[58:59], vcc
	s_cbranch_execz .LBB6_4896
; %bb.4895:                             ;   in Loop: Header=BB6_4548 Depth=2
	v_and_b32_e32 v20, 7, v42
	v_ffbh_u32_e32 v28, v20
	v_min_u32_e32 v34, 32, v28
	v_subrev_u32_e32 v28, 28, v34
	v_lshlrev_b64 v[28:29], v28, v[42:43]
	v_lshrrev_b32_e32 v33, 3, v24
	v_sub_u32_e32 v29, 29, v34
	v_and_b32_e32 v28, 7, v28
	v_cmp_gt_u32_e32 vcc, 8, v24
	v_cndmask_b32_e32 v24, v33, v29, vcc
	v_cndmask_b32_e32 v20, v20, v28, vcc
	v_lshlrev_b32_e32 v28, 24, v42
	v_lshlrev_b32_e32 v20, 20, v20
	v_and_b32_e32 v28, 0x80000000, v28
	v_lshl_add_u32 v24, v24, 23, v21
	v_or3_b32 v20, v28, v24, v20
.LBB6_4896:                             ;   in Loop: Header=BB6_4548 Depth=2
	s_or_b64 exec, exec, s[58:59]
.LBB6_4897:                             ;   in Loop: Header=BB6_4548 Depth=2
	s_or_b64 exec, exec, s[56:57]
.LBB6_4898:                             ;   in Loop: Header=BB6_4548 Depth=2
	s_or_b64 exec, exec, s[20:21]
	v_lshrrev_b32_e32 v24, 16, v10
	v_cmp_ne_u16_sdwa vcc, v24, v37 src0_sel:BYTE_0 src1_sel:DWORD
	s_and_saveexec_b64 s[20:21], vcc
	s_cbranch_execz .LBB6_4904
; %bb.4899:                             ;   in Loop: Header=BB6_4548 Depth=2
	v_cmp_ne_u16_sdwa vcc, v24, s71 src0_sel:BYTE_0 src1_sel:DWORD
	v_bfrev_b32_e32 v3, 1
	s_and_saveexec_b64 s[56:57], vcc
	s_cbranch_execz .LBB6_4903
; %bb.4900:                             ;   in Loop: Header=BB6_4548 Depth=2
	v_bfe_u32 v28, v10, 16, 7
	v_cmp_ne_u32_e32 vcc, s69, v28
	v_mov_b32_e32 v3, 0x7f800001
	s_and_saveexec_b64 s[58:59], vcc
	s_cbranch_execz .LBB6_4902
; %bb.4901:                             ;   in Loop: Header=BB6_4548 Depth=2
	v_and_b32_e32 v3, 7, v24
	v_ffbh_u32_e32 v33, v3
	v_min_u32_e32 v33, 32, v33
	v_subrev_u32_e32 v34, 28, v33
	v_lshlrev_b64 v[34:35], v34, v[24:25]
	v_lshrrev_b32_e32 v29, 3, v28
	v_sub_u32_e32 v24, 29, v33
	v_and_b32_e32 v33, 7, v34
	v_cmp_gt_u32_e32 vcc, 8, v28
	v_cndmask_b32_e32 v24, v29, v24, vcc
	v_cndmask_b32_e32 v3, v3, v33, vcc
	v_lshlrev_b32_e32 v28, 8, v10
	v_lshlrev_b32_e32 v3, 20, v3
	v_and_b32_e32 v28, 0x80000000, v28
	v_lshl_add_u32 v24, v24, 23, v21
	v_or3_b32 v3, v28, v24, v3
.LBB6_4902:                             ;   in Loop: Header=BB6_4548 Depth=2
	s_or_b64 exec, exec, s[58:59]
.LBB6_4903:                             ;   in Loop: Header=BB6_4548 Depth=2
	s_or_b64 exec, exec, s[56:57]
.LBB6_4904:                             ;   in Loop: Header=BB6_4548 Depth=2
	s_or_b64 exec, exec, s[20:21]
	v_add_f32_e32 v24, v20, v3
	v_and_b32_sdwa v3, v24, s71 dst_sel:DWORD dst_unused:UNUSED_PAD src0_sel:BYTE_3 src1_sel:DWORD
	v_and_b32_e32 v28, 0x7f800000, v24
	v_mov_b32_e32 v29, v37
	v_and_b32_e32 v36, 0x7fffff, v24
	v_or_b32_e32 v20, 0x7e, v3
	v_cmp_ne_u64_e32 vcc, s[38:39], v[28:29]
	s_and_saveexec_b64 s[20:21], vcc
	s_xor_b64 s[56:57], exec, s[20:21]
	s_cbranch_execz .LBB6_4914
; %bb.4905:                             ;   in Loop: Header=BB6_4548 Depth=2
	v_and_b32_e32 v28, 0x7fffffff, v24
	v_mov_b32_e32 v29, v37
	v_cmp_gt_u64_e32 vcc, s[40:41], v[28:29]
	s_and_saveexec_b64 s[58:59], vcc
	s_cbranch_execz .LBB6_4913
; %bb.4906:                             ;   in Loop: Header=BB6_4548 Depth=2
	v_cmp_ne_u32_e32 vcc, 0, v24
	v_mov_b32_e32 v20, 0
	s_and_saveexec_b64 s[60:61], vcc
	s_cbranch_execz .LBB6_4912
; %bb.4907:                             ;   in Loop: Header=BB6_4548 Depth=2
	v_bfe_u32 v20, v24, 23, 8
	v_sub_u32_e32 v28, 0x79, v20
	v_cmp_gt_u32_e32 vcc, s72, v20
	v_add_u32_e32 v24, 0xffffff81, v20
	v_cndmask_b32_e32 v28, 0, v28, vcc
	v_cmp_eq_u32_e32 vcc, 0, v20
	v_mov_b32_e32 v20, 0xffffff82
	v_cndmask_b32_e32 v20, v24, v20, vcc
	v_mov_b32_e32 v24, 0x78
	v_cndmask_b32_e32 v24, v28, v24, vcc
	v_or_b32_e32 v29, 0x800000, v36
	v_add_u32_e32 v28, 20, v24
	v_cndmask_b32_e32 v36, v29, v36, vcc
	v_lshlrev_b64 v[28:29], v28, -1
	v_not_b32_e32 v28, v28
	v_and_b32_e32 v34, v36, v28
	v_add_u32_e32 v28, 19, v24
	v_lshrrev_b64 v[48:49], v24, v[36:37]
	v_not_b32_e32 v29, v29
	v_lshlrev_b64 v[38:39], v28, 1
	v_lshrrev_b32_e32 v28, 23, v48
	v_and_b32_e32 v35, 0, v29
	v_add3_u32 v28, v24, v20, v28
	v_bfe_u32 v20, v48, 20, 1
	v_add_u32_e32 v20, -1, v20
	v_cmp_eq_u64_e32 vcc, v[34:35], v[38:39]
	v_cndmask_b32_e32 v20, 0, v20, vcc
	v_add_u32_e32 v20, v20, v48
	v_and_b32_e32 v20, 0xfffff, v20
	v_add_co_u32_e32 v42, vcc, v20, v48
	v_add_u32_e32 v24, 6, v28
	v_addc_co_u32_e32 v43, vcc, 0, v49, vcc
	v_cmp_ne_u32_e32 vcc, 0, v24
                                        ; implicit-def: $vgpr20
	s_and_saveexec_b64 s[20:21], vcc
	s_xor_b64 s[20:21], exec, s[20:21]
; %bb.4908:                             ;   in Loop: Header=BB6_4548 Depth=2
	v_add_u32_e32 v20, 7, v28
	v_cmp_lt_u64_e32 vcc, s[44:45], v[42:43]
	v_cndmask_b32_e32 v20, v24, v20, vcc
	v_cndmask_b32_e64 v24, 0, 1, vcc
	v_lshrrev_b64 v[42:43], v24, v[42:43]
; %bb.4909:                             ;   in Loop: Header=BB6_4548 Depth=2
	s_andn2_saveexec_b64 s[20:21], s[20:21]
; %bb.4910:                             ;   in Loop: Header=BB6_4548 Depth=2
	v_bfe_u32 v20, v42, 23, 1
; %bb.4911:                             ;   in Loop: Header=BB6_4548 Depth=2
	s_or_b64 exec, exec, s[20:21]
	v_lshrrev_b64 v[28:29], 20, v[42:43]
	v_cmp_gt_i32_e32 vcc, 16, v20
	v_cndmask_b32_e32 v29, 0, v29, vcc
	v_cndmask_b32_e32 v28, 7, v28, vcc
	v_cmp_eq_u32_e32 vcc, 0, v20
	v_min_i32_e32 v20, 15, v20
	v_cmp_eq_u64_e64 s[20:21], 0, v[28:29]
	v_lshlrev_b32_e32 v20, 3, v20
	v_and_or_b32 v20, v28, 7, v20
	s_and_b64 s[20:21], vcc, s[20:21]
	v_cndmask_b32_e64 v20, v20, 0, s[20:21]
	v_or_b32_e32 v20, v20, v3
.LBB6_4912:                             ;   in Loop: Header=BB6_4548 Depth=2
	s_or_b64 exec, exec, s[60:61]
.LBB6_4913:                             ;   in Loop: Header=BB6_4548 Depth=2
	s_or_b64 exec, exec, s[58:59]
                                        ; implicit-def: $vgpr24
.LBB6_4914:                             ;   in Loop: Header=BB6_4548 Depth=2
	s_andn2_saveexec_b64 s[20:21], s[56:57]
; %bb.4915:                             ;   in Loop: Header=BB6_4548 Depth=2
	v_or_b32_sdwa v3, v24, s69 dst_sel:DWORD dst_unused:UNUSED_PAD src0_sel:BYTE_3 src1_sel:DWORD
	v_cmp_eq_u64_e32 vcc, 0, v[36:37]
	v_cndmask_b32_e32 v20, v3, v20, vcc
; %bb.4916:                             ;   in Loop: Header=BB6_4548 Depth=2
	s_or_b64 exec, exec, s[20:21]
	v_lshlrev_b32_e32 v3, 8, v26
	v_and_b32_e32 v24, 0xff00, v3
	v_cmp_ne_u32_e32 vcc, 0, v24
	v_mov_b32_e32 v3, 0
	v_mov_b32_e32 v26, 0
	s_and_saveexec_b64 s[20:21], vcc
	s_cbranch_execz .LBB6_4922
; %bb.4917:                             ;   in Loop: Header=BB6_4548 Depth=2
	v_cmp_ne_u32_e32 vcc, s74, v24
	v_bfrev_b32_e32 v26, 1
	s_and_saveexec_b64 s[56:57], vcc
	s_cbranch_execz .LBB6_4921
; %bb.4918:                             ;   in Loop: Header=BB6_4548 Depth=2
	v_bfe_u32 v28, v24, 8, 7
	v_cmp_ne_u32_e32 vcc, s69, v28
	v_mov_b32_e32 v26, 0x7f800001
	s_and_saveexec_b64 s[58:59], vcc
	s_cbranch_execz .LBB6_4920
; %bb.4919:                             ;   in Loop: Header=BB6_4548 Depth=2
	v_lshrrev_b32_e32 v26, 8, v24
	v_and_b32_e32 v29, 7, v26
	v_ffbh_u32_e32 v34, v29
	v_min_u32_e32 v36, 32, v34
	v_subrev_u32_e32 v34, 28, v36
	v_lshlrev_b64 v[34:35], v34, v[26:27]
	v_lshrrev_b32_e32 v33, 3, v28
	v_sub_u32_e32 v26, 29, v36
	v_and_b32_e32 v34, 7, v34
	v_cmp_gt_u32_e32 vcc, 8, v28
	v_cndmask_b32_e32 v26, v33, v26, vcc
	v_cndmask_b32_e32 v28, v29, v34, vcc
	v_lshlrev_b32_e32 v24, 16, v24
	v_lshlrev_b32_e32 v28, 20, v28
	v_and_b32_e32 v24, 0x80000000, v24
	v_lshl_add_u32 v26, v26, 23, v21
	v_or3_b32 v26, v24, v26, v28
.LBB6_4920:                             ;   in Loop: Header=BB6_4548 Depth=2
	s_or_b64 exec, exec, s[58:59]
.LBB6_4921:                             ;   in Loop: Header=BB6_4548 Depth=2
	s_or_b64 exec, exec, s[56:57]
.LBB6_4922:                             ;   in Loop: Header=BB6_4548 Depth=2
	s_or_b64 exec, exec, s[20:21]
	v_cmp_lt_u32_e32 vcc, s43, v10
	s_and_saveexec_b64 s[20:21], vcc
	s_cbranch_execz .LBB6_4928
; %bb.4923:                             ;   in Loop: Header=BB6_4548 Depth=2
	v_lshrrev_b32_e32 v24, 24, v10
	v_cmp_ne_u32_e32 vcc, s71, v24
	v_bfrev_b32_e32 v3, 1
	s_and_saveexec_b64 s[56:57], vcc
	s_cbranch_execz .LBB6_4927
; %bb.4924:                             ;   in Loop: Header=BB6_4548 Depth=2
	v_bfe_u32 v28, v10, 24, 7
	v_cmp_ne_u32_e32 vcc, s69, v28
	v_mov_b32_e32 v3, 0x7f800001
	s_and_saveexec_b64 s[58:59], vcc
	s_cbranch_execz .LBB6_4926
; %bb.4925:                             ;   in Loop: Header=BB6_4548 Depth=2
	v_and_b32_e32 v3, 7, v24
	v_ffbh_u32_e32 v33, v3
	v_min_u32_e32 v33, 32, v33
	v_subrev_u32_e32 v34, 28, v33
	v_lshlrev_b64 v[34:35], v34, v[24:25]
	v_lshrrev_b32_e32 v29, 3, v28
	v_sub_u32_e32 v33, 29, v33
	v_and_b32_e32 v34, 7, v34
	v_cmp_gt_u32_e32 vcc, 8, v28
	v_cndmask_b32_e32 v28, v29, v33, vcc
	v_cndmask_b32_e32 v3, v3, v34, vcc
	v_lshlrev_b32_e32 v24, 24, v24
	v_lshlrev_b32_e32 v3, 20, v3
	v_and_b32_e32 v24, 0x80000000, v24
	v_lshl_add_u32 v28, v28, 23, v21
	v_or3_b32 v3, v24, v28, v3
.LBB6_4926:                             ;   in Loop: Header=BB6_4548 Depth=2
	s_or_b64 exec, exec, s[58:59]
.LBB6_4927:                             ;   in Loop: Header=BB6_4548 Depth=2
	s_or_b64 exec, exec, s[56:57]
.LBB6_4928:                             ;   in Loop: Header=BB6_4548 Depth=2
	s_or_b64 exec, exec, s[20:21]
	v_add_f32_e32 v24, v26, v3
	v_and_b32_sdwa v3, v24, s71 dst_sel:DWORD dst_unused:UNUSED_PAD src0_sel:BYTE_3 src1_sel:DWORD
	v_and_b32_e32 v28, 0x7f800000, v24
	v_mov_b32_e32 v29, v37
	v_and_b32_e32 v36, 0x7fffff, v24
	v_or_b32_e32 v26, 0x7e, v3
	v_cmp_ne_u64_e32 vcc, s[38:39], v[28:29]
	s_and_saveexec_b64 s[20:21], vcc
	s_xor_b64 s[56:57], exec, s[20:21]
	s_cbranch_execz .LBB6_4938
; %bb.4929:                             ;   in Loop: Header=BB6_4548 Depth=2
	v_and_b32_e32 v28, 0x7fffffff, v24
	v_mov_b32_e32 v29, v37
	v_cmp_gt_u64_e32 vcc, s[40:41], v[28:29]
	s_and_saveexec_b64 s[58:59], vcc
	s_cbranch_execz .LBB6_4937
; %bb.4930:                             ;   in Loop: Header=BB6_4548 Depth=2
	v_cmp_ne_u32_e32 vcc, 0, v24
	v_mov_b32_e32 v26, 0
	s_and_saveexec_b64 s[60:61], vcc
	s_cbranch_execz .LBB6_4936
; %bb.4931:                             ;   in Loop: Header=BB6_4548 Depth=2
	v_bfe_u32 v24, v24, 23, 8
	v_sub_u32_e32 v28, 0x79, v24
	v_cmp_gt_u32_e32 vcc, s72, v24
	v_add_u32_e32 v26, 0xffffff81, v24
	v_cndmask_b32_e32 v28, 0, v28, vcc
	v_cmp_eq_u32_e32 vcc, 0, v24
	v_mov_b32_e32 v24, 0xffffff82
	v_cndmask_b32_e32 v24, v26, v24, vcc
	v_mov_b32_e32 v26, 0x78
	v_cndmask_b32_e32 v26, v28, v26, vcc
	v_or_b32_e32 v29, 0x800000, v36
	v_add_u32_e32 v28, 20, v26
	v_cndmask_b32_e32 v36, v29, v36, vcc
	v_lshlrev_b64 v[28:29], v28, -1
	v_not_b32_e32 v28, v28
	v_and_b32_e32 v34, v36, v28
	v_add_u32_e32 v28, 19, v26
	v_lshrrev_b64 v[48:49], v26, v[36:37]
	v_not_b32_e32 v29, v29
	v_lshlrev_b64 v[38:39], v28, 1
	v_lshrrev_b32_e32 v28, 23, v48
	v_and_b32_e32 v35, 0, v29
	v_add3_u32 v28, v26, v24, v28
	v_bfe_u32 v24, v48, 20, 1
	v_add_u32_e32 v24, -1, v24
	v_cmp_eq_u64_e32 vcc, v[34:35], v[38:39]
	v_cndmask_b32_e32 v24, 0, v24, vcc
	v_add_u32_e32 v24, v24, v48
	v_and_b32_e32 v24, 0xfffff, v24
	v_add_co_u32_e32 v42, vcc, v24, v48
	v_add_u32_e32 v26, 6, v28
	v_addc_co_u32_e32 v43, vcc, 0, v49, vcc
	v_cmp_ne_u32_e32 vcc, 0, v26
                                        ; implicit-def: $vgpr24
	s_and_saveexec_b64 s[20:21], vcc
	s_xor_b64 s[20:21], exec, s[20:21]
; %bb.4932:                             ;   in Loop: Header=BB6_4548 Depth=2
	v_add_u32_e32 v24, 7, v28
	v_cmp_lt_u64_e32 vcc, s[44:45], v[42:43]
	v_cndmask_b32_e32 v24, v26, v24, vcc
	v_cndmask_b32_e64 v26, 0, 1, vcc
	v_lshrrev_b64 v[42:43], v26, v[42:43]
; %bb.4933:                             ;   in Loop: Header=BB6_4548 Depth=2
	s_andn2_saveexec_b64 s[20:21], s[20:21]
; %bb.4934:                             ;   in Loop: Header=BB6_4548 Depth=2
	v_bfe_u32 v24, v42, 23, 1
; %bb.4935:                             ;   in Loop: Header=BB6_4548 Depth=2
	s_or_b64 exec, exec, s[20:21]
	v_lshrrev_b64 v[28:29], 20, v[42:43]
	v_cmp_gt_i32_e32 vcc, 16, v24
	v_cndmask_b32_e32 v29, 0, v29, vcc
	v_cndmask_b32_e32 v28, 7, v28, vcc
	v_cmp_eq_u32_e32 vcc, 0, v24
	v_min_i32_e32 v24, 15, v24
	v_cmp_eq_u64_e64 s[20:21], 0, v[28:29]
	v_lshlrev_b32_e32 v24, 3, v24
	v_and_or_b32 v24, v28, 7, v24
	s_and_b64 s[20:21], vcc, s[20:21]
	v_cndmask_b32_e64 v24, v24, 0, s[20:21]
	v_or_b32_e32 v26, v24, v3
.LBB6_4936:                             ;   in Loop: Header=BB6_4548 Depth=2
	s_or_b64 exec, exec, s[60:61]
.LBB6_4937:                             ;   in Loop: Header=BB6_4548 Depth=2
	s_or_b64 exec, exec, s[58:59]
                                        ; implicit-def: $vgpr24
.LBB6_4938:                             ;   in Loop: Header=BB6_4548 Depth=2
	s_andn2_saveexec_b64 s[20:21], s[56:57]
; %bb.4939:                             ;   in Loop: Header=BB6_4548 Depth=2
	v_or_b32_sdwa v3, v24, s69 dst_sel:DWORD dst_unused:UNUSED_PAD src0_sel:BYTE_3 src1_sel:DWORD
	v_cmp_eq_u64_e32 vcc, 0, v[36:37]
	v_cndmask_b32_e32 v26, v3, v26, vcc
; %bb.4940:                             ;   in Loop: Header=BB6_4548 Depth=2
	s_or_b64 exec, exec, s[20:21]
	v_lshlrev_b32_e32 v3, 8, v30
	v_lshlrev_b32_e32 v24, 24, v32
	v_perm_b32 v28, v31, v22, s75
	v_or3_b32 v36, v28, v24, v3
	v_cmp_ne_u16_sdwa vcc, v22, v37 src0_sel:BYTE_0 src1_sel:DWORD
	v_mov_b32_e32 v28, 0
	v_mov_b32_e32 v24, 0
	s_and_saveexec_b64 s[20:21], vcc
	s_cbranch_execz .LBB6_4946
; %bb.4941:                             ;   in Loop: Header=BB6_4548 Depth=2
	v_cmp_ne_u16_sdwa vcc, v22, s71 src0_sel:BYTE_0 src1_sel:DWORD
	v_bfrev_b32_e32 v24, 1
	s_and_saveexec_b64 s[56:57], vcc
	s_cbranch_execz .LBB6_4945
; %bb.4942:                             ;   in Loop: Header=BB6_4548 Depth=2
	v_and_b32_e32 v29, 0x7f, v22
	v_cmp_ne_u32_e32 vcc, s69, v29
	v_mov_b32_e32 v24, 0x7f800001
	s_and_saveexec_b64 s[58:59], vcc
	s_cbranch_execz .LBB6_4944
; %bb.4943:                             ;   in Loop: Header=BB6_4548 Depth=2
	v_and_b32_e32 v22, 7, v22
	v_ffbh_u32_e32 v22, v22
	v_min_u32_e32 v22, 32, v22
	v_lshrrev_b32_e32 v24, 3, v29
	v_subrev_u32_e32 v30, 28, v22
	v_sub_u32_e32 v22, 29, v22
	v_cmp_gt_u32_e32 vcc, 8, v29
	v_cndmask_b32_e32 v22, v24, v22, vcc
	v_cndmask_b32_e32 v24, 0, v30, vcc
	v_lshlrev_b64 v[30:31], v24, v[36:37]
	v_lshlrev_b32_e32 v24, 20, v30
	v_lshlrev_b32_e32 v29, 24, v36
	v_and_b32_e32 v24, 0x700000, v24
	v_and_b32_e32 v29, 0x80000000, v29
	v_lshl_add_u32 v22, v22, 23, v21
	v_or3_b32 v24, v29, v22, v24
.LBB6_4944:                             ;   in Loop: Header=BB6_4548 Depth=2
	s_or_b64 exec, exec, s[58:59]
.LBB6_4945:                             ;   in Loop: Header=BB6_4548 Depth=2
	s_or_b64 exec, exec, s[56:57]
.LBB6_4946:                             ;   in Loop: Header=BB6_4548 Depth=2
	s_or_b64 exec, exec, s[20:21]
	v_cmp_ne_u16_sdwa vcc, v11, v37 src0_sel:BYTE_0 src1_sel:DWORD
	s_and_saveexec_b64 s[20:21], vcc
	s_cbranch_execz .LBB6_4952
; %bb.4947:                             ;   in Loop: Header=BB6_4548 Depth=2
	v_cmp_ne_u16_sdwa vcc, v11, s71 src0_sel:BYTE_0 src1_sel:DWORD
	v_bfrev_b32_e32 v28, 1
	s_and_saveexec_b64 s[56:57], vcc
	s_cbranch_execz .LBB6_4951
; %bb.4948:                             ;   in Loop: Header=BB6_4548 Depth=2
	v_and_b32_e32 v22, 0x7f, v11
	v_cmp_ne_u32_e32 vcc, s69, v22
	v_mov_b32_e32 v28, 0x7f800001
	s_and_saveexec_b64 s[58:59], vcc
	s_cbranch_execz .LBB6_4950
; %bb.4949:                             ;   in Loop: Header=BB6_4548 Depth=2
	v_and_b32_e32 v30, 7, v11
	v_ffbh_u32_e32 v30, v30
	v_min_u32_e32 v30, 32, v30
	v_lshrrev_b32_e32 v31, 3, v22
	v_subrev_u32_e32 v32, 28, v30
	v_sub_u32_e32 v30, 29, v30
	v_cmp_gt_u32_e32 vcc, 8, v22
	v_mov_b32_e32 v28, v11
	v_mov_b32_e32 v29, v37
	v_cndmask_b32_e32 v22, v31, v30, vcc
	v_cndmask_b32_e32 v30, 0, v32, vcc
	v_lshlrev_b64 v[30:31], v30, v[28:29]
	v_lshlrev_b32_e32 v29, 20, v30
	v_lshlrev_b32_e32 v28, 24, v28
	v_and_b32_e32 v29, 0x700000, v29
	v_and_b32_e32 v28, 0x80000000, v28
	v_lshl_add_u32 v22, v22, 23, v21
	v_or3_b32 v28, v28, v22, v29
.LBB6_4950:                             ;   in Loop: Header=BB6_4548 Depth=2
	s_or_b64 exec, exec, s[58:59]
.LBB6_4951:                             ;   in Loop: Header=BB6_4548 Depth=2
	s_or_b64 exec, exec, s[56:57]
.LBB6_4952:                             ;   in Loop: Header=BB6_4548 Depth=2
	s_or_b64 exec, exec, s[20:21]
	v_add_f32_e32 v28, v24, v28
	v_and_b32_sdwa v24, v28, s71 dst_sel:DWORD dst_unused:UNUSED_PAD src0_sel:BYTE_3 src1_sel:DWORD
	v_and_b32_e32 v30, 0x7f800000, v28
	v_mov_b32_e32 v31, v37
	v_and_b32_e32 v42, 0x7fffff, v28
	v_mov_b32_e32 v43, v37
	v_or_b32_e32 v22, 0x7e, v24
	v_cmp_ne_u64_e32 vcc, s[38:39], v[30:31]
	s_and_saveexec_b64 s[20:21], vcc
	s_xor_b64 s[56:57], exec, s[20:21]
	s_cbranch_execz .LBB6_4962
; %bb.4953:                             ;   in Loop: Header=BB6_4548 Depth=2
	v_and_b32_e32 v30, 0x7fffffff, v28
	v_mov_b32_e32 v31, v37
	v_cmp_gt_u64_e32 vcc, s[40:41], v[30:31]
	s_and_saveexec_b64 s[58:59], vcc
	s_cbranch_execz .LBB6_4961
; %bb.4954:                             ;   in Loop: Header=BB6_4548 Depth=2
	v_cmp_ne_u32_e32 vcc, 0, v28
	v_mov_b32_e32 v22, 0
	s_and_saveexec_b64 s[60:61], vcc
	s_cbranch_execz .LBB6_4960
; %bb.4955:                             ;   in Loop: Header=BB6_4548 Depth=2
	v_bfe_u32 v22, v28, 23, 8
	v_sub_u32_e32 v29, 0x79, v22
	v_cmp_gt_u32_e32 vcc, s72, v22
	v_add_u32_e32 v28, 0xffffff81, v22
	v_cndmask_b32_e32 v29, 0, v29, vcc
	v_cmp_eq_u32_e32 vcc, 0, v22
	v_mov_b32_e32 v22, 0xffffff82
	v_cndmask_b32_e32 v22, v28, v22, vcc
	v_mov_b32_e32 v28, 0x78
	v_cndmask_b32_e32 v38, v29, v28, vcc
	v_add_u32_e32 v28, 20, v38
	v_or_b32_e32 v30, 0x800000, v42
	v_lshlrev_b64 v[28:29], v28, -1
	v_cndmask_b32_e32 v42, v30, v42, vcc
	v_not_b32_e32 v28, v28
	v_and_b32_e32 v30, v42, v28
	v_add_u32_e32 v28, 19, v38
	v_lshrrev_b64 v[34:35], v38, v[42:43]
	v_not_b32_e32 v29, v29
	v_lshlrev_b64 v[32:33], v28, 1
	v_lshrrev_b32_e32 v28, 23, v34
	v_and_b32_e32 v31, 0, v29
	v_add3_u32 v29, v38, v22, v28
	v_bfe_u32 v22, v34, 20, 1
	v_add_u32_e32 v22, -1, v22
	v_cmp_eq_u64_e32 vcc, v[30:31], v[32:33]
	v_cndmask_b32_e32 v22, 0, v22, vcc
	v_add_u32_e32 v22, v22, v34
	v_and_b32_e32 v22, 0xfffff, v22
	v_add_co_u32_e32 v42, vcc, v22, v34
	v_add_u32_e32 v28, 6, v29
	v_addc_co_u32_e32 v43, vcc, 0, v35, vcc
	v_cmp_ne_u32_e32 vcc, 0, v28
                                        ; implicit-def: $vgpr22
	s_and_saveexec_b64 s[20:21], vcc
	s_xor_b64 s[20:21], exec, s[20:21]
; %bb.4956:                             ;   in Loop: Header=BB6_4548 Depth=2
	v_add_u32_e32 v22, 7, v29
	v_cmp_lt_u64_e32 vcc, s[44:45], v[42:43]
	v_cndmask_b32_e32 v22, v28, v22, vcc
	v_cndmask_b32_e64 v28, 0, 1, vcc
	v_lshrrev_b64 v[42:43], v28, v[42:43]
; %bb.4957:                             ;   in Loop: Header=BB6_4548 Depth=2
	s_andn2_saveexec_b64 s[20:21], s[20:21]
; %bb.4958:                             ;   in Loop: Header=BB6_4548 Depth=2
	v_bfe_u32 v22, v42, 23, 1
; %bb.4959:                             ;   in Loop: Header=BB6_4548 Depth=2
	s_or_b64 exec, exec, s[20:21]
	v_lshrrev_b64 v[28:29], 20, v[42:43]
	v_cmp_gt_i32_e32 vcc, 16, v22
	v_cndmask_b32_e32 v29, 0, v29, vcc
	v_cndmask_b32_e32 v28, 7, v28, vcc
	v_cmp_eq_u32_e32 vcc, 0, v22
	v_min_i32_e32 v22, 15, v22
	v_cmp_eq_u64_e64 s[20:21], 0, v[28:29]
	v_lshlrev_b32_e32 v22, 3, v22
	v_and_or_b32 v22, v28, 7, v22
	s_and_b64 s[20:21], vcc, s[20:21]
	v_cndmask_b32_e64 v22, v22, 0, s[20:21]
	v_or_b32_e32 v22, v22, v24
.LBB6_4960:                             ;   in Loop: Header=BB6_4548 Depth=2
	s_or_b64 exec, exec, s[60:61]
.LBB6_4961:                             ;   in Loop: Header=BB6_4548 Depth=2
	s_or_b64 exec, exec, s[58:59]
                                        ; implicit-def: $vgpr28
                                        ; implicit-def: $vgpr42_vgpr43
.LBB6_4962:                             ;   in Loop: Header=BB6_4548 Depth=2
	s_andn2_saveexec_b64 s[20:21], s[56:57]
; %bb.4963:                             ;   in Loop: Header=BB6_4548 Depth=2
	v_or_b32_sdwa v24, v28, s69 dst_sel:DWORD dst_unused:UNUSED_PAD src0_sel:BYTE_3 src1_sel:DWORD
	v_cmp_eq_u64_e32 vcc, 0, v[42:43]
	v_cndmask_b32_e32 v22, v24, v22, vcc
; %bb.4964:                             ;   in Loop: Header=BB6_4548 Depth=2
	s_or_b64 exec, exec, s[20:21]
	v_lshrrev_b16_e32 v24, 8, v3
	v_cmp_ne_u16_e32 vcc, 0, v24
	v_mov_b32_e32 v28, 0
	v_mov_b32_e32 v29, 0
	s_and_saveexec_b64 s[20:21], vcc
	s_cbranch_execz .LBB6_4970
; %bb.4965:                             ;   in Loop: Header=BB6_4548 Depth=2
	v_cmp_ne_u16_e32 vcc, s71, v24
	v_bfrev_b32_e32 v29, 1
	s_and_saveexec_b64 s[56:57], vcc
	s_cbranch_execz .LBB6_4969
; %bb.4966:                             ;   in Loop: Header=BB6_4548 Depth=2
	v_and_b32_e32 v30, 0x7f, v24
	v_cmp_ne_u32_e32 vcc, s69, v30
	v_mov_b32_e32 v29, 0x7f800001
	s_and_saveexec_b64 s[58:59], vcc
	s_cbranch_execz .LBB6_4968
; %bb.4967:                             ;   in Loop: Header=BB6_4548 Depth=2
	v_and_b32_e32 v29, 7, v24
	v_ffbh_u32_e32 v32, v29
	v_min_u32_e32 v34, 32, v32
	v_subrev_u32_e32 v32, 28, v34
	v_lshlrev_b64 v[32:33], v32, v[24:25]
	v_lshrrev_b32_e32 v31, 3, v30
	v_sub_u32_e32 v24, 29, v34
	v_and_b32_e32 v32, 7, v32
	v_cmp_gt_u32_e32 vcc, 8, v30
	v_cndmask_b32_e32 v24, v31, v24, vcc
	v_cndmask_b32_e32 v29, v29, v32, vcc
	v_lshlrev_b32_e32 v3, 16, v3
	v_lshlrev_b32_e32 v29, 20, v29
	v_and_b32_e32 v3, 0x80000000, v3
	v_lshl_add_u32 v24, v24, 23, v21
	v_or3_b32 v29, v3, v24, v29
.LBB6_4968:                             ;   in Loop: Header=BB6_4548 Depth=2
	s_or_b64 exec, exec, s[58:59]
.LBB6_4969:                             ;   in Loop: Header=BB6_4548 Depth=2
	s_or_b64 exec, exec, s[56:57]
.LBB6_4970:                             ;   in Loop: Header=BB6_4548 Depth=2
	s_or_b64 exec, exec, s[20:21]
	v_mov_b32_e32 v24, v11
	v_lshrrev_b16_e32 v42, 8, v24
	v_cmp_ne_u16_e32 vcc, 0, v42
	s_and_saveexec_b64 s[20:21], vcc
	s_cbranch_execz .LBB6_4976
; %bb.4971:                             ;   in Loop: Header=BB6_4548 Depth=2
	v_cmp_ne_u16_e32 vcc, s71, v42
	v_bfrev_b32_e32 v28, 1
	s_and_saveexec_b64 s[56:57], vcc
	s_cbranch_execz .LBB6_4975
; %bb.4972:                             ;   in Loop: Header=BB6_4548 Depth=2
	v_and_b32_e32 v3, 0x7f, v42
	v_cmp_ne_u32_e32 vcc, s69, v3
	v_mov_b32_e32 v28, 0x7f800001
	s_and_saveexec_b64 s[58:59], vcc
	s_cbranch_execz .LBB6_4974
; %bb.4973:                             ;   in Loop: Header=BB6_4548 Depth=2
	v_and_b32_e32 v28, 7, v42
	v_ffbh_u32_e32 v30, v28
	v_min_u32_e32 v33, 32, v30
	v_subrev_u32_e32 v30, 28, v33
	v_lshlrev_b64 v[30:31], v30, v[42:43]
	v_lshrrev_b32_e32 v32, 3, v3
	v_sub_u32_e32 v31, 29, v33
	v_and_b32_e32 v30, 7, v30
	v_cmp_gt_u32_e32 vcc, 8, v3
	v_cndmask_b32_e32 v3, v32, v31, vcc
	v_cndmask_b32_e32 v28, v28, v30, vcc
	v_lshlrev_b32_e32 v24, 16, v24
	v_lshlrev_b32_e32 v28, 20, v28
	v_and_b32_e32 v24, 0x80000000, v24
	v_lshl_add_u32 v3, v3, 23, v21
	v_or3_b32 v28, v24, v3, v28
.LBB6_4974:                             ;   in Loop: Header=BB6_4548 Depth=2
	s_or_b64 exec, exec, s[58:59]
.LBB6_4975:                             ;   in Loop: Header=BB6_4548 Depth=2
	s_or_b64 exec, exec, s[56:57]
.LBB6_4976:                             ;   in Loop: Header=BB6_4548 Depth=2
	s_or_b64 exec, exec, s[20:21]
	v_add_f32_e32 v24, v29, v28
	v_and_b32_sdwa v3, v24, s71 dst_sel:DWORD dst_unused:UNUSED_PAD src0_sel:BYTE_3 src1_sel:DWORD
	v_and_b32_e32 v28, 0x7f800000, v24
	v_mov_b32_e32 v29, v37
	v_and_b32_e32 v42, 0x7fffff, v24
	v_mov_b32_e32 v43, v37
	v_or_b32_e32 v30, 0x7e, v3
	v_cmp_ne_u64_e32 vcc, s[38:39], v[28:29]
	s_and_saveexec_b64 s[20:21], vcc
	s_xor_b64 s[56:57], exec, s[20:21]
	s_cbranch_execz .LBB6_4986
; %bb.4977:                             ;   in Loop: Header=BB6_4548 Depth=2
	v_and_b32_e32 v28, 0x7fffffff, v24
	v_mov_b32_e32 v29, v37
	v_cmp_gt_u64_e32 vcc, s[40:41], v[28:29]
	s_and_saveexec_b64 s[58:59], vcc
	s_cbranch_execz .LBB6_4985
; %bb.4978:                             ;   in Loop: Header=BB6_4548 Depth=2
	v_cmp_ne_u32_e32 vcc, 0, v24
	v_mov_b32_e32 v30, 0
	s_and_saveexec_b64 s[60:61], vcc
	s_cbranch_execz .LBB6_4984
; %bb.4979:                             ;   in Loop: Header=BB6_4548 Depth=2
	v_bfe_u32 v24, v24, 23, 8
	v_sub_u32_e32 v29, 0x79, v24
	v_cmp_gt_u32_e32 vcc, s72, v24
	v_add_u32_e32 v28, 0xffffff81, v24
	v_cndmask_b32_e32 v29, 0, v29, vcc
	v_cmp_eq_u32_e32 vcc, 0, v24
	v_mov_b32_e32 v24, 0xffffff82
	v_cndmask_b32_e32 v24, v28, v24, vcc
	v_mov_b32_e32 v28, 0x78
	v_cndmask_b32_e32 v38, v29, v28, vcc
	v_add_u32_e32 v28, 20, v38
	v_or_b32_e32 v30, 0x800000, v42
	v_lshlrev_b64 v[28:29], v28, -1
	v_cndmask_b32_e32 v42, v30, v42, vcc
	v_not_b32_e32 v28, v28
	v_and_b32_e32 v30, v42, v28
	v_add_u32_e32 v28, 19, v38
	v_lshrrev_b64 v[34:35], v38, v[42:43]
	v_not_b32_e32 v29, v29
	v_lshlrev_b64 v[32:33], v28, 1
	v_lshrrev_b32_e32 v28, 23, v34
	v_and_b32_e32 v31, 0, v29
	v_add3_u32 v29, v38, v24, v28
	v_bfe_u32 v24, v34, 20, 1
	v_add_u32_e32 v24, -1, v24
	v_cmp_eq_u64_e32 vcc, v[30:31], v[32:33]
	v_cndmask_b32_e32 v24, 0, v24, vcc
	v_add_u32_e32 v24, v24, v34
	v_and_b32_e32 v24, 0xfffff, v24
	v_add_co_u32_e32 v42, vcc, v24, v34
	v_add_u32_e32 v28, 6, v29
	v_addc_co_u32_e32 v43, vcc, 0, v35, vcc
	v_cmp_ne_u32_e32 vcc, 0, v28
                                        ; implicit-def: $vgpr24
	s_and_saveexec_b64 s[20:21], vcc
	s_xor_b64 s[20:21], exec, s[20:21]
; %bb.4980:                             ;   in Loop: Header=BB6_4548 Depth=2
	v_add_u32_e32 v24, 7, v29
	v_cmp_lt_u64_e32 vcc, s[44:45], v[42:43]
	v_cndmask_b32_e32 v24, v28, v24, vcc
	v_cndmask_b32_e64 v28, 0, 1, vcc
	v_lshrrev_b64 v[42:43], v28, v[42:43]
; %bb.4981:                             ;   in Loop: Header=BB6_4548 Depth=2
	s_andn2_saveexec_b64 s[20:21], s[20:21]
; %bb.4982:                             ;   in Loop: Header=BB6_4548 Depth=2
	v_bfe_u32 v24, v42, 23, 1
; %bb.4983:                             ;   in Loop: Header=BB6_4548 Depth=2
	s_or_b64 exec, exec, s[20:21]
	v_lshrrev_b64 v[28:29], 20, v[42:43]
	v_cmp_gt_i32_e32 vcc, 16, v24
	v_cndmask_b32_e32 v29, 0, v29, vcc
	v_cndmask_b32_e32 v28, 7, v28, vcc
	v_cmp_eq_u32_e32 vcc, 0, v24
	v_min_i32_e32 v24, 15, v24
	v_cmp_eq_u64_e64 s[20:21], 0, v[28:29]
	v_lshlrev_b32_e32 v24, 3, v24
	v_and_or_b32 v24, v28, 7, v24
	s_and_b64 s[20:21], vcc, s[20:21]
	v_cndmask_b32_e64 v24, v24, 0, s[20:21]
	v_or_b32_e32 v30, v24, v3
.LBB6_4984:                             ;   in Loop: Header=BB6_4548 Depth=2
	s_or_b64 exec, exec, s[60:61]
.LBB6_4985:                             ;   in Loop: Header=BB6_4548 Depth=2
	s_or_b64 exec, exec, s[58:59]
                                        ; implicit-def: $vgpr24
                                        ; implicit-def: $vgpr42_vgpr43
.LBB6_4986:                             ;   in Loop: Header=BB6_4548 Depth=2
	s_andn2_saveexec_b64 s[20:21], s[56:57]
; %bb.4987:                             ;   in Loop: Header=BB6_4548 Depth=2
	v_or_b32_sdwa v3, v24, s69 dst_sel:DWORD dst_unused:UNUSED_PAD src0_sel:BYTE_3 src1_sel:DWORD
	v_cmp_eq_u64_e32 vcc, 0, v[42:43]
	v_cndmask_b32_e32 v30, v3, v30, vcc
; %bb.4988:                             ;   in Loop: Header=BB6_4548 Depth=2
	s_or_b64 exec, exec, s[20:21]
	v_lshrrev_b32_e32 v24, 16, v36
	v_cmp_ne_u16_sdwa vcc, v24, v37 src0_sel:BYTE_0 src1_sel:DWORD
	v_mov_b32_e32 v3, 0
	v_mov_b32_e32 v28, 0
	s_and_saveexec_b64 s[20:21], vcc
	s_cbranch_execz .LBB6_4994
; %bb.4989:                             ;   in Loop: Header=BB6_4548 Depth=2
	v_cmp_ne_u16_sdwa vcc, v24, s71 src0_sel:BYTE_0 src1_sel:DWORD
	v_bfrev_b32_e32 v28, 1
	s_and_saveexec_b64 s[56:57], vcc
	s_cbranch_execz .LBB6_4993
; %bb.4990:                             ;   in Loop: Header=BB6_4548 Depth=2
	v_bfe_u32 v29, v36, 16, 7
	v_cmp_ne_u32_e32 vcc, s69, v29
	v_mov_b32_e32 v28, 0x7f800001
	s_and_saveexec_b64 s[58:59], vcc
	s_cbranch_execz .LBB6_4992
; %bb.4991:                             ;   in Loop: Header=BB6_4548 Depth=2
	v_and_b32_e32 v28, 7, v24
	v_ffbh_u32_e32 v32, v28
	v_min_u32_e32 v34, 32, v32
	v_subrev_u32_e32 v32, 28, v34
	v_lshlrev_b64 v[32:33], v32, v[24:25]
	v_lshrrev_b32_e32 v31, 3, v29
	v_sub_u32_e32 v33, 29, v34
	v_and_b32_e32 v32, 7, v32
	v_cmp_gt_u32_e32 vcc, 8, v29
	v_cndmask_b32_e32 v29, v31, v33, vcc
	v_cndmask_b32_e32 v28, v28, v32, vcc
	v_lshlrev_b32_e32 v24, 24, v24
	v_lshlrev_b32_e32 v28, 20, v28
	v_and_b32_e32 v24, 0x80000000, v24
	v_lshl_add_u32 v29, v29, 23, v21
	v_or3_b32 v28, v24, v29, v28
.LBB6_4992:                             ;   in Loop: Header=BB6_4548 Depth=2
	s_or_b64 exec, exec, s[58:59]
.LBB6_4993:                             ;   in Loop: Header=BB6_4548 Depth=2
	s_or_b64 exec, exec, s[56:57]
.LBB6_4994:                             ;   in Loop: Header=BB6_4548 Depth=2
	s_or_b64 exec, exec, s[20:21]
	v_lshrrev_b32_e32 v24, 16, v11
	v_cmp_ne_u16_sdwa vcc, v24, v37 src0_sel:BYTE_0 src1_sel:DWORD
	s_and_saveexec_b64 s[20:21], vcc
	s_cbranch_execz .LBB6_5000
; %bb.4995:                             ;   in Loop: Header=BB6_4548 Depth=2
	v_cmp_ne_u16_sdwa vcc, v24, s71 src0_sel:BYTE_0 src1_sel:DWORD
	v_bfrev_b32_e32 v3, 1
	s_and_saveexec_b64 s[56:57], vcc
	s_cbranch_execz .LBB6_4999
; %bb.4996:                             ;   in Loop: Header=BB6_4548 Depth=2
	v_bfe_u32 v29, v11, 16, 7
	v_cmp_ne_u32_e32 vcc, s69, v29
	v_mov_b32_e32 v3, 0x7f800001
	s_and_saveexec_b64 s[58:59], vcc
	s_cbranch_execz .LBB6_4998
; %bb.4997:                             ;   in Loop: Header=BB6_4548 Depth=2
	v_and_b32_e32 v3, 7, v24
	v_ffbh_u32_e32 v32, v3
	v_min_u32_e32 v34, 32, v32
	v_subrev_u32_e32 v32, 28, v34
	v_lshlrev_b64 v[32:33], v32, v[24:25]
	v_lshrrev_b32_e32 v31, 3, v29
	v_sub_u32_e32 v24, 29, v34
	v_and_b32_e32 v32, 7, v32
	v_cmp_gt_u32_e32 vcc, 8, v29
	v_cndmask_b32_e32 v24, v31, v24, vcc
	v_cndmask_b32_e32 v3, v3, v32, vcc
	v_lshlrev_b32_e32 v29, 8, v11
	v_lshlrev_b32_e32 v3, 20, v3
	v_and_b32_e32 v29, 0x80000000, v29
	v_lshl_add_u32 v24, v24, 23, v21
	v_or3_b32 v3, v29, v24, v3
.LBB6_4998:                             ;   in Loop: Header=BB6_4548 Depth=2
	s_or_b64 exec, exec, s[58:59]
.LBB6_4999:                             ;   in Loop: Header=BB6_4548 Depth=2
	s_or_b64 exec, exec, s[56:57]
.LBB6_5000:                             ;   in Loop: Header=BB6_4548 Depth=2
	s_or_b64 exec, exec, s[20:21]
	v_add_f32_e32 v24, v28, v3
	v_and_b32_sdwa v3, v24, s71 dst_sel:DWORD dst_unused:UNUSED_PAD src0_sel:BYTE_3 src1_sel:DWORD
	v_and_b32_e32 v28, 0x7f800000, v24
	v_mov_b32_e32 v29, v37
	v_and_b32_e32 v42, 0x7fffff, v24
	v_mov_b32_e32 v43, v37
	v_or_b32_e32 v31, 0x7e, v3
	v_cmp_ne_u64_e32 vcc, s[38:39], v[28:29]
	s_and_saveexec_b64 s[20:21], vcc
	s_xor_b64 s[56:57], exec, s[20:21]
	s_cbranch_execz .LBB6_5010
; %bb.5001:                             ;   in Loop: Header=BB6_4548 Depth=2
	v_and_b32_e32 v28, 0x7fffffff, v24
	v_mov_b32_e32 v29, v37
	v_cmp_gt_u64_e32 vcc, s[40:41], v[28:29]
	s_and_saveexec_b64 s[58:59], vcc
	s_cbranch_execz .LBB6_5009
; %bb.5002:                             ;   in Loop: Header=BB6_4548 Depth=2
	v_cmp_ne_u32_e32 vcc, 0, v24
	v_mov_b32_e32 v31, 0
	s_and_saveexec_b64 s[60:61], vcc
	s_cbranch_execz .LBB6_5008
; %bb.5003:                             ;   in Loop: Header=BB6_4548 Depth=2
	v_bfe_u32 v24, v24, 23, 8
	v_sub_u32_e32 v29, 0x79, v24
	v_cmp_gt_u32_e32 vcc, s72, v24
	v_add_u32_e32 v28, 0xffffff81, v24
	v_cndmask_b32_e32 v29, 0, v29, vcc
	v_cmp_eq_u32_e32 vcc, 0, v24
	v_mov_b32_e32 v24, 0xffffff82
	v_cndmask_b32_e32 v24, v28, v24, vcc
	v_mov_b32_e32 v28, 0x78
	v_cndmask_b32_e32 v48, v29, v28, vcc
	v_add_u32_e32 v28, 20, v48
	v_or_b32_e32 v31, 0x800000, v42
	v_lshlrev_b64 v[28:29], v28, -1
	v_cndmask_b32_e32 v42, v31, v42, vcc
	v_not_b32_e32 v28, v28
	v_and_b32_e32 v32, v42, v28
	v_add_u32_e32 v28, 19, v48
	v_lshrrev_b64 v[38:39], v48, v[42:43]
	v_not_b32_e32 v29, v29
	v_lshlrev_b64 v[34:35], v28, 1
	v_lshrrev_b32_e32 v28, 23, v38
	v_and_b32_e32 v33, 0, v29
	v_add3_u32 v29, v48, v24, v28
	v_bfe_u32 v24, v38, 20, 1
	v_add_u32_e32 v24, -1, v24
	v_cmp_eq_u64_e32 vcc, v[32:33], v[34:35]
	v_cndmask_b32_e32 v24, 0, v24, vcc
	v_add_u32_e32 v24, v24, v38
	v_and_b32_e32 v24, 0xfffff, v24
	v_add_co_u32_e32 v42, vcc, v24, v38
	v_add_u32_e32 v28, 6, v29
	v_addc_co_u32_e32 v43, vcc, 0, v39, vcc
	v_cmp_ne_u32_e32 vcc, 0, v28
                                        ; implicit-def: $vgpr24
	s_and_saveexec_b64 s[20:21], vcc
	s_xor_b64 s[20:21], exec, s[20:21]
; %bb.5004:                             ;   in Loop: Header=BB6_4548 Depth=2
	v_add_u32_e32 v24, 7, v29
	v_cmp_lt_u64_e32 vcc, s[44:45], v[42:43]
	v_cndmask_b32_e32 v24, v28, v24, vcc
	v_cndmask_b32_e64 v28, 0, 1, vcc
	v_lshrrev_b64 v[42:43], v28, v[42:43]
; %bb.5005:                             ;   in Loop: Header=BB6_4548 Depth=2
	s_andn2_saveexec_b64 s[20:21], s[20:21]
; %bb.5006:                             ;   in Loop: Header=BB6_4548 Depth=2
	v_bfe_u32 v24, v42, 23, 1
; %bb.5007:                             ;   in Loop: Header=BB6_4548 Depth=2
	s_or_b64 exec, exec, s[20:21]
	v_lshrrev_b64 v[28:29], 20, v[42:43]
	v_cmp_gt_i32_e32 vcc, 16, v24
	v_cndmask_b32_e32 v29, 0, v29, vcc
	v_cndmask_b32_e32 v28, 7, v28, vcc
	v_cmp_eq_u32_e32 vcc, 0, v24
	v_min_i32_e32 v24, 15, v24
	v_lshlrev_b32_e32 v24, 3, v24
	v_cmp_eq_u64_e64 s[20:21], 0, v[28:29]
	v_and_b32_e32 v24, 0xf8, v24
	v_and_or_b32 v24, v28, 7, v24
	s_and_b64 s[20:21], vcc, s[20:21]
	v_cndmask_b32_e64 v24, v24, 0, s[20:21]
	v_or_b32_e32 v31, v24, v3
.LBB6_5008:                             ;   in Loop: Header=BB6_4548 Depth=2
	s_or_b64 exec, exec, s[60:61]
.LBB6_5009:                             ;   in Loop: Header=BB6_4548 Depth=2
	s_or_b64 exec, exec, s[58:59]
                                        ; implicit-def: $vgpr24
                                        ; implicit-def: $vgpr42_vgpr43
.LBB6_5010:                             ;   in Loop: Header=BB6_4548 Depth=2
	s_andn2_saveexec_b64 s[20:21], s[56:57]
; %bb.5011:                             ;   in Loop: Header=BB6_4548 Depth=2
	v_or_b32_sdwa v3, v24, s69 dst_sel:DWORD dst_unused:UNUSED_PAD src0_sel:BYTE_3 src1_sel:DWORD
	v_cmp_eq_u64_e32 vcc, 0, v[42:43]
	v_cndmask_b32_e32 v31, v3, v31, vcc
; %bb.5012:                             ;   in Loop: Header=BB6_4548 Depth=2
	s_or_b64 exec, exec, s[20:21]
	v_cmp_lt_u32_e32 vcc, s43, v36
	v_mov_b32_e32 v3, 0
	v_mov_b32_e32 v28, 0
	s_and_saveexec_b64 s[20:21], vcc
	s_cbranch_execz .LBB6_5018
; %bb.5013:                             ;   in Loop: Header=BB6_4548 Depth=2
	v_lshrrev_b32_e32 v24, 24, v36
	v_cmp_ne_u32_sdwa vcc, v36, s71 src0_sel:BYTE_3 src1_sel:DWORD
	v_bfrev_b32_e32 v28, 1
	s_and_saveexec_b64 s[56:57], vcc
	s_cbranch_execz .LBB6_5017
; %bb.5014:                             ;   in Loop: Header=BB6_4548 Depth=2
	v_bfe_u32 v29, v36, 24, 7
	v_cmp_ne_u32_e32 vcc, s69, v29
	v_mov_b32_e32 v28, 0x7f800001
	s_and_saveexec_b64 s[58:59], vcc
	s_cbranch_execz .LBB6_5016
; %bb.5015:                             ;   in Loop: Header=BB6_4548 Depth=2
	v_and_b32_e32 v28, 7, v24
	v_ffbh_u32_e32 v32, v28
	v_min_u32_e32 v35, 32, v32
	v_subrev_u32_e32 v32, 28, v35
	v_lshlrev_b64 v[32:33], v32, v[24:25]
	v_lshrrev_b32_e32 v34, 3, v29
	v_sub_u32_e32 v24, 29, v35
	v_and_b32_e32 v32, 7, v32
	v_cmp_gt_u32_e32 vcc, 8, v29
	v_mov_b32_e32 v29, 24
	v_cndmask_b32_e32 v24, v34, v24, vcc
	v_cndmask_b32_e32 v28, v28, v32, vcc
	v_lshlrev_b32_sdwa v29, v29, v36 dst_sel:DWORD dst_unused:UNUSED_PAD src0_sel:DWORD src1_sel:BYTE_3
	v_lshlrev_b32_e32 v28, 20, v28
	v_and_b32_e32 v29, 0x80000000, v29
	v_lshl_add_u32 v24, v24, 23, v21
	v_or3_b32 v28, v29, v24, v28
.LBB6_5016:                             ;   in Loop: Header=BB6_4548 Depth=2
	s_or_b64 exec, exec, s[58:59]
.LBB6_5017:                             ;   in Loop: Header=BB6_4548 Depth=2
	s_or_b64 exec, exec, s[56:57]
.LBB6_5018:                             ;   in Loop: Header=BB6_4548 Depth=2
	s_or_b64 exec, exec, s[20:21]
	v_cmp_lt_u64_e32 vcc, s[42:43], v[10:11]
	s_and_saveexec_b64 s[20:21], vcc
	s_cbranch_execz .LBB6_5024
; %bb.5019:                             ;   in Loop: Header=BB6_4548 Depth=2
	v_lshrrev_b32_e32 v10, 24, v11
	v_cmp_ne_u32_e32 vcc, s71, v10
	v_bfrev_b32_e32 v3, 1
	s_and_saveexec_b64 s[56:57], vcc
	s_cbranch_execz .LBB6_5023
; %bb.5020:                             ;   in Loop: Header=BB6_4548 Depth=2
	v_bfe_u32 v11, v11, 24, 7
	v_cmp_ne_u32_e32 vcc, s69, v11
	v_mov_b32_e32 v3, 0x7f800001
	s_and_saveexec_b64 s[58:59], vcc
	s_cbranch_execz .LBB6_5022
; %bb.5021:                             ;   in Loop: Header=BB6_4548 Depth=2
	v_and_b32_e32 v3, 7, v10
	v_ffbh_u32_e32 v29, v3
	v_min_u32_e32 v29, 32, v29
	v_subrev_u32_e32 v32, 28, v29
	v_lshlrev_b64 v[32:33], v32, v[10:11]
	v_lshrrev_b32_e32 v24, 3, v11
	v_sub_u32_e32 v29, 29, v29
	v_and_b32_e32 v32, 7, v32
	v_cmp_gt_u32_e32 vcc, 8, v11
	v_cndmask_b32_e32 v11, v24, v29, vcc
	v_cndmask_b32_e32 v3, v3, v32, vcc
	v_lshlrev_b32_e32 v10, 24, v10
	v_lshlrev_b32_e32 v3, 20, v3
	v_and_b32_e32 v10, 0x80000000, v10
	v_lshl_add_u32 v11, v11, 23, v21
	v_or3_b32 v3, v10, v11, v3
.LBB6_5022:                             ;   in Loop: Header=BB6_4548 Depth=2
	s_or_b64 exec, exec, s[58:59]
.LBB6_5023:                             ;   in Loop: Header=BB6_4548 Depth=2
	s_or_b64 exec, exec, s[56:57]
.LBB6_5024:                             ;   in Loop: Header=BB6_4548 Depth=2
	s_or_b64 exec, exec, s[20:21]
	v_add_f32_e32 v10, v28, v3
	v_and_b32_sdwa v3, v10, s71 dst_sel:DWORD dst_unused:UNUSED_PAD src0_sel:BYTE_3 src1_sel:DWORD
	v_and_b32_e32 v28, 0x7f800000, v10
	v_mov_b32_e32 v29, v37
	v_and_b32_e32 v36, 0x7fffff, v10
	v_or_b32_e32 v24, 0x7e, v3
	v_cmp_ne_u64_e32 vcc, s[38:39], v[28:29]
	s_and_saveexec_b64 s[20:21], vcc
	s_xor_b64 s[56:57], exec, s[20:21]
	s_cbranch_execz .LBB6_5034
; %bb.5025:                             ;   in Loop: Header=BB6_4548 Depth=2
	v_and_b32_e32 v28, 0x7fffffff, v10
	v_mov_b32_e32 v29, v37
	v_cmp_gt_u64_e32 vcc, s[40:41], v[28:29]
	s_and_saveexec_b64 s[58:59], vcc
	s_cbranch_execz .LBB6_5033
; %bb.5026:                             ;   in Loop: Header=BB6_4548 Depth=2
	v_cmp_ne_u32_e32 vcc, 0, v10
	v_mov_b32_e32 v24, 0
	s_and_saveexec_b64 s[60:61], vcc
	s_cbranch_execz .LBB6_5032
; %bb.5027:                             ;   in Loop: Header=BB6_4548 Depth=2
	v_bfe_u32 v10, v10, 23, 8
	v_sub_u32_e32 v24, 0x79, v10
	v_cmp_gt_u32_e32 vcc, s72, v10
	v_add_u32_e32 v11, 0xffffff81, v10
	v_cndmask_b32_e32 v24, 0, v24, vcc
	v_cmp_eq_u32_e32 vcc, 0, v10
	v_mov_b32_e32 v10, 0xffffff82
	v_cndmask_b32_e32 v29, v11, v10, vcc
	v_mov_b32_e32 v10, 0x78
	v_or_b32_e32 v28, 0x800000, v36
	v_cndmask_b32_e32 v24, v24, v10, vcc
	v_cndmask_b32_e32 v36, v28, v36, vcc
	v_add_u32_e32 v10, 20, v24
	v_lshlrev_b64 v[10:11], v10, -1
	v_add_u32_e32 v28, 19, v24
	v_lshrrev_b64 v[34:35], v24, v[36:37]
	v_not_b32_e32 v11, v11
	v_not_b32_e32 v10, v10
	v_lshlrev_b64 v[32:33], v28, 1
	v_lshrrev_b32_e32 v28, 23, v34
	v_and_b32_e32 v11, 0, v11
	v_and_b32_e32 v10, v36, v10
	v_add3_u32 v29, v24, v29, v28
	v_bfe_u32 v24, v34, 20, 1
	v_add_u32_e32 v24, -1, v24
	v_cmp_eq_u64_e32 vcc, v[10:11], v[32:33]
	v_cndmask_b32_e32 v10, 0, v24, vcc
	v_add_u32_e32 v10, v10, v34
	v_and_b32_e32 v10, 0xfffff, v10
	v_add_co_u32_e32 v10, vcc, v10, v34
	v_add_u32_e32 v28, 6, v29
	v_addc_co_u32_e32 v11, vcc, 0, v35, vcc
	v_cmp_ne_u32_e32 vcc, 0, v28
                                        ; implicit-def: $vgpr24
	s_and_saveexec_b64 s[20:21], vcc
	s_xor_b64 s[20:21], exec, s[20:21]
; %bb.5028:                             ;   in Loop: Header=BB6_4548 Depth=2
	v_add_u32_e32 v24, 7, v29
	v_cmp_lt_u64_e32 vcc, s[44:45], v[10:11]
	v_cndmask_b32_e32 v24, v28, v24, vcc
	v_cndmask_b32_e64 v28, 0, 1, vcc
	v_lshrrev_b64 v[10:11], v28, v[10:11]
; %bb.5029:                             ;   in Loop: Header=BB6_4548 Depth=2
	s_andn2_saveexec_b64 s[20:21], s[20:21]
; %bb.5030:                             ;   in Loop: Header=BB6_4548 Depth=2
	v_bfe_u32 v24, v10, 23, 1
; %bb.5031:                             ;   in Loop: Header=BB6_4548 Depth=2
	s_or_b64 exec, exec, s[20:21]
	v_lshrrev_b64 v[10:11], 20, v[10:11]
	v_cmp_gt_i32_e32 vcc, 16, v24
	v_cndmask_b32_e32 v11, 0, v11, vcc
	v_cndmask_b32_e32 v10, 7, v10, vcc
	v_cmp_eq_u64_e64 s[20:21], 0, v[10:11]
	v_min_i32_e32 v11, 15, v24
	v_lshlrev_b32_e32 v11, 3, v11
	v_cmp_eq_u32_e32 vcc, 0, v24
	v_and_b32_e32 v11, 0xf8, v11
	v_and_or_b32 v10, v10, 7, v11
	s_and_b64 s[20:21], vcc, s[20:21]
	v_cndmask_b32_e64 v10, v10, 0, s[20:21]
	v_or_b32_e32 v24, v10, v3
.LBB6_5032:                             ;   in Loop: Header=BB6_4548 Depth=2
	s_or_b64 exec, exec, s[60:61]
.LBB6_5033:                             ;   in Loop: Header=BB6_4548 Depth=2
	s_or_b64 exec, exec, s[58:59]
                                        ; implicit-def: $vgpr10
.LBB6_5034:                             ;   in Loop: Header=BB6_4548 Depth=2
	s_andn2_saveexec_b64 s[20:21], s[56:57]
; %bb.5035:                             ;   in Loop: Header=BB6_4548 Depth=2
	v_or_b32_sdwa v3, v10, s69 dst_sel:DWORD dst_unused:UNUSED_PAD src0_sel:BYTE_3 src1_sel:DWORD
	v_cmp_eq_u64_e32 vcc, 0, v[36:37]
	v_cndmask_b32_e32 v24, v3, v24, vcc
; %bb.5036:                             ;   in Loop: Header=BB6_4548 Depth=2
	s_or_b64 exec, exec, s[20:21]
	v_lshlrev_b32_e32 v3, 8, v25
	v_cmp_ne_u16_sdwa vcc, v15, v37 src0_sel:BYTE_0 src1_sel:DWORD
	v_mov_b32_e32 v10, 0
	v_mov_b32_e32 v11, 0
	s_and_saveexec_b64 s[20:21], vcc
	s_cbranch_execz .LBB6_5042
; %bb.5037:                             ;   in Loop: Header=BB6_4548 Depth=2
	v_cmp_ne_u16_sdwa vcc, v15, s71 src0_sel:BYTE_0 src1_sel:DWORD
	v_bfrev_b32_e32 v11, 1
	s_and_saveexec_b64 s[56:57], vcc
	s_cbranch_execz .LBB6_5041
; %bb.5038:                             ;   in Loop: Header=BB6_4548 Depth=2
	v_and_b32_e32 v25, 0x7f, v15
	v_cmp_ne_u32_e32 vcc, s69, v25
	v_mov_b32_e32 v11, 0x7f800001
	s_and_saveexec_b64 s[58:59], vcc
	s_cbranch_execz .LBB6_5040
; %bb.5039:                             ;   in Loop: Header=BB6_4548 Depth=2
	v_and_b32_e32 v11, 7, v15
	v_ffbh_u32_e32 v11, v11
	v_min_u32_e32 v11, 32, v11
	v_subrev_u32_e32 v32, 28, v11
	v_cmp_gt_u32_e32 vcc, 8, v25
	v_lshrrev_b32_e32 v29, 3, v25
	v_perm_b32 v28, v3, v15, s73
	v_sub_u32_e32 v11, 29, v11
	v_cndmask_b32_e32 v25, 0, v32, vcc
	v_cndmask_b32_e32 v11, v29, v11, vcc
	v_lshlrev_b64 v[28:29], v25, v[28:29]
	v_lshlrev_b32_e32 v25, 20, v28
	v_lshlrev_b32_e32 v15, 24, v15
	v_and_b32_e32 v25, 0x700000, v25
	v_and_b32_e32 v15, 0x80000000, v15
	v_lshl_add_u32 v11, v11, 23, v21
	v_or3_b32 v11, v15, v11, v25
.LBB6_5040:                             ;   in Loop: Header=BB6_4548 Depth=2
	s_or_b64 exec, exec, s[58:59]
.LBB6_5041:                             ;   in Loop: Header=BB6_4548 Depth=2
	s_or_b64 exec, exec, s[56:57]
.LBB6_5042:                             ;   in Loop: Header=BB6_4548 Depth=2
	s_or_b64 exec, exec, s[20:21]
	v_cmp_ne_u16_sdwa vcc, v12, v37 src0_sel:BYTE_0 src1_sel:DWORD
	s_and_saveexec_b64 s[20:21], vcc
	s_cbranch_execz .LBB6_5048
; %bb.5043:                             ;   in Loop: Header=BB6_4548 Depth=2
	v_cmp_ne_u16_sdwa vcc, v12, s71 src0_sel:BYTE_0 src1_sel:DWORD
	v_bfrev_b32_e32 v10, 1
	s_and_saveexec_b64 s[56:57], vcc
	s_cbranch_execz .LBB6_5047
; %bb.5044:                             ;   in Loop: Header=BB6_4548 Depth=2
	v_and_b32_e32 v15, 0x7f, v12
	v_cmp_ne_u32_e32 vcc, s69, v15
	v_mov_b32_e32 v10, 0x7f800001
	s_and_saveexec_b64 s[58:59], vcc
	s_cbranch_execz .LBB6_5046
; %bb.5045:                             ;   in Loop: Header=BB6_4548 Depth=2
	v_and_b32_e32 v10, 7, v12
	v_ffbh_u32_e32 v10, v10
	v_min_u32_e32 v10, 32, v10
	v_subrev_u32_e32 v28, 28, v10
	v_cmp_gt_u32_e32 vcc, 8, v15
	v_lshrrev_b32_e32 v25, 3, v15
	v_cndmask_b32_e32 v15, 0, v28, vcc
	v_sub_u32_e32 v10, 29, v10
	v_lshlrev_b64 v[28:29], v15, v[12:13]
	v_cndmask_b32_e32 v10, v25, v10, vcc
	v_lshlrev_b32_e32 v15, 20, v28
	v_lshlrev_b32_e32 v25, 24, v12
	v_and_b32_e32 v15, 0x700000, v15
	v_and_b32_e32 v25, 0x80000000, v25
	v_lshl_add_u32 v10, v10, 23, v21
	v_or3_b32 v10, v25, v10, v15
.LBB6_5046:                             ;   in Loop: Header=BB6_4548 Depth=2
	s_or_b64 exec, exec, s[58:59]
.LBB6_5047:                             ;   in Loop: Header=BB6_4548 Depth=2
	s_or_b64 exec, exec, s[56:57]
.LBB6_5048:                             ;   in Loop: Header=BB6_4548 Depth=2
	s_or_b64 exec, exec, s[20:21]
	v_add_f32_e32 v10, v11, v10
	v_and_b32_sdwa v25, v10, s71 dst_sel:DWORD dst_unused:UNUSED_PAD src0_sel:BYTE_3 src1_sel:DWORD
	v_and_b32_e32 v28, 0x7f800000, v10
	v_mov_b32_e32 v29, v37
	v_and_b32_e32 v36, 0x7fffff, v10
	v_or_b32_e32 v15, 0x7e, v25
	v_cmp_ne_u64_e32 vcc, s[38:39], v[28:29]
	s_and_saveexec_b64 s[20:21], vcc
	s_xor_b64 s[56:57], exec, s[20:21]
	s_cbranch_execz .LBB6_5058
; %bb.5049:                             ;   in Loop: Header=BB6_4548 Depth=2
	v_and_b32_e32 v28, 0x7fffffff, v10
	v_mov_b32_e32 v29, v37
	v_cmp_gt_u64_e32 vcc, s[40:41], v[28:29]
	s_and_saveexec_b64 s[58:59], vcc
	s_cbranch_execz .LBB6_5057
; %bb.5050:                             ;   in Loop: Header=BB6_4548 Depth=2
	v_cmp_ne_u32_e32 vcc, 0, v10
	v_mov_b32_e32 v15, 0
	s_and_saveexec_b64 s[60:61], vcc
	s_cbranch_execz .LBB6_5056
; %bb.5051:                             ;   in Loop: Header=BB6_4548 Depth=2
	v_bfe_u32 v10, v10, 23, 8
	v_sub_u32_e32 v15, 0x79, v10
	v_cmp_gt_u32_e32 vcc, s72, v10
	v_add_u32_e32 v11, 0xffffff81, v10
	v_cndmask_b32_e32 v15, 0, v15, vcc
	v_cmp_eq_u32_e32 vcc, 0, v10
	v_mov_b32_e32 v10, 0xffffff82
	v_cndmask_b32_e32 v29, v11, v10, vcc
	v_mov_b32_e32 v10, 0x78
	v_or_b32_e32 v28, 0x800000, v36
	v_cndmask_b32_e32 v15, v15, v10, vcc
	v_cndmask_b32_e32 v36, v28, v36, vcc
	v_add_u32_e32 v10, 20, v15
	v_lshlrev_b64 v[10:11], v10, -1
	v_add_u32_e32 v28, 19, v15
	v_lshrrev_b64 v[34:35], v15, v[36:37]
	v_not_b32_e32 v11, v11
	v_not_b32_e32 v10, v10
	v_lshlrev_b64 v[32:33], v28, 1
	v_lshrrev_b32_e32 v28, 23, v34
	v_and_b32_e32 v11, 0, v11
	v_and_b32_e32 v10, v36, v10
	v_add3_u32 v29, v15, v29, v28
	v_bfe_u32 v15, v34, 20, 1
	v_add_u32_e32 v15, -1, v15
	v_cmp_eq_u64_e32 vcc, v[10:11], v[32:33]
	v_cndmask_b32_e32 v10, 0, v15, vcc
	v_add_u32_e32 v10, v10, v34
	v_and_b32_e32 v10, 0xfffff, v10
	v_add_co_u32_e32 v10, vcc, v10, v34
	v_add_u32_e32 v28, 6, v29
	v_addc_co_u32_e32 v11, vcc, 0, v35, vcc
	v_cmp_ne_u32_e32 vcc, 0, v28
                                        ; implicit-def: $vgpr15
	s_and_saveexec_b64 s[20:21], vcc
	s_xor_b64 s[20:21], exec, s[20:21]
; %bb.5052:                             ;   in Loop: Header=BB6_4548 Depth=2
	v_add_u32_e32 v15, 7, v29
	v_cmp_lt_u64_e32 vcc, s[44:45], v[10:11]
	v_cndmask_b32_e32 v15, v28, v15, vcc
	v_cndmask_b32_e64 v28, 0, 1, vcc
	v_lshrrev_b64 v[10:11], v28, v[10:11]
; %bb.5053:                             ;   in Loop: Header=BB6_4548 Depth=2
	s_andn2_saveexec_b64 s[20:21], s[20:21]
; %bb.5054:                             ;   in Loop: Header=BB6_4548 Depth=2
	v_bfe_u32 v15, v10, 23, 1
; %bb.5055:                             ;   in Loop: Header=BB6_4548 Depth=2
	s_or_b64 exec, exec, s[20:21]
	v_lshrrev_b64 v[10:11], 20, v[10:11]
	v_cmp_gt_i32_e32 vcc, 16, v15
	v_cndmask_b32_e32 v11, 0, v11, vcc
	v_cndmask_b32_e32 v10, 7, v10, vcc
	v_cmp_eq_u64_e64 s[20:21], 0, v[10:11]
	v_min_i32_e32 v11, 15, v15
	v_cmp_eq_u32_e32 vcc, 0, v15
	v_lshlrev_b32_e32 v11, 3, v11
	v_and_or_b32 v10, v10, 7, v11
	s_and_b64 s[20:21], vcc, s[20:21]
	v_cndmask_b32_e64 v10, v10, 0, s[20:21]
	v_or_b32_e32 v15, v10, v25
.LBB6_5056:                             ;   in Loop: Header=BB6_4548 Depth=2
	s_or_b64 exec, exec, s[60:61]
.LBB6_5057:                             ;   in Loop: Header=BB6_4548 Depth=2
	s_or_b64 exec, exec, s[58:59]
                                        ; implicit-def: $vgpr10
.LBB6_5058:                             ;   in Loop: Header=BB6_4548 Depth=2
	s_andn2_saveexec_b64 s[20:21], s[56:57]
; %bb.5059:                             ;   in Loop: Header=BB6_4548 Depth=2
	v_or_b32_sdwa v10, v10, s69 dst_sel:DWORD dst_unused:UNUSED_PAD src0_sel:BYTE_3 src1_sel:DWORD
	v_cmp_eq_u64_e32 vcc, 0, v[36:37]
	v_cndmask_b32_e32 v15, v10, v15, vcc
; %bb.5060:                             ;   in Loop: Header=BB6_4548 Depth=2
	s_or_b64 exec, exec, s[20:21]
	v_lshrrev_b16_e32 v10, 8, v3
	v_cmp_ne_u16_e32 vcc, 0, v10
	v_mov_b32_e32 v11, 0
	v_mov_b32_e32 v25, 0
	s_and_saveexec_b64 s[20:21], vcc
	s_cbranch_execz .LBB6_5066
; %bb.5061:                             ;   in Loop: Header=BB6_4548 Depth=2
	v_cmp_ne_u16_e32 vcc, s71, v10
	v_bfrev_b32_e32 v25, 1
	s_and_saveexec_b64 s[56:57], vcc
	s_cbranch_execz .LBB6_5065
; %bb.5062:                             ;   in Loop: Header=BB6_4548 Depth=2
	v_and_b32_e32 v28, 0x7f, v10
	v_cmp_ne_u32_e32 vcc, s69, v28
	v_mov_b32_e32 v25, 0x7f800001
	s_and_saveexec_b64 s[58:59], vcc
	s_cbranch_execz .LBB6_5064
; %bb.5063:                             ;   in Loop: Header=BB6_4548 Depth=2
	v_and_b32_e32 v25, 7, v10
	v_ffbh_u32_e32 v32, v25
	v_min_u32_e32 v34, 32, v32
	v_subrev_u32_e32 v32, 28, v34
	v_lshlrev_b64 v[32:33], v32, v[10:11]
	v_lshrrev_b32_e32 v29, 3, v28
	v_sub_u32_e32 v10, 29, v34
	v_and_b32_e32 v32, 7, v32
	v_cmp_gt_u32_e32 vcc, 8, v28
	v_cndmask_b32_e32 v10, v29, v10, vcc
	v_cndmask_b32_e32 v25, v25, v32, vcc
	v_lshlrev_b32_e32 v3, 16, v3
	v_lshlrev_b32_e32 v25, 20, v25
	v_and_b32_e32 v3, 0x80000000, v3
	v_lshl_add_u32 v10, v10, 23, v21
	v_or3_b32 v25, v3, v10, v25
.LBB6_5064:                             ;   in Loop: Header=BB6_4548 Depth=2
	s_or_b64 exec, exec, s[58:59]
.LBB6_5065:                             ;   in Loop: Header=BB6_4548 Depth=2
	s_or_b64 exec, exec, s[56:57]
.LBB6_5066:                             ;   in Loop: Header=BB6_4548 Depth=2
	s_or_b64 exec, exec, s[20:21]
	v_lshrrev_b16_e32 v10, 8, v12
	v_cmp_ne_u16_e32 vcc, 0, v10
	s_and_saveexec_b64 s[20:21], vcc
	s_cbranch_execz .LBB6_5072
; %bb.5067:                             ;   in Loop: Header=BB6_4548 Depth=2
	v_cmp_ne_u16_e32 vcc, s71, v10
	v_bfrev_b32_e32 v11, 1
	s_and_saveexec_b64 s[56:57], vcc
	s_cbranch_execz .LBB6_5071
; %bb.5068:                             ;   in Loop: Header=BB6_4548 Depth=2
	v_and_b32_e32 v3, 0x7f, v10
	v_cmp_ne_u32_e32 vcc, s69, v3
	v_mov_b32_e32 v11, 0x7f800001
	s_and_saveexec_b64 s[58:59], vcc
	s_cbranch_execz .LBB6_5070
; %bb.5069:                             ;   in Loop: Header=BB6_4548 Depth=2
	v_and_b32_e32 v28, 7, v10
	v_ffbh_u32_e32 v11, v28
	v_min_u32_e32 v32, 32, v11
	v_subrev_u32_e32 v11, 28, v32
	v_lshlrev_b64 v[10:11], v11, v[10:11]
	v_lshrrev_b32_e32 v29, 3, v3
	v_sub_u32_e32 v11, 29, v32
	v_and_b32_e32 v10, 7, v10
	v_cmp_gt_u32_e32 vcc, 8, v3
	v_cndmask_b32_e32 v3, v29, v11, vcc
	v_cndmask_b32_e32 v10, v28, v10, vcc
	v_lshlrev_b32_e32 v11, 16, v12
	v_lshlrev_b32_e32 v10, 20, v10
	v_and_b32_e32 v11, 0x80000000, v11
	v_lshl_add_u32 v3, v3, 23, v21
	v_or3_b32 v11, v11, v3, v10
.LBB6_5070:                             ;   in Loop: Header=BB6_4548 Depth=2
	s_or_b64 exec, exec, s[58:59]
.LBB6_5071:                             ;   in Loop: Header=BB6_4548 Depth=2
	s_or_b64 exec, exec, s[56:57]
.LBB6_5072:                             ;   in Loop: Header=BB6_4548 Depth=2
	s_or_b64 exec, exec, s[20:21]
	v_add_f32_e32 v10, v25, v11
	v_and_b32_sdwa v3, v10, s71 dst_sel:DWORD dst_unused:UNUSED_PAD src0_sel:BYTE_3 src1_sel:DWORD
	v_and_b32_e32 v28, 0x7f800000, v10
	v_mov_b32_e32 v29, v37
	v_and_b32_e32 v36, 0x7fffff, v10
	v_or_b32_e32 v11, 0x7e, v3
	v_cmp_ne_u64_e32 vcc, s[38:39], v[28:29]
	s_and_saveexec_b64 s[20:21], vcc
	s_xor_b64 s[56:57], exec, s[20:21]
	s_cbranch_execz .LBB6_5082
; %bb.5073:                             ;   in Loop: Header=BB6_4548 Depth=2
	v_and_b32_e32 v28, 0x7fffffff, v10
	v_mov_b32_e32 v29, v37
	v_cmp_gt_u64_e32 vcc, s[40:41], v[28:29]
	s_and_saveexec_b64 s[58:59], vcc
	s_cbranch_execz .LBB6_5081
; %bb.5074:                             ;   in Loop: Header=BB6_4548 Depth=2
	v_cmp_ne_u32_e32 vcc, 0, v10
	v_mov_b32_e32 v11, 0
	s_and_saveexec_b64 s[60:61], vcc
	s_cbranch_execz .LBB6_5080
; %bb.5075:                             ;   in Loop: Header=BB6_4548 Depth=2
	v_bfe_u32 v10, v10, 23, 8
	v_sub_u32_e32 v25, 0x79, v10
	v_cmp_gt_u32_e32 vcc, s72, v10
	v_add_u32_e32 v11, 0xffffff81, v10
	v_cndmask_b32_e32 v25, 0, v25, vcc
	v_cmp_eq_u32_e32 vcc, 0, v10
	v_mov_b32_e32 v10, 0xffffff82
	v_cndmask_b32_e32 v29, v11, v10, vcc
	v_mov_b32_e32 v10, 0x78
	v_or_b32_e32 v28, 0x800000, v36
	v_cndmask_b32_e32 v25, v25, v10, vcc
	v_cndmask_b32_e32 v36, v28, v36, vcc
	v_add_u32_e32 v10, 20, v25
	v_lshlrev_b64 v[10:11], v10, -1
	v_add_u32_e32 v28, 19, v25
	v_lshrrev_b64 v[34:35], v25, v[36:37]
	v_not_b32_e32 v11, v11
	v_not_b32_e32 v10, v10
	v_lshlrev_b64 v[32:33], v28, 1
	v_lshrrev_b32_e32 v28, 23, v34
	v_and_b32_e32 v11, 0, v11
	v_and_b32_e32 v10, v36, v10
	v_add3_u32 v29, v25, v29, v28
	v_bfe_u32 v25, v34, 20, 1
	v_add_u32_e32 v25, -1, v25
	v_cmp_eq_u64_e32 vcc, v[10:11], v[32:33]
	v_cndmask_b32_e32 v10, 0, v25, vcc
	v_add_u32_e32 v10, v10, v34
	v_and_b32_e32 v10, 0xfffff, v10
	v_add_co_u32_e32 v10, vcc, v10, v34
	v_add_u32_e32 v28, 6, v29
	v_addc_co_u32_e32 v11, vcc, 0, v35, vcc
	v_cmp_ne_u32_e32 vcc, 0, v28
                                        ; implicit-def: $vgpr25
	s_and_saveexec_b64 s[20:21], vcc
	s_xor_b64 s[20:21], exec, s[20:21]
; %bb.5076:                             ;   in Loop: Header=BB6_4548 Depth=2
	v_add_u32_e32 v25, 7, v29
	v_cmp_lt_u64_e32 vcc, s[44:45], v[10:11]
	v_cndmask_b32_e32 v25, v28, v25, vcc
	v_cndmask_b32_e64 v28, 0, 1, vcc
	v_lshrrev_b64 v[10:11], v28, v[10:11]
; %bb.5077:                             ;   in Loop: Header=BB6_4548 Depth=2
	s_andn2_saveexec_b64 s[20:21], s[20:21]
; %bb.5078:                             ;   in Loop: Header=BB6_4548 Depth=2
	v_bfe_u32 v25, v10, 23, 1
; %bb.5079:                             ;   in Loop: Header=BB6_4548 Depth=2
	s_or_b64 exec, exec, s[20:21]
	v_lshrrev_b64 v[10:11], 20, v[10:11]
	v_cmp_gt_i32_e32 vcc, 16, v25
	v_cndmask_b32_e32 v11, 0, v11, vcc
	v_cndmask_b32_e32 v10, 7, v10, vcc
	v_cmp_eq_u64_e64 s[20:21], 0, v[10:11]
	v_min_i32_e32 v11, 15, v25
	v_cmp_eq_u32_e32 vcc, 0, v25
	v_lshlrev_b32_e32 v11, 3, v11
	v_and_or_b32 v10, v10, 7, v11
	s_and_b64 s[20:21], vcc, s[20:21]
	v_cndmask_b32_e64 v10, v10, 0, s[20:21]
	v_or_b32_e32 v11, v10, v3
.LBB6_5080:                             ;   in Loop: Header=BB6_4548 Depth=2
	s_or_b64 exec, exec, s[60:61]
.LBB6_5081:                             ;   in Loop: Header=BB6_4548 Depth=2
	s_or_b64 exec, exec, s[58:59]
                                        ; implicit-def: $vgpr10
.LBB6_5082:                             ;   in Loop: Header=BB6_4548 Depth=2
	s_andn2_saveexec_b64 s[20:21], s[56:57]
; %bb.5083:                             ;   in Loop: Header=BB6_4548 Depth=2
	v_or_b32_sdwa v3, v10, s69 dst_sel:DWORD dst_unused:UNUSED_PAD src0_sel:BYTE_3 src1_sel:DWORD
	v_cmp_eq_u64_e32 vcc, 0, v[36:37]
	v_cndmask_b32_e32 v11, v3, v11, vcc
; %bb.5084:                             ;   in Loop: Header=BB6_4548 Depth=2
	s_or_b64 exec, exec, s[20:21]
	v_cmp_ne_u16_sdwa vcc, v2, v37 src0_sel:BYTE_0 src1_sel:DWORD
	v_mov_b32_e32 v3, 0
	v_mov_b32_e32 v10, 0
	s_and_saveexec_b64 s[20:21], vcc
	s_cbranch_execz .LBB6_5090
; %bb.5085:                             ;   in Loop: Header=BB6_4548 Depth=2
	v_cmp_ne_u16_sdwa vcc, v2, s71 src0_sel:BYTE_0 src1_sel:DWORD
	v_bfrev_b32_e32 v10, 1
	s_and_saveexec_b64 s[56:57], vcc
	s_cbranch_execz .LBB6_5089
; %bb.5086:                             ;   in Loop: Header=BB6_4548 Depth=2
	v_and_b32_e32 v25, 0x7f, v2
	v_cmp_ne_u32_e32 vcc, s69, v25
	v_mov_b32_e32 v10, 0x7f800001
	s_and_saveexec_b64 s[58:59], vcc
	s_cbranch_execz .LBB6_5088
; %bb.5087:                             ;   in Loop: Header=BB6_4548 Depth=2
	v_and_b32_e32 v10, 7, v2
	v_ffbh_u32_e32 v28, v10
	v_min_u32_e32 v33, 32, v28
	v_subrev_u32_e32 v28, 28, v33
	v_lshlrev_b64 v[28:29], v28, v[2:3]
	v_lshrrev_b32_e32 v32, 3, v25
	v_sub_u32_e32 v29, 29, v33
	v_and_b32_e32 v28, 7, v28
	v_cmp_gt_u32_e32 vcc, 8, v25
	v_cndmask_b32_e32 v25, v32, v29, vcc
	v_cndmask_b32_e32 v10, v10, v28, vcc
	v_lshlrev_b32_e32 v2, 24, v2
	v_lshlrev_b32_e32 v10, 20, v10
	v_and_b32_e32 v2, 0x80000000, v2
	v_lshl_add_u32 v25, v25, 23, v21
	v_or3_b32 v10, v2, v25, v10
.LBB6_5088:                             ;   in Loop: Header=BB6_4548 Depth=2
	s_or_b64 exec, exec, s[58:59]
.LBB6_5089:                             ;   in Loop: Header=BB6_4548 Depth=2
	s_or_b64 exec, exec, s[56:57]
.LBB6_5090:                             ;   in Loop: Header=BB6_4548 Depth=2
	s_or_b64 exec, exec, s[20:21]
	v_lshrrev_b32_e32 v2, 16, v12
	v_cmp_ne_u16_sdwa vcc, v2, v37 src0_sel:BYTE_0 src1_sel:DWORD
	s_and_saveexec_b64 s[20:21], vcc
	s_cbranch_execz .LBB6_5096
; %bb.5091:                             ;   in Loop: Header=BB6_4548 Depth=2
	v_cmp_ne_u16_sdwa vcc, v2, s71 src0_sel:BYTE_0 src1_sel:DWORD
	v_bfrev_b32_e32 v3, 1
	s_and_saveexec_b64 s[56:57], vcc
	s_cbranch_execz .LBB6_5095
; %bb.5092:                             ;   in Loop: Header=BB6_4548 Depth=2
	v_bfe_u32 v25, v12, 16, 7
	v_cmp_ne_u32_e32 vcc, s69, v25
	v_mov_b32_e32 v3, 0x7f800001
	s_and_saveexec_b64 s[58:59], vcc
	s_cbranch_execz .LBB6_5094
; %bb.5093:                             ;   in Loop: Header=BB6_4548 Depth=2
	v_and_b32_e32 v28, 7, v2
	v_ffbh_u32_e32 v3, v28
	v_min_u32_e32 v32, 32, v3
	v_subrev_u32_e32 v3, 28, v32
	v_lshlrev_b64 v[2:3], v3, v[2:3]
	v_lshrrev_b32_e32 v29, 3, v25
	v_sub_u32_e32 v3, 29, v32
	v_and_b32_e32 v2, 7, v2
	v_cmp_gt_u32_e32 vcc, 8, v25
	v_cndmask_b32_e32 v3, v29, v3, vcc
	v_cndmask_b32_e32 v2, v28, v2, vcc
	v_lshlrev_b32_e32 v25, 8, v12
	v_lshlrev_b32_e32 v2, 20, v2
	v_and_b32_e32 v25, 0x80000000, v25
	v_lshl_add_u32 v3, v3, 23, v21
	v_or3_b32 v3, v25, v3, v2
.LBB6_5094:                             ;   in Loop: Header=BB6_4548 Depth=2
	s_or_b64 exec, exec, s[58:59]
.LBB6_5095:                             ;   in Loop: Header=BB6_4548 Depth=2
	s_or_b64 exec, exec, s[56:57]
.LBB6_5096:                             ;   in Loop: Header=BB6_4548 Depth=2
	s_or_b64 exec, exec, s[20:21]
	v_add_f32_e32 v2, v10, v3
	v_and_b32_sdwa v10, v2, s71 dst_sel:DWORD dst_unused:UNUSED_PAD src0_sel:BYTE_3 src1_sel:DWORD
	v_and_b32_e32 v28, 0x7f800000, v2
	v_mov_b32_e32 v29, v37
	v_and_b32_e32 v36, 0x7fffff, v2
	v_or_b32_e32 v25, 0x7e, v10
	v_cmp_ne_u64_e32 vcc, s[38:39], v[28:29]
	s_and_saveexec_b64 s[20:21], vcc
	s_xor_b64 s[56:57], exec, s[20:21]
	s_cbranch_execz .LBB6_5106
; %bb.5097:                             ;   in Loop: Header=BB6_4548 Depth=2
	v_and_b32_e32 v28, 0x7fffffff, v2
	v_mov_b32_e32 v29, v37
	v_cmp_gt_u64_e32 vcc, s[40:41], v[28:29]
	s_and_saveexec_b64 s[58:59], vcc
	s_cbranch_execz .LBB6_5105
; %bb.5098:                             ;   in Loop: Header=BB6_4548 Depth=2
	v_cmp_ne_u32_e32 vcc, 0, v2
	v_mov_b32_e32 v25, 0
	s_and_saveexec_b64 s[60:61], vcc
	s_cbranch_execz .LBB6_5104
; %bb.5099:                             ;   in Loop: Header=BB6_4548 Depth=2
	v_bfe_u32 v2, v2, 23, 8
	v_sub_u32_e32 v25, 0x79, v2
	v_cmp_gt_u32_e32 vcc, s72, v2
	v_add_u32_e32 v3, 0xffffff81, v2
	v_cndmask_b32_e32 v25, 0, v25, vcc
	v_cmp_eq_u32_e32 vcc, 0, v2
	v_mov_b32_e32 v2, 0xffffff82
	v_cndmask_b32_e32 v29, v3, v2, vcc
	v_mov_b32_e32 v2, 0x78
	v_or_b32_e32 v28, 0x800000, v36
	v_cndmask_b32_e32 v25, v25, v2, vcc
	v_cndmask_b32_e32 v36, v28, v36, vcc
	v_add_u32_e32 v2, 20, v25
	v_lshlrev_b64 v[2:3], v2, -1
	v_add_u32_e32 v28, 19, v25
	v_lshrrev_b64 v[34:35], v25, v[36:37]
	v_not_b32_e32 v3, v3
	v_not_b32_e32 v2, v2
	v_lshlrev_b64 v[32:33], v28, 1
	v_lshrrev_b32_e32 v28, 23, v34
	v_and_b32_e32 v3, 0, v3
	v_and_b32_e32 v2, v36, v2
	v_add3_u32 v29, v25, v29, v28
	v_bfe_u32 v25, v34, 20, 1
	v_add_u32_e32 v25, -1, v25
	v_cmp_eq_u64_e32 vcc, v[2:3], v[32:33]
	v_cndmask_b32_e32 v2, 0, v25, vcc
	v_add_u32_e32 v2, v2, v34
	v_and_b32_e32 v2, 0xfffff, v2
	v_add_co_u32_e32 v2, vcc, v2, v34
	v_add_u32_e32 v28, 6, v29
	v_addc_co_u32_e32 v3, vcc, 0, v35, vcc
	v_cmp_ne_u32_e32 vcc, 0, v28
                                        ; implicit-def: $vgpr25
	s_and_saveexec_b64 s[20:21], vcc
	s_xor_b64 s[20:21], exec, s[20:21]
; %bb.5100:                             ;   in Loop: Header=BB6_4548 Depth=2
	v_add_u32_e32 v25, 7, v29
	v_cmp_lt_u64_e32 vcc, s[44:45], v[2:3]
	v_cndmask_b32_e32 v25, v28, v25, vcc
	v_cndmask_b32_e64 v28, 0, 1, vcc
	v_lshrrev_b64 v[2:3], v28, v[2:3]
; %bb.5101:                             ;   in Loop: Header=BB6_4548 Depth=2
	s_andn2_saveexec_b64 s[20:21], s[20:21]
; %bb.5102:                             ;   in Loop: Header=BB6_4548 Depth=2
	v_bfe_u32 v25, v2, 23, 1
; %bb.5103:                             ;   in Loop: Header=BB6_4548 Depth=2
	s_or_b64 exec, exec, s[20:21]
	v_lshrrev_b64 v[2:3], 20, v[2:3]
	v_cmp_gt_i32_e32 vcc, 16, v25
	v_cndmask_b32_e32 v3, 0, v3, vcc
	v_cndmask_b32_e32 v2, 7, v2, vcc
	v_cmp_eq_u64_e64 s[20:21], 0, v[2:3]
	v_min_i32_e32 v3, 15, v25
	v_cmp_eq_u32_e32 vcc, 0, v25
	v_lshlrev_b32_e32 v3, 3, v3
	v_and_or_b32 v2, v2, 7, v3
	s_and_b64 s[20:21], vcc, s[20:21]
	v_cndmask_b32_e64 v2, v2, 0, s[20:21]
	v_or_b32_e32 v25, v2, v10
.LBB6_5104:                             ;   in Loop: Header=BB6_4548 Depth=2
	s_or_b64 exec, exec, s[60:61]
.LBB6_5105:                             ;   in Loop: Header=BB6_4548 Depth=2
	s_or_b64 exec, exec, s[58:59]
                                        ; implicit-def: $vgpr2
.LBB6_5106:                             ;   in Loop: Header=BB6_4548 Depth=2
	s_andn2_saveexec_b64 s[20:21], s[56:57]
; %bb.5107:                             ;   in Loop: Header=BB6_4548 Depth=2
	v_or_b32_sdwa v2, v2, s69 dst_sel:DWORD dst_unused:UNUSED_PAD src0_sel:BYTE_3 src1_sel:DWORD
	v_cmp_eq_u64_e32 vcc, 0, v[36:37]
	v_cndmask_b32_e32 v25, v2, v25, vcc
; %bb.5108:                             ;   in Loop: Header=BB6_4548 Depth=2
	s_or_b64 exec, exec, s[20:21]
	v_lshlrev_b32_e32 v2, 8, v8
	v_and_b32_e32 v2, 0xff00, v2
	v_cmp_ne_u32_e32 vcc, 0, v2
	v_mov_b32_e32 v3, 0
	v_mov_b32_e32 v8, 0
	s_and_saveexec_b64 s[20:21], vcc
	s_cbranch_execz .LBB6_5114
; %bb.5109:                             ;   in Loop: Header=BB6_4548 Depth=2
	v_cmp_ne_u32_e32 vcc, s74, v2
	v_bfrev_b32_e32 v8, 1
	s_and_saveexec_b64 s[56:57], vcc
	s_cbranch_execz .LBB6_5113
; %bb.5110:                             ;   in Loop: Header=BB6_4548 Depth=2
	v_bfe_u32 v10, v2, 8, 7
	v_cmp_ne_u32_e32 vcc, s69, v10
	v_mov_b32_e32 v8, 0x7f800001
	s_and_saveexec_b64 s[58:59], vcc
	s_cbranch_execz .LBB6_5112
; %bb.5111:                             ;   in Loop: Header=BB6_4548 Depth=2
	v_lshrrev_b32_e32 v8, 8, v2
	v_and_b32_e32 v32, 7, v8
	v_ffbh_u32_e32 v28, v32
	v_min_u32_e32 v34, 32, v28
	v_subrev_u32_e32 v28, 28, v34
	v_lshlrev_b64 v[28:29], v28, v[8:9]
	v_lshrrev_b32_e32 v33, 3, v10
	v_sub_u32_e32 v8, 29, v34
	v_and_b32_e32 v28, 7, v28
	v_cmp_gt_u32_e32 vcc, 8, v10
	v_cndmask_b32_e32 v8, v33, v8, vcc
	v_cndmask_b32_e32 v10, v32, v28, vcc
	v_lshlrev_b32_e32 v2, 16, v2
	v_lshlrev_b32_e32 v10, 20, v10
	v_and_b32_e32 v2, 0x80000000, v2
	v_lshl_add_u32 v8, v8, 23, v21
	v_or3_b32 v8, v2, v8, v10
.LBB6_5112:                             ;   in Loop: Header=BB6_4548 Depth=2
	s_or_b64 exec, exec, s[58:59]
.LBB6_5113:                             ;   in Loop: Header=BB6_4548 Depth=2
	s_or_b64 exec, exec, s[56:57]
.LBB6_5114:                             ;   in Loop: Header=BB6_4548 Depth=2
	s_or_b64 exec, exec, s[20:21]
	v_cmp_lt_u32_e32 vcc, s43, v12
	s_and_saveexec_b64 s[20:21], vcc
	s_cbranch_execz .LBB6_5120
; %bb.5115:                             ;   in Loop: Header=BB6_4548 Depth=2
	v_lshrrev_b32_e32 v2, 24, v12
	v_cmp_ne_u32_e32 vcc, s71, v2
	v_bfrev_b32_e32 v3, 1
	s_and_saveexec_b64 s[56:57], vcc
	s_cbranch_execz .LBB6_5119
; %bb.5116:                             ;   in Loop: Header=BB6_4548 Depth=2
	v_bfe_u32 v10, v12, 24, 7
	v_cmp_ne_u32_e32 vcc, s69, v10
	v_mov_b32_e32 v3, 0x7f800001
	s_and_saveexec_b64 s[58:59], vcc
	s_cbranch_execz .LBB6_5118
; %bb.5117:                             ;   in Loop: Header=BB6_4548 Depth=2
	v_and_b32_e32 v3, 7, v2
	v_ffbh_u32_e32 v28, v3
	v_min_u32_e32 v33, 32, v28
	v_subrev_u32_e32 v28, 28, v33
	v_lshlrev_b64 v[28:29], v28, v[2:3]
	v_lshrrev_b32_e32 v32, 3, v10
	v_sub_u32_e32 v29, 29, v33
	v_and_b32_e32 v28, 7, v28
	v_cmp_gt_u32_e32 vcc, 8, v10
	v_cndmask_b32_e32 v10, v32, v29, vcc
	v_cndmask_b32_e32 v3, v3, v28, vcc
	v_lshlrev_b32_e32 v2, 24, v2
	v_lshlrev_b32_e32 v3, 20, v3
	v_and_b32_e32 v2, 0x80000000, v2
	v_lshl_add_u32 v10, v10, 23, v21
	v_or3_b32 v3, v2, v10, v3
.LBB6_5118:                             ;   in Loop: Header=BB6_4548 Depth=2
	s_or_b64 exec, exec, s[58:59]
.LBB6_5119:                             ;   in Loop: Header=BB6_4548 Depth=2
	s_or_b64 exec, exec, s[56:57]
.LBB6_5120:                             ;   in Loop: Header=BB6_4548 Depth=2
	s_or_b64 exec, exec, s[20:21]
	v_add_f32_e32 v2, v8, v3
	v_and_b32_sdwa v10, v2, s71 dst_sel:DWORD dst_unused:UNUSED_PAD src0_sel:BYTE_3 src1_sel:DWORD
	v_and_b32_e32 v28, 0x7f800000, v2
	v_mov_b32_e32 v29, v37
	v_and_b32_e32 v36, 0x7fffff, v2
	v_or_b32_e32 v8, 0x7e, v10
	v_cmp_ne_u64_e32 vcc, s[38:39], v[28:29]
	s_and_saveexec_b64 s[20:21], vcc
	s_xor_b64 s[56:57], exec, s[20:21]
	s_cbranch_execz .LBB6_5130
; %bb.5121:                             ;   in Loop: Header=BB6_4548 Depth=2
	v_and_b32_e32 v28, 0x7fffffff, v2
	v_mov_b32_e32 v29, v37
	v_cmp_gt_u64_e32 vcc, s[40:41], v[28:29]
	s_and_saveexec_b64 s[58:59], vcc
	s_cbranch_execz .LBB6_5129
; %bb.5122:                             ;   in Loop: Header=BB6_4548 Depth=2
	v_cmp_ne_u32_e32 vcc, 0, v2
	v_mov_b32_e32 v8, 0
	s_and_saveexec_b64 s[60:61], vcc
	s_cbranch_execz .LBB6_5128
; %bb.5123:                             ;   in Loop: Header=BB6_4548 Depth=2
	v_bfe_u32 v2, v2, 23, 8
	v_sub_u32_e32 v8, 0x79, v2
	v_cmp_gt_u32_e32 vcc, s72, v2
	v_add_u32_e32 v3, 0xffffff81, v2
	v_cndmask_b32_e32 v8, 0, v8, vcc
	v_cmp_eq_u32_e32 vcc, 0, v2
	v_mov_b32_e32 v2, 0xffffff82
	v_cndmask_b32_e32 v29, v3, v2, vcc
	v_mov_b32_e32 v2, 0x78
	v_or_b32_e32 v28, 0x800000, v36
	v_cndmask_b32_e32 v8, v8, v2, vcc
	v_cndmask_b32_e32 v36, v28, v36, vcc
	v_add_u32_e32 v2, 20, v8
	v_lshlrev_b64 v[2:3], v2, -1
	v_add_u32_e32 v28, 19, v8
	v_lshrrev_b64 v[34:35], v8, v[36:37]
	v_not_b32_e32 v3, v3
	v_not_b32_e32 v2, v2
	v_lshlrev_b64 v[32:33], v28, 1
	v_lshrrev_b32_e32 v28, 23, v34
	v_and_b32_e32 v3, 0, v3
	v_and_b32_e32 v2, v36, v2
	v_add3_u32 v29, v8, v29, v28
	v_bfe_u32 v8, v34, 20, 1
	v_add_u32_e32 v8, -1, v8
	v_cmp_eq_u64_e32 vcc, v[2:3], v[32:33]
	v_cndmask_b32_e32 v2, 0, v8, vcc
	v_add_u32_e32 v2, v2, v34
	v_and_b32_e32 v2, 0xfffff, v2
	v_add_co_u32_e32 v2, vcc, v2, v34
	v_add_u32_e32 v28, 6, v29
	v_addc_co_u32_e32 v3, vcc, 0, v35, vcc
	v_cmp_ne_u32_e32 vcc, 0, v28
                                        ; implicit-def: $vgpr8
	s_and_saveexec_b64 s[20:21], vcc
	s_xor_b64 s[20:21], exec, s[20:21]
; %bb.5124:                             ;   in Loop: Header=BB6_4548 Depth=2
	v_add_u32_e32 v8, 7, v29
	v_cmp_lt_u64_e32 vcc, s[44:45], v[2:3]
	v_cndmask_b32_e32 v8, v28, v8, vcc
	v_cndmask_b32_e64 v28, 0, 1, vcc
	v_lshrrev_b64 v[2:3], v28, v[2:3]
; %bb.5125:                             ;   in Loop: Header=BB6_4548 Depth=2
	s_andn2_saveexec_b64 s[20:21], s[20:21]
; %bb.5126:                             ;   in Loop: Header=BB6_4548 Depth=2
	v_bfe_u32 v8, v2, 23, 1
; %bb.5127:                             ;   in Loop: Header=BB6_4548 Depth=2
	s_or_b64 exec, exec, s[20:21]
	v_lshrrev_b64 v[2:3], 20, v[2:3]
	v_cmp_gt_i32_e32 vcc, 16, v8
	v_cndmask_b32_e32 v3, 0, v3, vcc
	v_cndmask_b32_e32 v2, 7, v2, vcc
	v_cmp_eq_u64_e64 s[20:21], 0, v[2:3]
	v_min_i32_e32 v3, 15, v8
	v_cmp_eq_u32_e32 vcc, 0, v8
	v_lshlrev_b32_e32 v3, 3, v3
	v_and_or_b32 v2, v2, 7, v3
	s_and_b64 s[20:21], vcc, s[20:21]
	v_cndmask_b32_e64 v2, v2, 0, s[20:21]
	v_or_b32_e32 v8, v2, v10
.LBB6_5128:                             ;   in Loop: Header=BB6_4548 Depth=2
	s_or_b64 exec, exec, s[60:61]
.LBB6_5129:                             ;   in Loop: Header=BB6_4548 Depth=2
	s_or_b64 exec, exec, s[58:59]
                                        ; implicit-def: $vgpr2
.LBB6_5130:                             ;   in Loop: Header=BB6_4548 Depth=2
	s_andn2_saveexec_b64 s[20:21], s[56:57]
; %bb.5131:                             ;   in Loop: Header=BB6_4548 Depth=2
	v_or_b32_sdwa v2, v2, s69 dst_sel:DWORD dst_unused:UNUSED_PAD src0_sel:BYTE_3 src1_sel:DWORD
	v_cmp_eq_u64_e32 vcc, 0, v[36:37]
	v_cndmask_b32_e32 v8, v2, v8, vcc
; %bb.5132:                             ;   in Loop: Header=BB6_4548 Depth=2
	s_or_b64 exec, exec, s[20:21]
	v_lshlrev_b32_e32 v10, 8, v19
	v_lshlrev_b32_e32 v2, 24, v27
	v_perm_b32 v3, v23, v7, s75
	v_or3_b32 v36, v3, v2, v10
	v_cmp_ne_u16_sdwa vcc, v7, v37 src0_sel:BYTE_0 src1_sel:DWORD
	v_mov_b32_e32 v3, 0
	v_mov_b32_e32 v2, 0
	s_and_saveexec_b64 s[20:21], vcc
	s_cbranch_execz .LBB6_5138
; %bb.5133:                             ;   in Loop: Header=BB6_4548 Depth=2
	v_cmp_ne_u16_sdwa vcc, v7, s71 src0_sel:BYTE_0 src1_sel:DWORD
	v_bfrev_b32_e32 v2, 1
	s_and_saveexec_b64 s[56:57], vcc
	s_cbranch_execz .LBB6_5137
; %bb.5134:                             ;   in Loop: Header=BB6_4548 Depth=2
	v_and_b32_e32 v19, 0x7f, v7
	v_cmp_ne_u32_e32 vcc, s69, v19
	v_mov_b32_e32 v2, 0x7f800001
	s_and_saveexec_b64 s[58:59], vcc
	s_cbranch_execz .LBB6_5136
; %bb.5135:                             ;   in Loop: Header=BB6_4548 Depth=2
	v_and_b32_e32 v2, 7, v7
	v_ffbh_u32_e32 v2, v2
	v_min_u32_e32 v2, 32, v2
	v_lshrrev_b32_e32 v7, 3, v19
	v_subrev_u32_e32 v23, 28, v2
	v_sub_u32_e32 v2, 29, v2
	v_cmp_gt_u32_e32 vcc, 8, v19
	v_cndmask_b32_e32 v2, v7, v2, vcc
	v_cndmask_b32_e32 v7, 0, v23, vcc
	v_lshlrev_b64 v[28:29], v7, v[36:37]
	v_lshlrev_b32_e32 v7, 20, v28
	v_lshlrev_b32_e32 v19, 24, v36
	v_and_b32_e32 v7, 0x700000, v7
	v_and_b32_e32 v19, 0x80000000, v19
	v_lshl_add_u32 v2, v2, 23, v21
	v_or3_b32 v2, v19, v2, v7
.LBB6_5136:                             ;   in Loop: Header=BB6_4548 Depth=2
	s_or_b64 exec, exec, s[58:59]
.LBB6_5137:                             ;   in Loop: Header=BB6_4548 Depth=2
	s_or_b64 exec, exec, s[56:57]
.LBB6_5138:                             ;   in Loop: Header=BB6_4548 Depth=2
	s_or_b64 exec, exec, s[20:21]
	v_cmp_ne_u16_sdwa vcc, v13, v37 src0_sel:BYTE_0 src1_sel:DWORD
	s_and_saveexec_b64 s[20:21], vcc
	s_cbranch_execz .LBB6_5144
; %bb.5139:                             ;   in Loop: Header=BB6_4548 Depth=2
	v_cmp_ne_u16_sdwa vcc, v13, s71 src0_sel:BYTE_0 src1_sel:DWORD
	v_bfrev_b32_e32 v3, 1
	s_and_saveexec_b64 s[56:57], vcc
	s_cbranch_execz .LBB6_5143
; %bb.5140:                             ;   in Loop: Header=BB6_4548 Depth=2
	v_and_b32_e32 v7, 0x7f, v13
	v_cmp_ne_u32_e32 vcc, s69, v7
	v_mov_b32_e32 v3, 0x7f800001
	s_and_saveexec_b64 s[58:59], vcc
	s_cbranch_execz .LBB6_5142
; %bb.5141:                             ;   in Loop: Header=BB6_4548 Depth=2
	v_and_b32_e32 v3, 7, v13
	v_ffbh_u32_e32 v3, v3
	v_min_u32_e32 v3, 32, v3
	v_subrev_u32_e32 v23, 28, v3
	v_cmp_gt_u32_e32 vcc, 8, v7
	v_mov_b32_e32 v28, v13
	v_mov_b32_e32 v29, v37
	v_lshrrev_b32_e32 v19, 3, v7
	v_cndmask_b32_e32 v7, 0, v23, vcc
	v_sub_u32_e32 v3, 29, v3
	v_lshlrev_b64 v[32:33], v7, v[28:29]
	v_cndmask_b32_e32 v3, v19, v3, vcc
	v_lshlrev_b32_e32 v7, 20, v32
	v_lshlrev_b32_e32 v19, 24, v28
	v_and_b32_e32 v7, 0x700000, v7
	v_and_b32_e32 v19, 0x80000000, v19
	v_lshl_add_u32 v3, v3, 23, v21
	v_or3_b32 v3, v19, v3, v7
.LBB6_5142:                             ;   in Loop: Header=BB6_4548 Depth=2
	s_or_b64 exec, exec, s[58:59]
.LBB6_5143:                             ;   in Loop: Header=BB6_4548 Depth=2
	s_or_b64 exec, exec, s[56:57]
.LBB6_5144:                             ;   in Loop: Header=BB6_4548 Depth=2
	s_or_b64 exec, exec, s[20:21]
	v_add_f32_e32 v23, v2, v3
	v_and_b32_sdwa v19, v23, s71 dst_sel:DWORD dst_unused:UNUSED_PAD src0_sel:BYTE_3 src1_sel:DWORD
	v_and_b32_e32 v28, 0x7f800000, v23
	v_mov_b32_e32 v29, v37
	v_and_b32_e32 v2, 0x7fffff, v23
	v_mov_b32_e32 v3, v37
	v_or_b32_e32 v7, 0x7e, v19
	v_cmp_ne_u64_e32 vcc, s[38:39], v[28:29]
	s_and_saveexec_b64 s[20:21], vcc
	s_xor_b64 s[56:57], exec, s[20:21]
	s_cbranch_execz .LBB6_5154
; %bb.5145:                             ;   in Loop: Header=BB6_4548 Depth=2
	v_and_b32_e32 v28, 0x7fffffff, v23
	v_mov_b32_e32 v29, v37
	v_cmp_gt_u64_e32 vcc, s[40:41], v[28:29]
	s_and_saveexec_b64 s[58:59], vcc
	s_cbranch_execz .LBB6_5153
; %bb.5146:                             ;   in Loop: Header=BB6_4548 Depth=2
	v_cmp_ne_u32_e32 vcc, 0, v23
	v_mov_b32_e32 v7, 0
	s_and_saveexec_b64 s[60:61], vcc
	s_cbranch_execz .LBB6_5152
; %bb.5147:                             ;   in Loop: Header=BB6_4548 Depth=2
	v_bfe_u32 v7, v23, 23, 8
	v_sub_u32_e32 v27, 0x79, v7
	v_cmp_gt_u32_e32 vcc, s72, v7
	v_add_u32_e32 v23, 0xffffff81, v7
	v_cndmask_b32_e32 v27, 0, v27, vcc
	v_cmp_eq_u32_e32 vcc, 0, v7
	v_mov_b32_e32 v7, 0xffffff82
	v_cndmask_b32_e32 v7, v23, v7, vcc
	v_mov_b32_e32 v23, 0x78
	v_cndmask_b32_e32 v23, v27, v23, vcc
	v_or_b32_e32 v28, 0x800000, v2
	v_add_u32_e32 v27, 20, v23
	v_cndmask_b32_e32 v2, v28, v2, vcc
	v_lshlrev_b64 v[28:29], v27, -1
	v_not_b32_e32 v27, v29
	v_not_b32_e32 v28, v28
	v_and_b32_e32 v29, 0, v27
	v_and_b32_e32 v28, v2, v28
	v_add_u32_e32 v27, 19, v23
	v_lshrrev_b64 v[2:3], v23, v[2:3]
	v_lshlrev_b64 v[32:33], v27, 1
	v_lshrrev_b32_e32 v27, 23, v2
	v_add3_u32 v27, v23, v7, v27
	v_bfe_u32 v7, v2, 20, 1
	v_add_u32_e32 v7, -1, v7
	v_cmp_eq_u64_e32 vcc, v[28:29], v[32:33]
	v_cndmask_b32_e32 v7, 0, v7, vcc
	v_add_u32_e32 v7, v7, v2
	v_and_b32_e32 v7, 0xfffff, v7
	v_add_co_u32_e32 v2, vcc, v7, v2
	v_add_u32_e32 v23, 6, v27
	v_addc_co_u32_e32 v3, vcc, 0, v3, vcc
	v_cmp_ne_u32_e32 vcc, 0, v23
                                        ; implicit-def: $vgpr7
	s_and_saveexec_b64 s[20:21], vcc
	s_xor_b64 s[20:21], exec, s[20:21]
; %bb.5148:                             ;   in Loop: Header=BB6_4548 Depth=2
	v_add_u32_e32 v7, 7, v27
	v_cmp_lt_u64_e32 vcc, s[44:45], v[2:3]
	v_cndmask_b32_e32 v7, v23, v7, vcc
	v_cndmask_b32_e64 v23, 0, 1, vcc
	v_lshrrev_b64 v[2:3], v23, v[2:3]
; %bb.5149:                             ;   in Loop: Header=BB6_4548 Depth=2
	s_andn2_saveexec_b64 s[20:21], s[20:21]
; %bb.5150:                             ;   in Loop: Header=BB6_4548 Depth=2
	v_bfe_u32 v7, v2, 23, 1
; %bb.5151:                             ;   in Loop: Header=BB6_4548 Depth=2
	s_or_b64 exec, exec, s[20:21]
	v_lshrrev_b64 v[2:3], 20, v[2:3]
	v_cmp_gt_i32_e32 vcc, 16, v7
	v_cndmask_b32_e32 v3, 0, v3, vcc
	v_cndmask_b32_e32 v2, 7, v2, vcc
	v_cmp_eq_u64_e64 s[20:21], 0, v[2:3]
	v_min_i32_e32 v3, 15, v7
	v_cmp_eq_u32_e32 vcc, 0, v7
	v_lshlrev_b32_e32 v3, 3, v3
	v_and_or_b32 v2, v2, 7, v3
	s_and_b64 s[20:21], vcc, s[20:21]
	v_cndmask_b32_e64 v2, v2, 0, s[20:21]
	v_or_b32_e32 v7, v2, v19
.LBB6_5152:                             ;   in Loop: Header=BB6_4548 Depth=2
	s_or_b64 exec, exec, s[60:61]
.LBB6_5153:                             ;   in Loop: Header=BB6_4548 Depth=2
	s_or_b64 exec, exec, s[58:59]
                                        ; implicit-def: $vgpr23
                                        ; implicit-def: $vgpr2_vgpr3
.LBB6_5154:                             ;   in Loop: Header=BB6_4548 Depth=2
	s_andn2_saveexec_b64 s[20:21], s[56:57]
; %bb.5155:                             ;   in Loop: Header=BB6_4548 Depth=2
	v_or_b32_sdwa v19, v23, s69 dst_sel:DWORD dst_unused:UNUSED_PAD src0_sel:BYTE_3 src1_sel:DWORD
	v_cmp_eq_u64_e32 vcc, 0, v[2:3]
	v_cndmask_b32_e32 v7, v19, v7, vcc
; %bb.5156:                             ;   in Loop: Header=BB6_4548 Depth=2
	s_or_b64 exec, exec, s[20:21]
	v_lshrrev_b16_e32 v2, 8, v10
	v_cmp_ne_u16_e32 vcc, 0, v2
	v_mov_b32_e32 v3, 0
	v_mov_b32_e32 v19, 0
	s_and_saveexec_b64 s[20:21], vcc
	s_cbranch_execz .LBB6_5162
; %bb.5157:                             ;   in Loop: Header=BB6_4548 Depth=2
	v_cmp_ne_u16_e32 vcc, s71, v2
	v_bfrev_b32_e32 v19, 1
	s_and_saveexec_b64 s[56:57], vcc
	s_cbranch_execz .LBB6_5161
; %bb.5158:                             ;   in Loop: Header=BB6_4548 Depth=2
	v_and_b32_e32 v23, 0x7f, v2
	v_cmp_ne_u32_e32 vcc, s69, v23
	v_mov_b32_e32 v19, 0x7f800001
	s_and_saveexec_b64 s[58:59], vcc
	s_cbranch_execz .LBB6_5160
; %bb.5159:                             ;   in Loop: Header=BB6_4548 Depth=2
	v_and_b32_e32 v19, 7, v2
	v_ffbh_u32_e32 v28, v19
	v_min_u32_e32 v32, 32, v28
	v_subrev_u32_e32 v28, 28, v32
	v_lshlrev_b64 v[28:29], v28, v[2:3]
	v_lshrrev_b32_e32 v27, 3, v23
	v_sub_u32_e32 v2, 29, v32
	v_and_b32_e32 v28, 7, v28
	v_cmp_gt_u32_e32 vcc, 8, v23
	v_cndmask_b32_e32 v2, v27, v2, vcc
	v_cndmask_b32_e32 v19, v19, v28, vcc
	v_lshlrev_b32_e32 v10, 16, v10
	v_lshlrev_b32_e32 v19, 20, v19
	v_and_b32_e32 v10, 0x80000000, v10
	v_lshl_add_u32 v2, v2, 23, v21
	v_or3_b32 v19, v10, v2, v19
.LBB6_5160:                             ;   in Loop: Header=BB6_4548 Depth=2
	s_or_b64 exec, exec, s[58:59]
.LBB6_5161:                             ;   in Loop: Header=BB6_4548 Depth=2
	s_or_b64 exec, exec, s[56:57]
.LBB6_5162:                             ;   in Loop: Header=BB6_4548 Depth=2
	s_or_b64 exec, exec, s[20:21]
	v_mov_b32_e32 v2, v13
	v_lshrrev_b16_e32 v10, 8, v2
	v_cmp_ne_u16_e32 vcc, 0, v10
	s_and_saveexec_b64 s[20:21], vcc
	s_cbranch_execz .LBB6_5168
; %bb.5163:                             ;   in Loop: Header=BB6_4548 Depth=2
	v_cmp_ne_u16_e32 vcc, s71, v10
	v_bfrev_b32_e32 v3, 1
	s_and_saveexec_b64 s[56:57], vcc
	s_cbranch_execz .LBB6_5167
; %bb.5164:                             ;   in Loop: Header=BB6_4548 Depth=2
	v_and_b32_e32 v23, 0x7f, v10
	v_cmp_ne_u32_e32 vcc, s69, v23
	v_mov_b32_e32 v3, 0x7f800001
	s_and_saveexec_b64 s[58:59], vcc
	s_cbranch_execz .LBB6_5166
; %bb.5165:                             ;   in Loop: Header=BB6_4548 Depth=2
	v_and_b32_e32 v3, 7, v10
	v_ffbh_u32_e32 v28, v3
	v_min_u32_e32 v32, 32, v28
	v_subrev_u32_e32 v28, 28, v32
	v_lshlrev_b64 v[28:29], v28, v[10:11]
	v_lshrrev_b32_e32 v27, 3, v23
	v_sub_u32_e32 v10, 29, v32
	v_and_b32_e32 v28, 7, v28
	v_cmp_gt_u32_e32 vcc, 8, v23
	v_cndmask_b32_e32 v10, v27, v10, vcc
	v_cndmask_b32_e32 v3, v3, v28, vcc
	v_lshlrev_b32_e32 v2, 16, v2
	v_lshlrev_b32_e32 v3, 20, v3
	v_and_b32_e32 v2, 0x80000000, v2
	v_lshl_add_u32 v10, v10, 23, v21
	v_or3_b32 v3, v2, v10, v3
.LBB6_5166:                             ;   in Loop: Header=BB6_4548 Depth=2
	s_or_b64 exec, exec, s[58:59]
.LBB6_5167:                             ;   in Loop: Header=BB6_4548 Depth=2
	s_or_b64 exec, exec, s[56:57]
.LBB6_5168:                             ;   in Loop: Header=BB6_4548 Depth=2
	s_or_b64 exec, exec, s[20:21]
	v_add_f32_e32 v23, v19, v3
	v_and_b32_sdwa v19, v23, s71 dst_sel:DWORD dst_unused:UNUSED_PAD src0_sel:BYTE_3 src1_sel:DWORD
	v_and_b32_e32 v28, 0x7f800000, v23
	v_mov_b32_e32 v29, v37
	v_and_b32_e32 v2, 0x7fffff, v23
	v_mov_b32_e32 v3, v37
	v_or_b32_e32 v10, 0x7e, v19
	v_cmp_ne_u64_e32 vcc, s[38:39], v[28:29]
	s_and_saveexec_b64 s[20:21], vcc
	s_xor_b64 s[56:57], exec, s[20:21]
	s_cbranch_execz .LBB6_5178
; %bb.5169:                             ;   in Loop: Header=BB6_4548 Depth=2
	v_and_b32_e32 v28, 0x7fffffff, v23
	v_mov_b32_e32 v29, v37
	v_cmp_gt_u64_e32 vcc, s[40:41], v[28:29]
	s_and_saveexec_b64 s[58:59], vcc
	s_cbranch_execz .LBB6_5177
; %bb.5170:                             ;   in Loop: Header=BB6_4548 Depth=2
	v_cmp_ne_u32_e32 vcc, 0, v23
	v_mov_b32_e32 v10, 0
	s_and_saveexec_b64 s[60:61], vcc
	s_cbranch_execz .LBB6_5176
; %bb.5171:                             ;   in Loop: Header=BB6_4548 Depth=2
	v_bfe_u32 v10, v23, 23, 8
	v_sub_u32_e32 v27, 0x79, v10
	v_cmp_gt_u32_e32 vcc, s72, v10
	v_add_u32_e32 v23, 0xffffff81, v10
	v_cndmask_b32_e32 v27, 0, v27, vcc
	v_cmp_eq_u32_e32 vcc, 0, v10
	v_mov_b32_e32 v10, 0xffffff82
	v_cndmask_b32_e32 v10, v23, v10, vcc
	v_mov_b32_e32 v23, 0x78
	v_cndmask_b32_e32 v23, v27, v23, vcc
	v_or_b32_e32 v28, 0x800000, v2
	v_add_u32_e32 v27, 20, v23
	v_cndmask_b32_e32 v2, v28, v2, vcc
	v_lshlrev_b64 v[28:29], v27, -1
	v_not_b32_e32 v27, v29
	v_not_b32_e32 v28, v28
	v_and_b32_e32 v29, 0, v27
	v_and_b32_e32 v28, v2, v28
	v_add_u32_e32 v27, 19, v23
	v_lshrrev_b64 v[2:3], v23, v[2:3]
	v_lshlrev_b64 v[32:33], v27, 1
	v_lshrrev_b32_e32 v27, 23, v2
	v_add3_u32 v27, v23, v10, v27
	v_bfe_u32 v10, v2, 20, 1
	v_add_u32_e32 v10, -1, v10
	v_cmp_eq_u64_e32 vcc, v[28:29], v[32:33]
	v_cndmask_b32_e32 v10, 0, v10, vcc
	v_add_u32_e32 v10, v10, v2
	v_and_b32_e32 v10, 0xfffff, v10
	v_add_co_u32_e32 v2, vcc, v10, v2
	v_add_u32_e32 v23, 6, v27
	v_addc_co_u32_e32 v3, vcc, 0, v3, vcc
	v_cmp_ne_u32_e32 vcc, 0, v23
                                        ; implicit-def: $vgpr10
	s_and_saveexec_b64 s[20:21], vcc
	s_xor_b64 s[20:21], exec, s[20:21]
; %bb.5172:                             ;   in Loop: Header=BB6_4548 Depth=2
	v_add_u32_e32 v10, 7, v27
	v_cmp_lt_u64_e32 vcc, s[44:45], v[2:3]
	v_cndmask_b32_e32 v10, v23, v10, vcc
	v_cndmask_b32_e64 v23, 0, 1, vcc
	v_lshrrev_b64 v[2:3], v23, v[2:3]
; %bb.5173:                             ;   in Loop: Header=BB6_4548 Depth=2
	s_andn2_saveexec_b64 s[20:21], s[20:21]
; %bb.5174:                             ;   in Loop: Header=BB6_4548 Depth=2
	v_bfe_u32 v10, v2, 23, 1
; %bb.5175:                             ;   in Loop: Header=BB6_4548 Depth=2
	s_or_b64 exec, exec, s[20:21]
	v_lshrrev_b64 v[2:3], 20, v[2:3]
	v_cmp_gt_i32_e32 vcc, 16, v10
	v_cndmask_b32_e32 v3, 0, v3, vcc
	v_cndmask_b32_e32 v2, 7, v2, vcc
	v_cmp_eq_u64_e64 s[20:21], 0, v[2:3]
	v_min_i32_e32 v3, 15, v10
	v_cmp_eq_u32_e32 vcc, 0, v10
	v_lshlrev_b32_e32 v3, 3, v3
	v_and_or_b32 v2, v2, 7, v3
	s_and_b64 s[20:21], vcc, s[20:21]
	v_cndmask_b32_e64 v2, v2, 0, s[20:21]
	v_or_b32_e32 v10, v2, v19
.LBB6_5176:                             ;   in Loop: Header=BB6_4548 Depth=2
	s_or_b64 exec, exec, s[60:61]
.LBB6_5177:                             ;   in Loop: Header=BB6_4548 Depth=2
	s_or_b64 exec, exec, s[58:59]
                                        ; implicit-def: $vgpr23
                                        ; implicit-def: $vgpr2_vgpr3
.LBB6_5178:                             ;   in Loop: Header=BB6_4548 Depth=2
	s_andn2_saveexec_b64 s[20:21], s[56:57]
; %bb.5179:                             ;   in Loop: Header=BB6_4548 Depth=2
	v_or_b32_sdwa v19, v23, s69 dst_sel:DWORD dst_unused:UNUSED_PAD src0_sel:BYTE_3 src1_sel:DWORD
	v_cmp_eq_u64_e32 vcc, 0, v[2:3]
	v_cndmask_b32_e32 v10, v19, v10, vcc
; %bb.5180:                             ;   in Loop: Header=BB6_4548 Depth=2
	s_or_b64 exec, exec, s[20:21]
	v_lshrrev_b32_e32 v2, 16, v36
	v_cmp_ne_u16_sdwa vcc, v2, v37 src0_sel:BYTE_0 src1_sel:DWORD
	v_mov_b32_e32 v3, 0
	v_mov_b32_e32 v19, 0
	s_and_saveexec_b64 s[20:21], vcc
	s_cbranch_execz .LBB6_5186
; %bb.5181:                             ;   in Loop: Header=BB6_4548 Depth=2
	v_cmp_ne_u16_sdwa vcc, v2, s71 src0_sel:BYTE_0 src1_sel:DWORD
	v_bfrev_b32_e32 v19, 1
	s_and_saveexec_b64 s[56:57], vcc
	s_cbranch_execz .LBB6_5185
; %bb.5182:                             ;   in Loop: Header=BB6_4548 Depth=2
	v_bfe_u32 v23, v36, 16, 7
	v_cmp_ne_u32_e32 vcc, s69, v23
	v_mov_b32_e32 v19, 0x7f800001
	s_and_saveexec_b64 s[58:59], vcc
	s_cbranch_execz .LBB6_5184
; %bb.5183:                             ;   in Loop: Header=BB6_4548 Depth=2
	v_and_b32_e32 v19, 7, v2
	v_ffbh_u32_e32 v28, v19
	v_min_u32_e32 v32, 32, v28
	v_subrev_u32_e32 v28, 28, v32
	v_lshlrev_b64 v[28:29], v28, v[2:3]
	v_lshrrev_b32_e32 v27, 3, v23
	v_sub_u32_e32 v29, 29, v32
	v_and_b32_e32 v28, 7, v28
	v_cmp_gt_u32_e32 vcc, 8, v23
	v_cndmask_b32_e32 v23, v27, v29, vcc
	v_cndmask_b32_e32 v19, v19, v28, vcc
	v_lshlrev_b32_e32 v2, 24, v2
	v_lshlrev_b32_e32 v19, 20, v19
	v_and_b32_e32 v2, 0x80000000, v2
	v_lshl_add_u32 v23, v23, 23, v21
	v_or3_b32 v19, v2, v23, v19
.LBB6_5184:                             ;   in Loop: Header=BB6_4548 Depth=2
	s_or_b64 exec, exec, s[58:59]
.LBB6_5185:                             ;   in Loop: Header=BB6_4548 Depth=2
	s_or_b64 exec, exec, s[56:57]
.LBB6_5186:                             ;   in Loop: Header=BB6_4548 Depth=2
	s_or_b64 exec, exec, s[20:21]
	v_lshrrev_b32_e32 v2, 16, v13
	v_cmp_ne_u16_sdwa vcc, v2, v37 src0_sel:BYTE_0 src1_sel:DWORD
	s_and_saveexec_b64 s[20:21], vcc
	s_cbranch_execz .LBB6_5192
; %bb.5187:                             ;   in Loop: Header=BB6_4548 Depth=2
	v_cmp_ne_u16_sdwa vcc, v2, s71 src0_sel:BYTE_0 src1_sel:DWORD
	v_bfrev_b32_e32 v3, 1
	s_and_saveexec_b64 s[56:57], vcc
	s_cbranch_execz .LBB6_5191
; %bb.5188:                             ;   in Loop: Header=BB6_4548 Depth=2
	v_bfe_u32 v23, v13, 16, 7
	v_cmp_ne_u32_e32 vcc, s69, v23
	v_mov_b32_e32 v3, 0x7f800001
	s_and_saveexec_b64 s[58:59], vcc
	s_cbranch_execz .LBB6_5190
; %bb.5189:                             ;   in Loop: Header=BB6_4548 Depth=2
	v_and_b32_e32 v27, 7, v2
	v_ffbh_u32_e32 v3, v27
	v_min_u32_e32 v29, 32, v3
	v_subrev_u32_e32 v3, 28, v29
	v_lshlrev_b64 v[2:3], v3, v[2:3]
	v_lshrrev_b32_e32 v28, 3, v23
	v_sub_u32_e32 v3, 29, v29
	v_and_b32_e32 v2, 7, v2
	v_cmp_gt_u32_e32 vcc, 8, v23
	v_cndmask_b32_e32 v3, v28, v3, vcc
	v_cndmask_b32_e32 v2, v27, v2, vcc
	v_lshlrev_b32_e32 v23, 8, v13
	v_lshlrev_b32_e32 v2, 20, v2
	v_and_b32_e32 v23, 0x80000000, v23
	v_lshl_add_u32 v3, v3, 23, v21
	v_or3_b32 v3, v23, v3, v2
.LBB6_5190:                             ;   in Loop: Header=BB6_4548 Depth=2
	s_or_b64 exec, exec, s[58:59]
.LBB6_5191:                             ;   in Loop: Header=BB6_4548 Depth=2
	s_or_b64 exec, exec, s[56:57]
.LBB6_5192:                             ;   in Loop: Header=BB6_4548 Depth=2
	s_or_b64 exec, exec, s[20:21]
	v_add_f32_e32 v27, v19, v3
	v_and_b32_sdwa v23, v27, s71 dst_sel:DWORD dst_unused:UNUSED_PAD src0_sel:BYTE_3 src1_sel:DWORD
	v_and_b32_e32 v28, 0x7f800000, v27
	v_mov_b32_e32 v29, v37
	v_and_b32_e32 v2, 0x7fffff, v27
	v_mov_b32_e32 v3, v37
	v_or_b32_e32 v19, 0x7e, v23
	v_cmp_ne_u64_e32 vcc, s[38:39], v[28:29]
	s_and_saveexec_b64 s[20:21], vcc
	s_xor_b64 s[56:57], exec, s[20:21]
	s_cbranch_execz .LBB6_5202
; %bb.5193:                             ;   in Loop: Header=BB6_4548 Depth=2
	v_and_b32_e32 v28, 0x7fffffff, v27
	v_mov_b32_e32 v29, v37
	v_cmp_gt_u64_e32 vcc, s[40:41], v[28:29]
	s_and_saveexec_b64 s[58:59], vcc
	s_cbranch_execz .LBB6_5201
; %bb.5194:                             ;   in Loop: Header=BB6_4548 Depth=2
	v_cmp_ne_u32_e32 vcc, 0, v27
	v_mov_b32_e32 v19, 0
	s_and_saveexec_b64 s[60:61], vcc
	s_cbranch_execz .LBB6_5200
; %bb.5195:                             ;   in Loop: Header=BB6_4548 Depth=2
	v_bfe_u32 v19, v27, 23, 8
	v_sub_u32_e32 v28, 0x79, v19
	v_cmp_gt_u32_e32 vcc, s72, v19
	v_add_u32_e32 v27, 0xffffff81, v19
	v_cndmask_b32_e32 v28, 0, v28, vcc
	v_cmp_eq_u32_e32 vcc, 0, v19
	v_mov_b32_e32 v19, 0xffffff82
	v_cndmask_b32_e32 v19, v27, v19, vcc
	v_mov_b32_e32 v27, 0x78
	v_cndmask_b32_e32 v27, v28, v27, vcc
	v_or_b32_e32 v29, 0x800000, v2
	v_add_u32_e32 v28, 20, v27
	v_cndmask_b32_e32 v2, v29, v2, vcc
	v_lshlrev_b64 v[28:29], v28, -1
	v_not_b32_e32 v28, v28
	v_and_b32_e32 v32, v2, v28
	v_add_u32_e32 v28, 19, v27
	v_lshrrev_b64 v[2:3], v27, v[2:3]
	v_not_b32_e32 v29, v29
	v_lshlrev_b64 v[34:35], v28, 1
	v_lshrrev_b32_e32 v28, 23, v2
	v_and_b32_e32 v33, 0, v29
	v_add3_u32 v28, v27, v19, v28
	v_bfe_u32 v19, v2, 20, 1
	v_add_u32_e32 v19, -1, v19
	v_cmp_eq_u64_e32 vcc, v[32:33], v[34:35]
	v_cndmask_b32_e32 v19, 0, v19, vcc
	v_add_u32_e32 v19, v19, v2
	v_and_b32_e32 v19, 0xfffff, v19
	v_add_co_u32_e32 v2, vcc, v19, v2
	v_add_u32_e32 v27, 6, v28
	v_addc_co_u32_e32 v3, vcc, 0, v3, vcc
	v_cmp_ne_u32_e32 vcc, 0, v27
                                        ; implicit-def: $vgpr19
	s_and_saveexec_b64 s[20:21], vcc
	s_xor_b64 s[20:21], exec, s[20:21]
; %bb.5196:                             ;   in Loop: Header=BB6_4548 Depth=2
	v_add_u32_e32 v19, 7, v28
	v_cmp_lt_u64_e32 vcc, s[44:45], v[2:3]
	v_cndmask_b32_e32 v19, v27, v19, vcc
	v_cndmask_b32_e64 v27, 0, 1, vcc
	v_lshrrev_b64 v[2:3], v27, v[2:3]
; %bb.5197:                             ;   in Loop: Header=BB6_4548 Depth=2
	s_andn2_saveexec_b64 s[20:21], s[20:21]
; %bb.5198:                             ;   in Loop: Header=BB6_4548 Depth=2
	v_bfe_u32 v19, v2, 23, 1
; %bb.5199:                             ;   in Loop: Header=BB6_4548 Depth=2
	s_or_b64 exec, exec, s[20:21]
	v_lshrrev_b64 v[2:3], 20, v[2:3]
	v_cmp_gt_i32_e32 vcc, 16, v19
	v_cndmask_b32_e32 v3, 0, v3, vcc
	v_cndmask_b32_e32 v2, 7, v2, vcc
	v_cmp_eq_u64_e64 s[20:21], 0, v[2:3]
	v_min_i32_e32 v3, 15, v19
	v_lshlrev_b32_e32 v3, 3, v3
	v_cmp_eq_u32_e32 vcc, 0, v19
	v_and_b32_e32 v3, 0xf8, v3
	v_and_or_b32 v2, v2, 7, v3
	s_and_b64 s[20:21], vcc, s[20:21]
	v_cndmask_b32_e64 v2, v2, 0, s[20:21]
	v_or_b32_e32 v19, v2, v23
.LBB6_5200:                             ;   in Loop: Header=BB6_4548 Depth=2
	s_or_b64 exec, exec, s[60:61]
.LBB6_5201:                             ;   in Loop: Header=BB6_4548 Depth=2
	s_or_b64 exec, exec, s[58:59]
                                        ; implicit-def: $vgpr27
                                        ; implicit-def: $vgpr2_vgpr3
.LBB6_5202:                             ;   in Loop: Header=BB6_4548 Depth=2
	s_andn2_saveexec_b64 s[20:21], s[56:57]
; %bb.5203:                             ;   in Loop: Header=BB6_4548 Depth=2
	v_or_b32_sdwa v23, v27, s69 dst_sel:DWORD dst_unused:UNUSED_PAD src0_sel:BYTE_3 src1_sel:DWORD
	v_cmp_eq_u64_e32 vcc, 0, v[2:3]
	v_cndmask_b32_e32 v19, v23, v19, vcc
; %bb.5204:                             ;   in Loop: Header=BB6_4548 Depth=2
	s_or_b64 exec, exec, s[20:21]
	v_cmp_lt_u32_e32 vcc, s43, v36
	v_mov_b32_e32 v3, 0
	v_mov_b32_e32 v23, 0
	s_and_saveexec_b64 s[20:21], vcc
	s_cbranch_execz .LBB6_5210
; %bb.5205:                             ;   in Loop: Header=BB6_4548 Depth=2
	v_lshrrev_b32_e32 v2, 24, v36
	v_cmp_ne_u32_sdwa vcc, v36, s71 src0_sel:BYTE_3 src1_sel:DWORD
	v_bfrev_b32_e32 v23, 1
	s_and_saveexec_b64 s[56:57], vcc
	s_cbranch_execz .LBB6_5209
; %bb.5206:                             ;   in Loop: Header=BB6_4548 Depth=2
	v_bfe_u32 v27, v36, 24, 7
	v_cmp_ne_u32_e32 vcc, s69, v27
	v_mov_b32_e32 v23, 0x7f800001
	s_and_saveexec_b64 s[58:59], vcc
	s_cbranch_execz .LBB6_5208
; %bb.5207:                             ;   in Loop: Header=BB6_4548 Depth=2
	v_and_b32_e32 v23, 7, v2
	v_ffbh_u32_e32 v28, v23
	v_min_u32_e32 v33, 32, v28
	v_subrev_u32_e32 v28, 28, v33
	v_lshlrev_b64 v[28:29], v28, v[2:3]
	v_lshrrev_b32_e32 v32, 3, v27
	v_sub_u32_e32 v2, 29, v33
	v_and_b32_e32 v28, 7, v28
	v_cmp_gt_u32_e32 vcc, 8, v27
	v_mov_b32_e32 v27, 24
	v_cndmask_b32_e32 v2, v32, v2, vcc
	v_cndmask_b32_e32 v23, v23, v28, vcc
	v_lshlrev_b32_sdwa v27, v27, v36 dst_sel:DWORD dst_unused:UNUSED_PAD src0_sel:DWORD src1_sel:BYTE_3
	v_lshlrev_b32_e32 v23, 20, v23
	v_and_b32_e32 v27, 0x80000000, v27
	v_lshl_add_u32 v2, v2, 23, v21
	v_or3_b32 v23, v27, v2, v23
.LBB6_5208:                             ;   in Loop: Header=BB6_4548 Depth=2
	s_or_b64 exec, exec, s[58:59]
.LBB6_5209:                             ;   in Loop: Header=BB6_4548 Depth=2
	s_or_b64 exec, exec, s[56:57]
.LBB6_5210:                             ;   in Loop: Header=BB6_4548 Depth=2
	s_or_b64 exec, exec, s[20:21]
	v_cmp_lt_u64_e32 vcc, s[42:43], v[12:13]
	s_and_saveexec_b64 s[20:21], vcc
	s_cbranch_execz .LBB6_5216
; %bb.5211:                             ;   in Loop: Header=BB6_4548 Depth=2
	v_lshrrev_b32_e32 v2, 24, v13
	v_cmp_ne_u32_e32 vcc, s71, v2
	v_bfrev_b32_e32 v3, 1
	s_and_saveexec_b64 s[56:57], vcc
	s_cbranch_execz .LBB6_5215
; %bb.5212:                             ;   in Loop: Header=BB6_4548 Depth=2
	v_bfe_u32 v12, v13, 24, 7
	v_cmp_ne_u32_e32 vcc, s69, v12
	v_mov_b32_e32 v3, 0x7f800001
	s_and_saveexec_b64 s[58:59], vcc
	s_cbranch_execz .LBB6_5214
; %bb.5213:                             ;   in Loop: Header=BB6_4548 Depth=2
	v_and_b32_e32 v3, 7, v2
	v_ffbh_u32_e32 v27, v3
	v_min_u32_e32 v27, 32, v27
	v_subrev_u32_e32 v28, 28, v27
	v_lshlrev_b64 v[28:29], v28, v[2:3]
	v_lshrrev_b32_e32 v13, 3, v12
	v_sub_u32_e32 v27, 29, v27
	v_and_b32_e32 v28, 7, v28
	v_cmp_gt_u32_e32 vcc, 8, v12
	v_cndmask_b32_e32 v12, v13, v27, vcc
	v_cndmask_b32_e32 v3, v3, v28, vcc
	v_lshlrev_b32_e32 v2, 24, v2
	v_lshlrev_b32_e32 v3, 20, v3
	v_and_b32_e32 v2, 0x80000000, v2
	v_lshl_add_u32 v12, v12, 23, v21
	v_or3_b32 v3, v2, v12, v3
.LBB6_5214:                             ;   in Loop: Header=BB6_4548 Depth=2
	s_or_b64 exec, exec, s[58:59]
.LBB6_5215:                             ;   in Loop: Header=BB6_4548 Depth=2
	s_or_b64 exec, exec, s[56:57]
.LBB6_5216:                             ;   in Loop: Header=BB6_4548 Depth=2
	s_or_b64 exec, exec, s[20:21]
	v_add_f32_e32 v3, v23, v3
	v_and_b32_sdwa v12, v3, s71 dst_sel:DWORD dst_unused:UNUSED_PAD src0_sel:BYTE_3 src1_sel:DWORD
	v_and_b32_e32 v28, 0x7f800000, v3
	v_mov_b32_e32 v29, v37
	v_and_b32_e32 v36, 0x7fffff, v3
	v_or_b32_e32 v2, 0x7e, v12
	v_cmp_ne_u64_e32 vcc, s[38:39], v[28:29]
	s_and_saveexec_b64 s[20:21], vcc
	s_xor_b64 s[56:57], exec, s[20:21]
	s_cbranch_execz .LBB6_5226
; %bb.5217:                             ;   in Loop: Header=BB6_4548 Depth=2
	v_and_b32_e32 v28, 0x7fffffff, v3
	v_mov_b32_e32 v29, v37
	v_cmp_gt_u64_e32 vcc, s[40:41], v[28:29]
	s_and_saveexec_b64 s[58:59], vcc
	s_cbranch_execz .LBB6_5225
; %bb.5218:                             ;   in Loop: Header=BB6_4548 Depth=2
	v_cmp_ne_u32_e32 vcc, 0, v3
	v_mov_b32_e32 v2, 0
	s_and_saveexec_b64 s[60:61], vcc
	s_cbranch_execz .LBB6_5224
; %bb.5219:                             ;   in Loop: Header=BB6_4548 Depth=2
	v_bfe_u32 v2, v3, 23, 8
	v_sub_u32_e32 v13, 0x79, v2
	v_cmp_gt_u32_e32 vcc, s72, v2
	v_add_u32_e32 v3, 0xffffff81, v2
	v_cndmask_b32_e32 v13, 0, v13, vcc
	v_cmp_eq_u32_e32 vcc, 0, v2
	v_mov_b32_e32 v2, 0xffffff82
	v_cndmask_b32_e32 v27, v3, v2, vcc
	v_mov_b32_e32 v2, 0x78
	v_or_b32_e32 v23, 0x800000, v36
	v_cndmask_b32_e32 v13, v13, v2, vcc
	v_cndmask_b32_e32 v36, v23, v36, vcc
	v_add_u32_e32 v2, 20, v13
	v_lshlrev_b64 v[2:3], v2, -1
	v_add_u32_e32 v23, 19, v13
	v_lshrrev_b64 v[32:33], v13, v[36:37]
	v_not_b32_e32 v3, v3
	v_not_b32_e32 v2, v2
	v_lshlrev_b64 v[28:29], v23, 1
	v_lshrrev_b32_e32 v23, 23, v32
	v_and_b32_e32 v3, 0, v3
	v_and_b32_e32 v2, v36, v2
	v_add3_u32 v27, v13, v27, v23
	v_bfe_u32 v13, v32, 20, 1
	v_add_u32_e32 v13, -1, v13
	v_cmp_eq_u64_e32 vcc, v[2:3], v[28:29]
	v_cndmask_b32_e32 v2, 0, v13, vcc
	v_add_u32_e32 v2, v2, v32
	v_and_b32_e32 v2, 0xfffff, v2
	v_add_co_u32_e32 v2, vcc, v2, v32
	v_add_u32_e32 v23, 6, v27
	v_addc_co_u32_e32 v3, vcc, 0, v33, vcc
	v_cmp_ne_u32_e32 vcc, 0, v23
                                        ; implicit-def: $vgpr13
	s_and_saveexec_b64 s[20:21], vcc
	s_xor_b64 s[20:21], exec, s[20:21]
; %bb.5220:                             ;   in Loop: Header=BB6_4548 Depth=2
	v_add_u32_e32 v13, 7, v27
	v_cmp_lt_u64_e32 vcc, s[44:45], v[2:3]
	v_cndmask_b32_e32 v13, v23, v13, vcc
	v_cndmask_b32_e64 v23, 0, 1, vcc
	v_lshrrev_b64 v[2:3], v23, v[2:3]
; %bb.5221:                             ;   in Loop: Header=BB6_4548 Depth=2
	s_andn2_saveexec_b64 s[20:21], s[20:21]
; %bb.5222:                             ;   in Loop: Header=BB6_4548 Depth=2
	v_bfe_u32 v13, v2, 23, 1
; %bb.5223:                             ;   in Loop: Header=BB6_4548 Depth=2
	s_or_b64 exec, exec, s[20:21]
	v_lshrrev_b64 v[2:3], 20, v[2:3]
	v_cmp_gt_i32_e32 vcc, 16, v13
	v_cndmask_b32_e32 v3, 0, v3, vcc
	v_cndmask_b32_e32 v2, 7, v2, vcc
	v_cmp_eq_u64_e64 s[20:21], 0, v[2:3]
	v_min_i32_e32 v3, 15, v13
	v_lshlrev_b32_e32 v3, 3, v3
	v_cmp_eq_u32_e32 vcc, 0, v13
	v_and_b32_e32 v3, 0xf8, v3
	v_and_or_b32 v2, v2, 7, v3
	s_and_b64 s[20:21], vcc, s[20:21]
	v_cndmask_b32_e64 v2, v2, 0, s[20:21]
	v_or_b32_e32 v2, v2, v12
.LBB6_5224:                             ;   in Loop: Header=BB6_4548 Depth=2
	s_or_b64 exec, exec, s[60:61]
.LBB6_5225:                             ;   in Loop: Header=BB6_4548 Depth=2
	s_or_b64 exec, exec, s[58:59]
                                        ; implicit-def: $vgpr3
.LBB6_5226:                             ;   in Loop: Header=BB6_4548 Depth=2
	s_andn2_saveexec_b64 s[20:21], s[56:57]
	s_cbranch_execz .LBB6_4547
; %bb.5227:                             ;   in Loop: Header=BB6_4548 Depth=2
	v_or_b32_sdwa v3, v3, s69 dst_sel:DWORD dst_unused:UNUSED_PAD src0_sel:BYTE_3 src1_sel:DWORD
	v_cmp_eq_u64_e32 vcc, 0, v[36:37]
	v_cndmask_b32_e32 v2, v3, v2, vcc
	s_branch .LBB6_4547
.LBB6_5228:                             ;   in Loop: Header=BB6_3118 Depth=1
	s_or_b64 exec, exec, s[54:55]
.LBB6_5229:                             ;   in Loop: Header=BB6_3118 Depth=1
	s_or_b64 exec, exec, s[52:53]
	v_accvgpr_read_b32 v0, a44
	v_and_b32_e32 v3, 15, v0
	v_cndmask_b32_e64 v1, v18, v3, s[18:19]
	v_cmp_ne_u32_e32 vcc, 0, v1
	s_mov_b64 s[20:21], 0
	v_mov_b32_e32 v0, 0
                                        ; implicit-def: $vgpr16
                                        ; implicit-def: $vgpr2
	s_and_saveexec_b64 s[52:53], vcc
	s_cbranch_execz .LBB6_5231
; %bb.5230:                             ;   in Loop: Header=BB6_3118 Depth=1
	v_accvgpr_read_b32 v0, a44
	v_sub_u32_e32 v2, v18, v3
	v_and_b32_e32 v0, 0x3ffffc00, v0
	v_cndmask_b32_e64 v2, 0, v2, s[18:19]
	v_add_u32_e32 v0, v2, v0
	v_cmp_lt_i32_e32 vcc, 0, v5
	v_accvgpr_read_b32 v2, a30
	v_cndmask_b32_e32 v2, 0, v2, vcc
	v_sub_u32_e32 v2, v2, v5
	v_lshl_add_u32 v16, v2, 6, v4
	v_ashrrev_i32_e32 v2, 31, v16
	v_lshrrev_b32_e32 v2, 26, v2
	v_add_u32_e32 v2, v16, v2
	s_mov_b64 s[20:21], exec
	v_ashrrev_i32_e32 v2, 6, v2
.LBB6_5231:                             ;   in Loop: Header=BB6_3118 Depth=1
	s_or_b64 exec, exec, s[52:53]
	s_and_b64 s[18:19], s[20:21], exec
.LBB6_5232:                             ;   in Loop: Header=BB6_3118 Depth=1
	s_or_b64 exec, exec, s[50:51]
	s_and_saveexec_b64 s[20:21], s[18:19]
	s_cbranch_execz .LBB6_6101
.LBB6_5233:                             ;   in Loop: Header=BB6_3118 Depth=1
	v_ashrrev_i32_e32 v3, 31, v1
	v_lshrrev_b32_e32 v3, 22, v3
	v_add_u32_e32 v3, v1, v3
	v_ashrrev_i32_e32 v17, 10, v3
	v_sub_u32_e32 v4, v17, v2
	v_ashrrev_i32_e32 v3, 31, v16
	v_cmp_lt_i32_e32 vcc, 0, v4
	v_lshrrev_b32_e32 v5, 26, v3
	s_and_saveexec_b64 s[50:51], vcc
	s_cbranch_execz .LBB6_6042
; %bb.5234:                             ;   in Loop: Header=BB6_3118 Depth=1
	s_trap 2
	ds_read_b128 v[6:9], v0
	v_add_u32_e32 v3, v16, v5
	v_and_b32_e32 v3, 0xffffffc0, v3
	v_sub_u32_e32 v3, v16, v3
	v_lshlrev_b32_e32 v2, 10, v2
	v_add3_u32 v14, v0, v3, v2
	ds_read_b64 v[2:3], v0
	v_ashrrev_i32_e32 v15, 31, v14
	s_waitcnt lgkmcnt(0)
	v_add_co_u32_e32 v10, vcc, v6, v14
	v_addc_co_u32_e32 v11, vcc, v7, v15, vcc
	v_add_co_u32_e32 v12, vcc, v8, v14
	v_addc_co_u32_e32 v13, vcc, v9, v15, vcc
	s_waitcnt lgkmcnt(0)
	v_add_co_u32_e32 v2, vcc, 0x3c0, v2
	v_addc_co_u32_e32 v3, vcc, 0, v3, vcc
	v_add_co_u32_e32 v14, vcc, v2, v14
	v_addc_co_u32_e32 v15, vcc, v3, v15, vcc
	s_mov_b64 s[52:53], 0
	s_branch .LBB6_5236
.LBB6_5235:                             ;   in Loop: Header=BB6_5236 Depth=2
	s_or_b64 exec, exec, s[18:19]
	v_add_co_u32_e32 v28, vcc, 0xfffffc40, v14
	v_addc_co_u32_e32 v29, vcc, -1, v15, vcc
	v_add_co_u32_e32 v6, vcc, 0xfffffc80, v14
	flat_store_byte v[28:29], v7 glc slc
	v_addc_co_u32_e32 v7, vcc, -1, v15, vcc
	flat_store_byte v[6:7], v24 glc slc
	v_add_co_u32_e32 v6, vcc, 0xfffffcc0, v14
	v_addc_co_u32_e32 v7, vcc, -1, v15, vcc
	flat_store_byte v[6:7], v34 glc slc
	v_add_co_u32_e32 v6, vcc, 0xfffffd00, v14
	;; [unrolled: 3-line block ×13, first 2 shown]
	v_addc_co_u32_e32 v7, vcc, -1, v15, vcc
	flat_store_byte v[6:7], v8 glc slc
	flat_store_byte v[14:15], v3 glc slc
	v_accvgpr_read_b32 v3, a36
	v_add_co_u32_e32 v10, vcc, v10, v3
	v_accvgpr_read_b32 v6, a37
	v_addc_co_u32_e32 v11, vcc, v11, v6, vcc
	v_add_co_u32_e32 v12, vcc, v12, v3
	v_accvgpr_read_b32 v2, a30
	v_addc_co_u32_e32 v13, vcc, v13, v6, vcc
	v_sub_u32_e32 v4, v4, v2
	v_cmp_gt_i32_e32 vcc, 1, v4
	s_or_b64 s[52:53], vcc, s[52:53]
	v_add_co_u32_e32 v14, vcc, v14, v3
	v_addc_co_u32_e32 v15, vcc, v15, v6, vcc
	s_andn2_b64 exec, exec, s[52:53]
	s_cbranch_execz .LBB6_6041
.LBB6_5236:                             ;   Parent Loop BB6_3118 Depth=1
                                        ; =>  This Inner Loop Header: Depth=2
	s_trap 2
	ds_read_b64 v[2:3], v0
	s_waitcnt lgkmcnt(0)
	v_cmp_eq_u16_sdwa vcc, v2, v37 src0_sel:BYTE_0 src1_sel:DWORD
	v_readfirstlane_b32 s18, v2
	v_readfirstlane_b32 s19, v3
	s_and_b64 vcc, exec, vcc
	s_cbranch_vccnz .LBB6_5240
; %bb.5237:                             ;   in Loop: Header=BB6_5236 Depth=2
	v_cmp_eq_u32_sdwa vcc, v2, s71 src0_sel:BYTE_0 src1_sel:DWORD
	s_and_b64 vcc, exec, vcc
	s_brev_b32 s60, 1
	s_cbranch_vccnz .LBB6_5241
; %bb.5238:                             ;   in Loop: Header=BB6_5236 Depth=2
	s_and_b32 vcc_lo, s18, 0x7f
	s_cmpk_eq_i32 vcc_lo, 0x7f
	s_mov_b32 s60, 0x7f800001
	s_cbranch_scc1 .LBB6_5241
; %bb.5239:                             ;   in Loop: Header=BB6_5236 Depth=2
	s_and_b32 vcc_hi, s18, 7
	s_flbit_i32_b32 vcc_hi, vcc_hi
	s_min_u32 vcc_hi, vcc_hi, 32
	s_lshr_b32 s54, vcc_lo, 3
	s_sub_i32 s55, vcc_hi, 28
	s_sub_i32 vcc_hi, 29, vcc_hi
	s_cmp_lt_u32 vcc_lo, 8
	s_cselect_b32 vcc_lo, s55, 0
	s_cselect_b32 s54, vcc_hi, s54
	s_lshl_b64 vcc, s[18:19], vcc_lo
	s_lshl_b32 s19, vcc_lo, 20
	s_lshl_b32 s18, s18, 24
	s_lshl_b32 vcc_lo, s54, 23
	s_and_b32 s18, s18, 0x80000000
	s_add_i32 vcc_lo, vcc_lo, 0x3c000000
	s_and_b32 s19, s19, 0x700000
	s_or_b32 s18, s18, vcc_lo
	s_or_b32 s60, s18, s19
	s_branch .LBB6_5241
.LBB6_5240:                             ;   in Loop: Header=BB6_5236 Depth=2
	s_mov_b32 s60, 0
.LBB6_5241:                             ;   in Loop: Header=BB6_5236 Depth=2
	flat_load_ubyte v3, v[10:11] glc slc
	v_mov_b32_e32 v6, 0
	s_waitcnt vmcnt(0) lgkmcnt(0)
	v_cmp_ne_u16_e32 vcc, 0, v3
	s_and_saveexec_b64 s[18:19], vcc
	s_cbranch_execz .LBB6_5247
; %bb.5242:                             ;   in Loop: Header=BB6_5236 Depth=2
	v_cmp_ne_u16_e32 vcc, s71, v3
	v_bfrev_b32_e32 v6, 1
	s_and_saveexec_b64 s[54:55], vcc
	s_cbranch_execz .LBB6_5246
; %bb.5243:                             ;   in Loop: Header=BB6_5236 Depth=2
	v_and_b32_e32 v2, 0xffff, v3
	v_and_b32_e32 v7, 0x7f, v2
	v_cmp_ne_u32_e32 vcc, s69, v7
	v_mov_b32_e32 v6, 0x7f800001
	s_and_saveexec_b64 s[56:57], vcc
	s_cbranch_execz .LBB6_5245
; %bb.5244:                             ;   in Loop: Header=BB6_5236 Depth=2
	v_and_b32_e32 v6, 7, v2
	v_ffbh_u32_e32 v8, v6
	v_min_u32_e32 v19, 32, v8
	v_subrev_u32_e32 v8, 28, v19
	v_lshlrev_b64 v[8:9], v8, v[2:3]
	v_lshrrev_b32_e32 v18, 3, v7
	v_sub_u32_e32 v2, 29, v19
	v_and_b32_e32 v8, 7, v8
	v_cmp_gt_u32_e32 vcc, 8, v7
	v_cndmask_b32_e32 v2, v18, v2, vcc
	v_cndmask_b32_e32 v6, v6, v8, vcc
	v_lshlrev_b32_e32 v3, 24, v3
	v_lshlrev_b32_e32 v6, 20, v6
	v_and_b32_e32 v3, 0x80000000, v3
	v_lshl_add_u32 v2, v2, 23, v21
	v_or3_b32 v6, v3, v2, v6
.LBB6_5245:                             ;   in Loop: Header=BB6_5236 Depth=2
	s_or_b64 exec, exec, s[56:57]
.LBB6_5246:                             ;   in Loop: Header=BB6_5236 Depth=2
	s_or_b64 exec, exec, s[54:55]
.LBB6_5247:                             ;   in Loop: Header=BB6_5236 Depth=2
	s_or_b64 exec, exec, s[18:19]
	v_mul_f32_e32 v2, s60, v6
	v_and_b32_sdwa v6, v2, s71 dst_sel:DWORD dst_unused:UNUSED_PAD src0_sel:BYTE_3 src1_sel:DWORD
	v_and_b32_e32 v8, 0x7f800000, v2
	v_mov_b32_e32 v9, v37
	v_and_b32_e32 v36, 0x7fffff, v2
	v_or_b32_e32 v7, 0x7e, v6
	v_cmp_ne_u64_e32 vcc, s[38:39], v[8:9]
	s_and_saveexec_b64 s[18:19], vcc
	s_xor_b64 s[54:55], exec, s[18:19]
	s_cbranch_execz .LBB6_5261
; %bb.5248:                             ;   in Loop: Header=BB6_5236 Depth=2
	v_and_b32_e32 v8, 0x7fffffff, v2
	v_mov_b32_e32 v9, v37
	v_cmp_gt_u64_e32 vcc, s[40:41], v[8:9]
	s_and_saveexec_b64 s[18:19], vcc
	s_xor_b64 s[56:57], exec, s[18:19]
	s_cbranch_execz .LBB6_5260
; %bb.5249:                             ;   in Loop: Header=BB6_5236 Depth=2
	v_cmp_ne_u32_e32 vcc, 0, v2
	v_mov_b32_e32 v7, 0
	s_and_saveexec_b64 s[58:59], vcc
	s_cbranch_execz .LBB6_5259
; %bb.5250:                             ;   in Loop: Header=BB6_5236 Depth=2
	v_bfe_u32 v2, v2, 23, 8
	v_sub_u32_e32 v7, 0x79, v2
	v_cmp_gt_u32_e32 vcc, s72, v2
	v_add_u32_e32 v3, 0xffffff81, v2
	v_cndmask_b32_e32 v7, 0, v7, vcc
	v_cmp_eq_u32_e32 vcc, 0, v2
	v_mov_b32_e32 v2, 0xffffff82
	v_cndmask_b32_e32 v9, v3, v2, vcc
	v_mov_b32_e32 v2, 0x78
	v_or_b32_e32 v8, 0x800000, v36
	v_cndmask_b32_e32 v7, v7, v2, vcc
	v_cndmask_b32_e32 v36, v8, v36, vcc
	v_add_u32_e32 v2, 20, v7
	v_lshlrev_b64 v[2:3], v2, -1
	v_add_u32_e32 v8, 19, v7
	v_lshrrev_b64 v[22:23], v7, v[36:37]
	v_not_b32_e32 v3, v3
	v_not_b32_e32 v2, v2
	v_lshlrev_b64 v[18:19], v8, 1
	v_lshrrev_b32_e32 v8, 23, v22
	v_and_b32_e32 v3, 0, v3
	v_and_b32_e32 v2, v36, v2
	v_add3_u32 v9, v7, v9, v8
	v_bfe_u32 v8, v22, 20, 1
	v_add_u32_e32 v8, -1, v8
	v_cmp_eq_u64_e32 vcc, v[2:3], v[18:19]
	v_cndmask_b32_e32 v2, 0, v8, vcc
	v_add_u32_e32 v2, v2, v22
	v_and_b32_e32 v2, 0xfffff, v2
	v_add_co_u32_e32 v2, vcc, v2, v22
	v_add_u32_e32 v7, 6, v9
	v_addc_co_u32_e32 v3, vcc, 0, v23, vcc
	v_cmp_ne_u32_e32 vcc, 0, v7
                                        ; implicit-def: $vgpr8
	s_and_saveexec_b64 s[18:19], vcc
	s_xor_b64 s[18:19], exec, s[18:19]
; %bb.5251:                             ;   in Loop: Header=BB6_5236 Depth=2
	v_add_u32_e32 v8, 7, v9
	v_cmp_lt_u64_e32 vcc, s[44:45], v[2:3]
	v_cndmask_b32_e32 v8, v7, v8, vcc
	v_cndmask_b32_e64 v7, 0, 1, vcc
	v_lshrrev_b64 v[2:3], v7, v[2:3]
; %bb.5252:                             ;   in Loop: Header=BB6_5236 Depth=2
	s_andn2_saveexec_b64 s[18:19], s[18:19]
; %bb.5253:                             ;   in Loop: Header=BB6_5236 Depth=2
	v_bfe_u32 v8, v2, 23, 1
; %bb.5254:                             ;   in Loop: Header=BB6_5236 Depth=2
	s_or_b64 exec, exec, s[18:19]
	v_lshrrev_b64 v[2:3], 20, v[2:3]
	v_cmp_gt_i32_e32 vcc, 16, v8
	v_cndmask_b32_e32 v3, 0, v3, vcc
	v_cndmask_b32_e32 v2, 7, v2, vcc
	v_cmp_ne_u32_e32 vcc, 0, v8
	v_cmp_ne_u64_e64 s[18:19], 0, v[2:3]
	s_or_b64 s[18:19], vcc, s[18:19]
                                        ; implicit-def: $vgpr7
	s_and_saveexec_b64 vcc, s[18:19]
	s_xor_b64 s[18:19], exec, vcc
; %bb.5255:                             ;   in Loop: Header=BB6_5236 Depth=2
	v_min_i32_e32 v3, 15, v8
	v_lshl_or_b32 v3, v3, 3, v6
	v_and_or_b32 v7, v2, 7, v3
                                        ; implicit-def: $vgpr6
; %bb.5256:                             ;   in Loop: Header=BB6_5236 Depth=2
	s_andn2_saveexec_b64 s[18:19], s[18:19]
; %bb.5257:                             ;   in Loop: Header=BB6_5236 Depth=2
	v_mov_b32_e32 v7, v6
; %bb.5258:                             ;   in Loop: Header=BB6_5236 Depth=2
	s_or_b64 exec, exec, s[18:19]
.LBB6_5259:                             ;   in Loop: Header=BB6_5236 Depth=2
	s_or_b64 exec, exec, s[58:59]
.LBB6_5260:                             ;   in Loop: Header=BB6_5236 Depth=2
	s_andn2_saveexec_b64 s[18:19], s[56:57]
	s_or_b64 exec, exec, s[18:19]
                                        ; implicit-def: $vgpr2
.LBB6_5261:                             ;   in Loop: Header=BB6_5236 Depth=2
	s_andn2_saveexec_b64 s[18:19], s[54:55]
; %bb.5262:                             ;   in Loop: Header=BB6_5236 Depth=2
	v_or_b32_sdwa v2, v2, s69 dst_sel:DWORD dst_unused:UNUSED_PAD src0_sel:BYTE_3 src1_sel:DWORD
	v_cmp_eq_u64_e32 vcc, 0, v[36:37]
	v_cndmask_b32_e32 v7, v2, v7, vcc
; %bb.5263:                             ;   in Loop: Header=BB6_5236 Depth=2
	s_or_b64 exec, exec, s[18:19]
	flat_load_ubyte v3, v[10:11] offset:64 glc slc
	v_mov_b32_e32 v6, 0
	s_waitcnt vmcnt(0) lgkmcnt(0)
	v_cmp_ne_u16_e32 vcc, 0, v3
	s_and_saveexec_b64 s[18:19], vcc
	s_cbranch_execz .LBB6_5269
; %bb.5264:                             ;   in Loop: Header=BB6_5236 Depth=2
	v_cmp_ne_u16_e32 vcc, s71, v3
	v_bfrev_b32_e32 v6, 1
	s_and_saveexec_b64 s[54:55], vcc
	s_cbranch_execz .LBB6_5268
; %bb.5265:                             ;   in Loop: Header=BB6_5236 Depth=2
	v_and_b32_e32 v2, 0xffff, v3
	v_and_b32_e32 v8, 0x7f, v2
	v_cmp_ne_u32_e32 vcc, s69, v8
	v_mov_b32_e32 v6, 0x7f800001
	s_and_saveexec_b64 s[56:57], vcc
	s_cbranch_execz .LBB6_5267
; %bb.5266:                             ;   in Loop: Header=BB6_5236 Depth=2
	v_and_b32_e32 v6, 7, v2
	v_ffbh_u32_e32 v18, v6
	v_min_u32_e32 v20, 32, v18
	v_subrev_u32_e32 v18, 28, v20
	v_lshlrev_b64 v[18:19], v18, v[2:3]
	v_lshrrev_b32_e32 v9, 3, v8
	v_sub_u32_e32 v2, 29, v20
	v_and_b32_e32 v18, 7, v18
	v_cmp_gt_u32_e32 vcc, 8, v8
	v_cndmask_b32_e32 v2, v9, v2, vcc
	v_cndmask_b32_e32 v6, v6, v18, vcc
	v_lshlrev_b32_e32 v3, 24, v3
	v_lshlrev_b32_e32 v6, 20, v6
	v_and_b32_e32 v3, 0x80000000, v3
	v_lshl_add_u32 v2, v2, 23, v21
	v_or3_b32 v6, v3, v2, v6
.LBB6_5267:                             ;   in Loop: Header=BB6_5236 Depth=2
	s_or_b64 exec, exec, s[56:57]
.LBB6_5268:                             ;   in Loop: Header=BB6_5236 Depth=2
	s_or_b64 exec, exec, s[54:55]
.LBB6_5269:                             ;   in Loop: Header=BB6_5236 Depth=2
	s_or_b64 exec, exec, s[18:19]
	v_mul_f32_e32 v2, s60, v6
	v_and_b32_sdwa v6, v2, s71 dst_sel:DWORD dst_unused:UNUSED_PAD src0_sel:BYTE_3 src1_sel:DWORD
	v_and_b32_e32 v8, 0x7f800000, v2
	v_mov_b32_e32 v9, v37
	v_and_b32_e32 v36, 0x7fffff, v2
	v_or_b32_e32 v24, 0x7e, v6
	v_cmp_ne_u64_e32 vcc, s[38:39], v[8:9]
	s_and_saveexec_b64 s[18:19], vcc
	s_xor_b64 s[54:55], exec, s[18:19]
	s_cbranch_execz .LBB6_5283
; %bb.5270:                             ;   in Loop: Header=BB6_5236 Depth=2
	v_and_b32_e32 v8, 0x7fffffff, v2
	v_mov_b32_e32 v9, v37
	v_cmp_gt_u64_e32 vcc, s[40:41], v[8:9]
	s_and_saveexec_b64 s[18:19], vcc
	s_xor_b64 s[56:57], exec, s[18:19]
	s_cbranch_execz .LBB6_5282
; %bb.5271:                             ;   in Loop: Header=BB6_5236 Depth=2
	v_cmp_ne_u32_e32 vcc, 0, v2
	v_mov_b32_e32 v24, 0
	s_and_saveexec_b64 s[58:59], vcc
	s_cbranch_execz .LBB6_5281
; %bb.5272:                             ;   in Loop: Header=BB6_5236 Depth=2
	v_bfe_u32 v2, v2, 23, 8
	v_sub_u32_e32 v8, 0x79, v2
	v_cmp_gt_u32_e32 vcc, s72, v2
	v_add_u32_e32 v3, 0xffffff81, v2
	v_cndmask_b32_e32 v8, 0, v8, vcc
	v_cmp_eq_u32_e32 vcc, 0, v2
	v_mov_b32_e32 v2, 0xffffff82
	v_cndmask_b32_e32 v18, v3, v2, vcc
	v_mov_b32_e32 v2, 0x78
	v_or_b32_e32 v9, 0x800000, v36
	v_cndmask_b32_e32 v8, v8, v2, vcc
	v_cndmask_b32_e32 v36, v9, v36, vcc
	v_add_u32_e32 v2, 20, v8
	v_lshlrev_b64 v[2:3], v2, -1
	v_add_u32_e32 v9, 19, v8
	v_lshrrev_b64 v[24:25], v8, v[36:37]
	v_not_b32_e32 v3, v3
	v_not_b32_e32 v2, v2
	v_lshlrev_b64 v[22:23], v9, 1
	v_lshrrev_b32_e32 v9, 23, v24
	v_and_b32_e32 v3, 0, v3
	v_and_b32_e32 v2, v36, v2
	v_add3_u32 v18, v8, v18, v9
	v_bfe_u32 v8, v24, 20, 1
	v_add_u32_e32 v8, -1, v8
	v_cmp_eq_u64_e32 vcc, v[2:3], v[22:23]
	v_cndmask_b32_e32 v2, 0, v8, vcc
	v_add_u32_e32 v2, v2, v24
	v_and_b32_e32 v2, 0xfffff, v2
	v_add_co_u32_e32 v2, vcc, v2, v24
	v_add_u32_e32 v9, 6, v18
	v_addc_co_u32_e32 v3, vcc, 0, v25, vcc
	v_cmp_ne_u32_e32 vcc, 0, v9
                                        ; implicit-def: $vgpr8
	s_and_saveexec_b64 s[18:19], vcc
	s_xor_b64 s[18:19], exec, s[18:19]
; %bb.5273:                             ;   in Loop: Header=BB6_5236 Depth=2
	v_add_u32_e32 v8, 7, v18
	v_cmp_lt_u64_e32 vcc, s[44:45], v[2:3]
	v_cndmask_b32_e32 v8, v9, v8, vcc
	v_cndmask_b32_e64 v9, 0, 1, vcc
	v_lshrrev_b64 v[2:3], v9, v[2:3]
; %bb.5274:                             ;   in Loop: Header=BB6_5236 Depth=2
	s_andn2_saveexec_b64 s[18:19], s[18:19]
; %bb.5275:                             ;   in Loop: Header=BB6_5236 Depth=2
	v_bfe_u32 v8, v2, 23, 1
; %bb.5276:                             ;   in Loop: Header=BB6_5236 Depth=2
	s_or_b64 exec, exec, s[18:19]
	v_lshrrev_b64 v[2:3], 20, v[2:3]
	v_cmp_gt_i32_e32 vcc, 16, v8
	v_cndmask_b32_e32 v3, 0, v3, vcc
	v_cndmask_b32_e32 v2, 7, v2, vcc
	v_cmp_ne_u32_e32 vcc, 0, v8
	v_cmp_ne_u64_e64 s[18:19], 0, v[2:3]
	s_or_b64 s[18:19], vcc, s[18:19]
                                        ; implicit-def: $vgpr24
	s_and_saveexec_b64 vcc, s[18:19]
	s_xor_b64 s[18:19], exec, vcc
; %bb.5277:                             ;   in Loop: Header=BB6_5236 Depth=2
	v_min_i32_e32 v3, 15, v8
	v_lshl_or_b32 v3, v3, 3, v6
	v_and_or_b32 v24, v2, 7, v3
                                        ; implicit-def: $vgpr6
; %bb.5278:                             ;   in Loop: Header=BB6_5236 Depth=2
	s_andn2_saveexec_b64 s[18:19], s[18:19]
; %bb.5279:                             ;   in Loop: Header=BB6_5236 Depth=2
	v_mov_b32_e32 v24, v6
; %bb.5280:                             ;   in Loop: Header=BB6_5236 Depth=2
	s_or_b64 exec, exec, s[18:19]
.LBB6_5281:                             ;   in Loop: Header=BB6_5236 Depth=2
	s_or_b64 exec, exec, s[58:59]
.LBB6_5282:                             ;   in Loop: Header=BB6_5236 Depth=2
	s_andn2_saveexec_b64 s[18:19], s[56:57]
	s_or_b64 exec, exec, s[18:19]
                                        ; implicit-def: $vgpr2
.LBB6_5283:                             ;   in Loop: Header=BB6_5236 Depth=2
	s_andn2_saveexec_b64 s[18:19], s[54:55]
; %bb.5284:                             ;   in Loop: Header=BB6_5236 Depth=2
	v_or_b32_sdwa v2, v2, s69 dst_sel:DWORD dst_unused:UNUSED_PAD src0_sel:BYTE_3 src1_sel:DWORD
	v_cmp_eq_u64_e32 vcc, 0, v[36:37]
	v_cndmask_b32_e32 v24, v2, v24, vcc
; %bb.5285:                             ;   in Loop: Header=BB6_5236 Depth=2
	s_or_b64 exec, exec, s[18:19]
	flat_load_ubyte v3, v[10:11] offset:128 glc slc
	v_mov_b32_e32 v6, 0
	s_waitcnt vmcnt(0) lgkmcnt(0)
	v_cmp_ne_u16_e32 vcc, 0, v3
	s_and_saveexec_b64 s[18:19], vcc
	s_cbranch_execz .LBB6_5291
; %bb.5286:                             ;   in Loop: Header=BB6_5236 Depth=2
	v_cmp_ne_u16_e32 vcc, s71, v3
	v_bfrev_b32_e32 v6, 1
	s_and_saveexec_b64 s[54:55], vcc
	s_cbranch_execz .LBB6_5290
; %bb.5287:                             ;   in Loop: Header=BB6_5236 Depth=2
	v_and_b32_e32 v2, 0xffff, v3
	v_and_b32_e32 v8, 0x7f, v2
	v_cmp_ne_u32_e32 vcc, s69, v8
	v_mov_b32_e32 v6, 0x7f800001
	s_and_saveexec_b64 s[56:57], vcc
	s_cbranch_execz .LBB6_5289
; %bb.5288:                             ;   in Loop: Header=BB6_5236 Depth=2
	v_and_b32_e32 v6, 7, v2
	v_ffbh_u32_e32 v18, v6
	v_min_u32_e32 v20, 32, v18
	v_subrev_u32_e32 v18, 28, v20
	v_lshlrev_b64 v[18:19], v18, v[2:3]
	v_lshrrev_b32_e32 v9, 3, v8
	v_sub_u32_e32 v2, 29, v20
	v_and_b32_e32 v18, 7, v18
	v_cmp_gt_u32_e32 vcc, 8, v8
	v_cndmask_b32_e32 v2, v9, v2, vcc
	v_cndmask_b32_e32 v6, v6, v18, vcc
	v_lshlrev_b32_e32 v3, 24, v3
	v_lshlrev_b32_e32 v6, 20, v6
	v_and_b32_e32 v3, 0x80000000, v3
	v_lshl_add_u32 v2, v2, 23, v21
	v_or3_b32 v6, v3, v2, v6
.LBB6_5289:                             ;   in Loop: Header=BB6_5236 Depth=2
	s_or_b64 exec, exec, s[56:57]
.LBB6_5290:                             ;   in Loop: Header=BB6_5236 Depth=2
	s_or_b64 exec, exec, s[54:55]
.LBB6_5291:                             ;   in Loop: Header=BB6_5236 Depth=2
	s_or_b64 exec, exec, s[18:19]
	v_mul_f32_e32 v2, s60, v6
	v_and_b32_sdwa v6, v2, s71 dst_sel:DWORD dst_unused:UNUSED_PAD src0_sel:BYTE_3 src1_sel:DWORD
	v_and_b32_e32 v8, 0x7f800000, v2
	v_mov_b32_e32 v9, v37
	v_and_b32_e32 v36, 0x7fffff, v2
	v_or_b32_e32 v34, 0x7e, v6
	v_cmp_ne_u64_e32 vcc, s[38:39], v[8:9]
	s_and_saveexec_b64 s[18:19], vcc
	s_xor_b64 s[54:55], exec, s[18:19]
	s_cbranch_execz .LBB6_5305
; %bb.5292:                             ;   in Loop: Header=BB6_5236 Depth=2
	v_and_b32_e32 v8, 0x7fffffff, v2
	v_mov_b32_e32 v9, v37
	v_cmp_gt_u64_e32 vcc, s[40:41], v[8:9]
	s_and_saveexec_b64 s[18:19], vcc
	s_xor_b64 s[56:57], exec, s[18:19]
	s_cbranch_execz .LBB6_5304
; %bb.5293:                             ;   in Loop: Header=BB6_5236 Depth=2
	v_cmp_ne_u32_e32 vcc, 0, v2
	v_mov_b32_e32 v34, 0
	s_and_saveexec_b64 s[58:59], vcc
	s_cbranch_execz .LBB6_5303
; %bb.5294:                             ;   in Loop: Header=BB6_5236 Depth=2
	v_bfe_u32 v2, v2, 23, 8
	v_sub_u32_e32 v8, 0x79, v2
	v_cmp_gt_u32_e32 vcc, s72, v2
	v_add_u32_e32 v3, 0xffffff81, v2
	v_cndmask_b32_e32 v8, 0, v8, vcc
	v_cmp_eq_u32_e32 vcc, 0, v2
	v_mov_b32_e32 v2, 0xffffff82
	v_cndmask_b32_e32 v18, v3, v2, vcc
	v_mov_b32_e32 v2, 0x78
	v_or_b32_e32 v9, 0x800000, v36
	v_cndmask_b32_e32 v8, v8, v2, vcc
	v_cndmask_b32_e32 v36, v9, v36, vcc
	v_add_u32_e32 v2, 20, v8
	v_lshlrev_b64 v[2:3], v2, -1
	v_add_u32_e32 v9, 19, v8
	v_lshrrev_b64 v[26:27], v8, v[36:37]
	v_not_b32_e32 v3, v3
	v_not_b32_e32 v2, v2
	v_lshlrev_b64 v[22:23], v9, 1
	v_lshrrev_b32_e32 v9, 23, v26
	v_and_b32_e32 v3, 0, v3
	v_and_b32_e32 v2, v36, v2
	v_add3_u32 v18, v8, v18, v9
	v_bfe_u32 v8, v26, 20, 1
	v_add_u32_e32 v8, -1, v8
	v_cmp_eq_u64_e32 vcc, v[2:3], v[22:23]
	v_cndmask_b32_e32 v2, 0, v8, vcc
	v_add_u32_e32 v2, v2, v26
	v_and_b32_e32 v2, 0xfffff, v2
	v_add_co_u32_e32 v2, vcc, v2, v26
	v_add_u32_e32 v9, 6, v18
	v_addc_co_u32_e32 v3, vcc, 0, v27, vcc
	v_cmp_ne_u32_e32 vcc, 0, v9
                                        ; implicit-def: $vgpr8
	s_and_saveexec_b64 s[18:19], vcc
	s_xor_b64 s[18:19], exec, s[18:19]
; %bb.5295:                             ;   in Loop: Header=BB6_5236 Depth=2
	v_add_u32_e32 v8, 7, v18
	v_cmp_lt_u64_e32 vcc, s[44:45], v[2:3]
	v_cndmask_b32_e32 v8, v9, v8, vcc
	v_cndmask_b32_e64 v9, 0, 1, vcc
	v_lshrrev_b64 v[2:3], v9, v[2:3]
; %bb.5296:                             ;   in Loop: Header=BB6_5236 Depth=2
	s_andn2_saveexec_b64 s[18:19], s[18:19]
; %bb.5297:                             ;   in Loop: Header=BB6_5236 Depth=2
	v_bfe_u32 v8, v2, 23, 1
; %bb.5298:                             ;   in Loop: Header=BB6_5236 Depth=2
	s_or_b64 exec, exec, s[18:19]
	v_lshrrev_b64 v[2:3], 20, v[2:3]
	v_cmp_gt_i32_e32 vcc, 16, v8
	v_cndmask_b32_e32 v3, 0, v3, vcc
	v_cndmask_b32_e32 v2, 7, v2, vcc
	v_cmp_ne_u32_e32 vcc, 0, v8
	v_cmp_ne_u64_e64 s[18:19], 0, v[2:3]
	s_or_b64 s[18:19], vcc, s[18:19]
                                        ; implicit-def: $vgpr34
	s_and_saveexec_b64 vcc, s[18:19]
	s_xor_b64 s[18:19], exec, vcc
; %bb.5299:                             ;   in Loop: Header=BB6_5236 Depth=2
	v_min_i32_e32 v3, 15, v8
	v_lshl_or_b32 v3, v3, 3, v6
	v_and_or_b32 v34, v2, 7, v3
                                        ; implicit-def: $vgpr6
; %bb.5300:                             ;   in Loop: Header=BB6_5236 Depth=2
	s_andn2_saveexec_b64 s[18:19], s[18:19]
; %bb.5301:                             ;   in Loop: Header=BB6_5236 Depth=2
	v_mov_b32_e32 v34, v6
; %bb.5302:                             ;   in Loop: Header=BB6_5236 Depth=2
	s_or_b64 exec, exec, s[18:19]
.LBB6_5303:                             ;   in Loop: Header=BB6_5236 Depth=2
	s_or_b64 exec, exec, s[58:59]
.LBB6_5304:                             ;   in Loop: Header=BB6_5236 Depth=2
	s_andn2_saveexec_b64 s[18:19], s[56:57]
	s_or_b64 exec, exec, s[18:19]
                                        ; implicit-def: $vgpr2
.LBB6_5305:                             ;   in Loop: Header=BB6_5236 Depth=2
	s_andn2_saveexec_b64 s[18:19], s[54:55]
; %bb.5306:                             ;   in Loop: Header=BB6_5236 Depth=2
	v_or_b32_sdwa v2, v2, s69 dst_sel:DWORD dst_unused:UNUSED_PAD src0_sel:BYTE_3 src1_sel:DWORD
	v_cmp_eq_u64_e32 vcc, 0, v[36:37]
	v_cndmask_b32_e32 v34, v2, v34, vcc
; %bb.5307:                             ;   in Loop: Header=BB6_5236 Depth=2
	s_or_b64 exec, exec, s[18:19]
	flat_load_ubyte v3, v[10:11] offset:192 glc slc
	v_mov_b32_e32 v6, 0
	s_waitcnt vmcnt(0) lgkmcnt(0)
	v_cmp_ne_u16_e32 vcc, 0, v3
	s_and_saveexec_b64 s[18:19], vcc
	s_cbranch_execz .LBB6_5313
; %bb.5308:                             ;   in Loop: Header=BB6_5236 Depth=2
	v_cmp_ne_u16_e32 vcc, s71, v3
	v_bfrev_b32_e32 v6, 1
	s_and_saveexec_b64 s[54:55], vcc
	s_cbranch_execz .LBB6_5312
; %bb.5309:                             ;   in Loop: Header=BB6_5236 Depth=2
	v_and_b32_e32 v2, 0xffff, v3
	v_and_b32_e32 v8, 0x7f, v2
	v_cmp_ne_u32_e32 vcc, s69, v8
	v_mov_b32_e32 v6, 0x7f800001
	s_and_saveexec_b64 s[56:57], vcc
	s_cbranch_execz .LBB6_5311
; %bb.5310:                             ;   in Loop: Header=BB6_5236 Depth=2
	v_and_b32_e32 v6, 7, v2
	v_ffbh_u32_e32 v18, v6
	v_min_u32_e32 v20, 32, v18
	v_subrev_u32_e32 v18, 28, v20
	v_lshlrev_b64 v[18:19], v18, v[2:3]
	v_lshrrev_b32_e32 v9, 3, v8
	v_sub_u32_e32 v2, 29, v20
	v_and_b32_e32 v18, 7, v18
	v_cmp_gt_u32_e32 vcc, 8, v8
	v_cndmask_b32_e32 v2, v9, v2, vcc
	v_cndmask_b32_e32 v6, v6, v18, vcc
	v_lshlrev_b32_e32 v3, 24, v3
	v_lshlrev_b32_e32 v6, 20, v6
	v_and_b32_e32 v3, 0x80000000, v3
	v_lshl_add_u32 v2, v2, 23, v21
	v_or3_b32 v6, v3, v2, v6
.LBB6_5311:                             ;   in Loop: Header=BB6_5236 Depth=2
	s_or_b64 exec, exec, s[56:57]
.LBB6_5312:                             ;   in Loop: Header=BB6_5236 Depth=2
	s_or_b64 exec, exec, s[54:55]
.LBB6_5313:                             ;   in Loop: Header=BB6_5236 Depth=2
	s_or_b64 exec, exec, s[18:19]
	v_mul_f32_e32 v2, s60, v6
	v_and_b32_sdwa v6, v2, s71 dst_sel:DWORD dst_unused:UNUSED_PAD src0_sel:BYTE_3 src1_sel:DWORD
	v_and_b32_e32 v8, 0x7f800000, v2
	v_mov_b32_e32 v9, v37
	v_and_b32_e32 v36, 0x7fffff, v2
	v_or_b32_e32 v33, 0x7e, v6
	v_cmp_ne_u64_e32 vcc, s[38:39], v[8:9]
	s_and_saveexec_b64 s[18:19], vcc
	s_xor_b64 s[54:55], exec, s[18:19]
	s_cbranch_execz .LBB6_5327
; %bb.5314:                             ;   in Loop: Header=BB6_5236 Depth=2
	v_and_b32_e32 v8, 0x7fffffff, v2
	v_mov_b32_e32 v9, v37
	v_cmp_gt_u64_e32 vcc, s[40:41], v[8:9]
	s_and_saveexec_b64 s[18:19], vcc
	s_xor_b64 s[56:57], exec, s[18:19]
	s_cbranch_execz .LBB6_5326
; %bb.5315:                             ;   in Loop: Header=BB6_5236 Depth=2
	v_cmp_ne_u32_e32 vcc, 0, v2
	v_mov_b32_e32 v33, 0
	s_and_saveexec_b64 s[58:59], vcc
	s_cbranch_execz .LBB6_5325
; %bb.5316:                             ;   in Loop: Header=BB6_5236 Depth=2
	v_bfe_u32 v2, v2, 23, 8
	v_sub_u32_e32 v8, 0x79, v2
	v_cmp_gt_u32_e32 vcc, s72, v2
	v_add_u32_e32 v3, 0xffffff81, v2
	v_cndmask_b32_e32 v8, 0, v8, vcc
	v_cmp_eq_u32_e32 vcc, 0, v2
	v_mov_b32_e32 v2, 0xffffff82
	v_cndmask_b32_e32 v18, v3, v2, vcc
	v_mov_b32_e32 v2, 0x78
	v_or_b32_e32 v9, 0x800000, v36
	v_cndmask_b32_e32 v8, v8, v2, vcc
	v_cndmask_b32_e32 v36, v9, v36, vcc
	v_add_u32_e32 v2, 20, v8
	v_lshlrev_b64 v[2:3], v2, -1
	v_add_u32_e32 v9, 19, v8
	v_lshrrev_b64 v[26:27], v8, v[36:37]
	v_not_b32_e32 v3, v3
	v_not_b32_e32 v2, v2
	v_lshlrev_b64 v[22:23], v9, 1
	v_lshrrev_b32_e32 v9, 23, v26
	v_and_b32_e32 v3, 0, v3
	v_and_b32_e32 v2, v36, v2
	v_add3_u32 v18, v8, v18, v9
	v_bfe_u32 v8, v26, 20, 1
	v_add_u32_e32 v8, -1, v8
	v_cmp_eq_u64_e32 vcc, v[2:3], v[22:23]
	v_cndmask_b32_e32 v2, 0, v8, vcc
	v_add_u32_e32 v2, v2, v26
	v_and_b32_e32 v2, 0xfffff, v2
	v_add_co_u32_e32 v2, vcc, v2, v26
	v_add_u32_e32 v9, 6, v18
	v_addc_co_u32_e32 v3, vcc, 0, v27, vcc
	v_cmp_ne_u32_e32 vcc, 0, v9
                                        ; implicit-def: $vgpr8
	s_and_saveexec_b64 s[18:19], vcc
	s_xor_b64 s[18:19], exec, s[18:19]
; %bb.5317:                             ;   in Loop: Header=BB6_5236 Depth=2
	v_add_u32_e32 v8, 7, v18
	v_cmp_lt_u64_e32 vcc, s[44:45], v[2:3]
	v_cndmask_b32_e32 v8, v9, v8, vcc
	v_cndmask_b32_e64 v9, 0, 1, vcc
	v_lshrrev_b64 v[2:3], v9, v[2:3]
; %bb.5318:                             ;   in Loop: Header=BB6_5236 Depth=2
	s_andn2_saveexec_b64 s[18:19], s[18:19]
; %bb.5319:                             ;   in Loop: Header=BB6_5236 Depth=2
	v_bfe_u32 v8, v2, 23, 1
; %bb.5320:                             ;   in Loop: Header=BB6_5236 Depth=2
	s_or_b64 exec, exec, s[18:19]
	v_lshrrev_b64 v[2:3], 20, v[2:3]
	v_cmp_gt_i32_e32 vcc, 16, v8
	v_cndmask_b32_e32 v3, 0, v3, vcc
	v_cndmask_b32_e32 v2, 7, v2, vcc
	v_cmp_ne_u32_e32 vcc, 0, v8
	v_cmp_ne_u64_e64 s[18:19], 0, v[2:3]
	s_or_b64 s[18:19], vcc, s[18:19]
                                        ; implicit-def: $vgpr33
	s_and_saveexec_b64 vcc, s[18:19]
	s_xor_b64 s[18:19], exec, vcc
; %bb.5321:                             ;   in Loop: Header=BB6_5236 Depth=2
	v_min_i32_e32 v3, 15, v8
	v_lshl_or_b32 v3, v3, 3, v6
	v_and_or_b32 v33, v2, 7, v3
                                        ; implicit-def: $vgpr6
; %bb.5322:                             ;   in Loop: Header=BB6_5236 Depth=2
	s_andn2_saveexec_b64 s[18:19], s[18:19]
; %bb.5323:                             ;   in Loop: Header=BB6_5236 Depth=2
	v_mov_b32_e32 v33, v6
; %bb.5324:                             ;   in Loop: Header=BB6_5236 Depth=2
	s_or_b64 exec, exec, s[18:19]
.LBB6_5325:                             ;   in Loop: Header=BB6_5236 Depth=2
	s_or_b64 exec, exec, s[58:59]
.LBB6_5326:                             ;   in Loop: Header=BB6_5236 Depth=2
	s_andn2_saveexec_b64 s[18:19], s[56:57]
	s_or_b64 exec, exec, s[18:19]
                                        ; implicit-def: $vgpr2
.LBB6_5327:                             ;   in Loop: Header=BB6_5236 Depth=2
	s_andn2_saveexec_b64 s[18:19], s[54:55]
; %bb.5328:                             ;   in Loop: Header=BB6_5236 Depth=2
	v_or_b32_sdwa v2, v2, s69 dst_sel:DWORD dst_unused:UNUSED_PAD src0_sel:BYTE_3 src1_sel:DWORD
	v_cmp_eq_u64_e32 vcc, 0, v[36:37]
	v_cndmask_b32_e32 v33, v2, v33, vcc
; %bb.5329:                             ;   in Loop: Header=BB6_5236 Depth=2
	s_or_b64 exec, exec, s[18:19]
	flat_load_ubyte v3, v[10:11] offset:256 glc slc
	v_mov_b32_e32 v6, 0
	s_waitcnt vmcnt(0) lgkmcnt(0)
	v_cmp_ne_u16_e32 vcc, 0, v3
	s_and_saveexec_b64 s[18:19], vcc
	s_cbranch_execz .LBB6_5335
; %bb.5330:                             ;   in Loop: Header=BB6_5236 Depth=2
	v_cmp_ne_u16_e32 vcc, s71, v3
	v_bfrev_b32_e32 v6, 1
	s_and_saveexec_b64 s[54:55], vcc
	s_cbranch_execz .LBB6_5334
; %bb.5331:                             ;   in Loop: Header=BB6_5236 Depth=2
	v_and_b32_e32 v2, 0xffff, v3
	v_and_b32_e32 v8, 0x7f, v2
	v_cmp_ne_u32_e32 vcc, s69, v8
	v_mov_b32_e32 v6, 0x7f800001
	s_and_saveexec_b64 s[56:57], vcc
	s_cbranch_execz .LBB6_5333
; %bb.5332:                             ;   in Loop: Header=BB6_5236 Depth=2
	v_and_b32_e32 v6, 7, v2
	v_ffbh_u32_e32 v18, v6
	v_min_u32_e32 v20, 32, v18
	v_subrev_u32_e32 v18, 28, v20
	v_lshlrev_b64 v[18:19], v18, v[2:3]
	v_lshrrev_b32_e32 v9, 3, v8
	v_sub_u32_e32 v2, 29, v20
	v_and_b32_e32 v18, 7, v18
	v_cmp_gt_u32_e32 vcc, 8, v8
	v_cndmask_b32_e32 v2, v9, v2, vcc
	v_cndmask_b32_e32 v6, v6, v18, vcc
	v_lshlrev_b32_e32 v3, 24, v3
	v_lshlrev_b32_e32 v6, 20, v6
	v_and_b32_e32 v3, 0x80000000, v3
	v_lshl_add_u32 v2, v2, 23, v21
	v_or3_b32 v6, v3, v2, v6
.LBB6_5333:                             ;   in Loop: Header=BB6_5236 Depth=2
	s_or_b64 exec, exec, s[56:57]
.LBB6_5334:                             ;   in Loop: Header=BB6_5236 Depth=2
	s_or_b64 exec, exec, s[54:55]
.LBB6_5335:                             ;   in Loop: Header=BB6_5236 Depth=2
	s_or_b64 exec, exec, s[18:19]
	v_mul_f32_e32 v2, s60, v6
	v_and_b32_sdwa v6, v2, s71 dst_sel:DWORD dst_unused:UNUSED_PAD src0_sel:BYTE_3 src1_sel:DWORD
	v_and_b32_e32 v8, 0x7f800000, v2
	v_mov_b32_e32 v9, v37
	v_and_b32_e32 v36, 0x7fffff, v2
	v_or_b32_e32 v32, 0x7e, v6
	v_cmp_ne_u64_e32 vcc, s[38:39], v[8:9]
	s_and_saveexec_b64 s[18:19], vcc
	s_xor_b64 s[54:55], exec, s[18:19]
	s_cbranch_execz .LBB6_5349
; %bb.5336:                             ;   in Loop: Header=BB6_5236 Depth=2
	v_and_b32_e32 v8, 0x7fffffff, v2
	v_mov_b32_e32 v9, v37
	v_cmp_gt_u64_e32 vcc, s[40:41], v[8:9]
	s_and_saveexec_b64 s[18:19], vcc
	s_xor_b64 s[56:57], exec, s[18:19]
	s_cbranch_execz .LBB6_5348
; %bb.5337:                             ;   in Loop: Header=BB6_5236 Depth=2
	v_cmp_ne_u32_e32 vcc, 0, v2
	v_mov_b32_e32 v32, 0
	s_and_saveexec_b64 s[58:59], vcc
	s_cbranch_execz .LBB6_5347
; %bb.5338:                             ;   in Loop: Header=BB6_5236 Depth=2
	v_bfe_u32 v2, v2, 23, 8
	v_sub_u32_e32 v8, 0x79, v2
	v_cmp_gt_u32_e32 vcc, s72, v2
	v_add_u32_e32 v3, 0xffffff81, v2
	v_cndmask_b32_e32 v8, 0, v8, vcc
	v_cmp_eq_u32_e32 vcc, 0, v2
	v_mov_b32_e32 v2, 0xffffff82
	v_cndmask_b32_e32 v18, v3, v2, vcc
	v_mov_b32_e32 v2, 0x78
	v_or_b32_e32 v9, 0x800000, v36
	v_cndmask_b32_e32 v8, v8, v2, vcc
	v_cndmask_b32_e32 v36, v9, v36, vcc
	v_add_u32_e32 v2, 20, v8
	v_lshlrev_b64 v[2:3], v2, -1
	v_add_u32_e32 v9, 19, v8
	v_lshrrev_b64 v[26:27], v8, v[36:37]
	v_not_b32_e32 v3, v3
	v_not_b32_e32 v2, v2
	v_lshlrev_b64 v[22:23], v9, 1
	v_lshrrev_b32_e32 v9, 23, v26
	v_and_b32_e32 v3, 0, v3
	v_and_b32_e32 v2, v36, v2
	v_add3_u32 v18, v8, v18, v9
	v_bfe_u32 v8, v26, 20, 1
	v_add_u32_e32 v8, -1, v8
	v_cmp_eq_u64_e32 vcc, v[2:3], v[22:23]
	v_cndmask_b32_e32 v2, 0, v8, vcc
	v_add_u32_e32 v2, v2, v26
	v_and_b32_e32 v2, 0xfffff, v2
	v_add_co_u32_e32 v2, vcc, v2, v26
	v_add_u32_e32 v9, 6, v18
	v_addc_co_u32_e32 v3, vcc, 0, v27, vcc
	v_cmp_ne_u32_e32 vcc, 0, v9
                                        ; implicit-def: $vgpr8
	s_and_saveexec_b64 s[18:19], vcc
	s_xor_b64 s[18:19], exec, s[18:19]
; %bb.5339:                             ;   in Loop: Header=BB6_5236 Depth=2
	v_add_u32_e32 v8, 7, v18
	v_cmp_lt_u64_e32 vcc, s[44:45], v[2:3]
	v_cndmask_b32_e32 v8, v9, v8, vcc
	v_cndmask_b32_e64 v9, 0, 1, vcc
	v_lshrrev_b64 v[2:3], v9, v[2:3]
; %bb.5340:                             ;   in Loop: Header=BB6_5236 Depth=2
	s_andn2_saveexec_b64 s[18:19], s[18:19]
; %bb.5341:                             ;   in Loop: Header=BB6_5236 Depth=2
	v_bfe_u32 v8, v2, 23, 1
; %bb.5342:                             ;   in Loop: Header=BB6_5236 Depth=2
	s_or_b64 exec, exec, s[18:19]
	v_lshrrev_b64 v[2:3], 20, v[2:3]
	v_cmp_gt_i32_e32 vcc, 16, v8
	v_cndmask_b32_e32 v3, 0, v3, vcc
	v_cndmask_b32_e32 v2, 7, v2, vcc
	v_cmp_ne_u32_e32 vcc, 0, v8
	v_cmp_ne_u64_e64 s[18:19], 0, v[2:3]
	s_or_b64 s[18:19], vcc, s[18:19]
                                        ; implicit-def: $vgpr32
	s_and_saveexec_b64 vcc, s[18:19]
	s_xor_b64 s[18:19], exec, vcc
; %bb.5343:                             ;   in Loop: Header=BB6_5236 Depth=2
	v_min_i32_e32 v3, 15, v8
	v_lshl_or_b32 v3, v3, 3, v6
	v_and_or_b32 v32, v2, 7, v3
                                        ; implicit-def: $vgpr6
; %bb.5344:                             ;   in Loop: Header=BB6_5236 Depth=2
	s_andn2_saveexec_b64 s[18:19], s[18:19]
; %bb.5345:                             ;   in Loop: Header=BB6_5236 Depth=2
	v_mov_b32_e32 v32, v6
; %bb.5346:                             ;   in Loop: Header=BB6_5236 Depth=2
	s_or_b64 exec, exec, s[18:19]
.LBB6_5347:                             ;   in Loop: Header=BB6_5236 Depth=2
	s_or_b64 exec, exec, s[58:59]
.LBB6_5348:                             ;   in Loop: Header=BB6_5236 Depth=2
	s_andn2_saveexec_b64 s[18:19], s[56:57]
	s_or_b64 exec, exec, s[18:19]
                                        ; implicit-def: $vgpr2
.LBB6_5349:                             ;   in Loop: Header=BB6_5236 Depth=2
	s_andn2_saveexec_b64 s[18:19], s[54:55]
; %bb.5350:                             ;   in Loop: Header=BB6_5236 Depth=2
	v_or_b32_sdwa v2, v2, s69 dst_sel:DWORD dst_unused:UNUSED_PAD src0_sel:BYTE_3 src1_sel:DWORD
	v_cmp_eq_u64_e32 vcc, 0, v[36:37]
	v_cndmask_b32_e32 v32, v2, v32, vcc
; %bb.5351:                             ;   in Loop: Header=BB6_5236 Depth=2
	s_or_b64 exec, exec, s[18:19]
	flat_load_ubyte v3, v[10:11] offset:320 glc slc
	v_mov_b32_e32 v6, 0
	s_waitcnt vmcnt(0) lgkmcnt(0)
	v_cmp_ne_u16_e32 vcc, 0, v3
	s_and_saveexec_b64 s[18:19], vcc
	s_cbranch_execz .LBB6_5357
; %bb.5352:                             ;   in Loop: Header=BB6_5236 Depth=2
	v_cmp_ne_u16_e32 vcc, s71, v3
	v_bfrev_b32_e32 v6, 1
	s_and_saveexec_b64 s[54:55], vcc
	s_cbranch_execz .LBB6_5356
; %bb.5353:                             ;   in Loop: Header=BB6_5236 Depth=2
	v_and_b32_e32 v2, 0xffff, v3
	v_and_b32_e32 v8, 0x7f, v2
	v_cmp_ne_u32_e32 vcc, s69, v8
	v_mov_b32_e32 v6, 0x7f800001
	s_and_saveexec_b64 s[56:57], vcc
	s_cbranch_execz .LBB6_5355
; %bb.5354:                             ;   in Loop: Header=BB6_5236 Depth=2
	v_and_b32_e32 v6, 7, v2
	v_ffbh_u32_e32 v18, v6
	v_min_u32_e32 v20, 32, v18
	v_subrev_u32_e32 v18, 28, v20
	v_lshlrev_b64 v[18:19], v18, v[2:3]
	v_lshrrev_b32_e32 v9, 3, v8
	v_sub_u32_e32 v2, 29, v20
	v_and_b32_e32 v18, 7, v18
	v_cmp_gt_u32_e32 vcc, 8, v8
	v_cndmask_b32_e32 v2, v9, v2, vcc
	v_cndmask_b32_e32 v6, v6, v18, vcc
	v_lshlrev_b32_e32 v3, 24, v3
	v_lshlrev_b32_e32 v6, 20, v6
	v_and_b32_e32 v3, 0x80000000, v3
	v_lshl_add_u32 v2, v2, 23, v21
	v_or3_b32 v6, v3, v2, v6
.LBB6_5355:                             ;   in Loop: Header=BB6_5236 Depth=2
	s_or_b64 exec, exec, s[56:57]
.LBB6_5356:                             ;   in Loop: Header=BB6_5236 Depth=2
	s_or_b64 exec, exec, s[54:55]
.LBB6_5357:                             ;   in Loop: Header=BB6_5236 Depth=2
	s_or_b64 exec, exec, s[18:19]
	v_mul_f32_e32 v2, s60, v6
	v_and_b32_sdwa v6, v2, s71 dst_sel:DWORD dst_unused:UNUSED_PAD src0_sel:BYTE_3 src1_sel:DWORD
	v_and_b32_e32 v8, 0x7f800000, v2
	v_mov_b32_e32 v9, v37
	v_and_b32_e32 v36, 0x7fffff, v2
	v_or_b32_e32 v31, 0x7e, v6
	v_cmp_ne_u64_e32 vcc, s[38:39], v[8:9]
	s_and_saveexec_b64 s[18:19], vcc
	s_xor_b64 s[54:55], exec, s[18:19]
	s_cbranch_execz .LBB6_5371
; %bb.5358:                             ;   in Loop: Header=BB6_5236 Depth=2
	v_and_b32_e32 v8, 0x7fffffff, v2
	v_mov_b32_e32 v9, v37
	v_cmp_gt_u64_e32 vcc, s[40:41], v[8:9]
	s_and_saveexec_b64 s[18:19], vcc
	s_xor_b64 s[56:57], exec, s[18:19]
	s_cbranch_execz .LBB6_5370
; %bb.5359:                             ;   in Loop: Header=BB6_5236 Depth=2
	v_cmp_ne_u32_e32 vcc, 0, v2
	v_mov_b32_e32 v31, 0
	s_and_saveexec_b64 s[58:59], vcc
	s_cbranch_execz .LBB6_5369
; %bb.5360:                             ;   in Loop: Header=BB6_5236 Depth=2
	v_bfe_u32 v2, v2, 23, 8
	v_sub_u32_e32 v8, 0x79, v2
	v_cmp_gt_u32_e32 vcc, s72, v2
	v_add_u32_e32 v3, 0xffffff81, v2
	v_cndmask_b32_e32 v8, 0, v8, vcc
	v_cmp_eq_u32_e32 vcc, 0, v2
	v_mov_b32_e32 v2, 0xffffff82
	v_cndmask_b32_e32 v18, v3, v2, vcc
	v_mov_b32_e32 v2, 0x78
	v_or_b32_e32 v9, 0x800000, v36
	v_cndmask_b32_e32 v8, v8, v2, vcc
	v_cndmask_b32_e32 v36, v9, v36, vcc
	v_add_u32_e32 v2, 20, v8
	v_lshlrev_b64 v[2:3], v2, -1
	v_add_u32_e32 v9, 19, v8
	v_lshrrev_b64 v[26:27], v8, v[36:37]
	v_not_b32_e32 v3, v3
	v_not_b32_e32 v2, v2
	v_lshlrev_b64 v[22:23], v9, 1
	v_lshrrev_b32_e32 v9, 23, v26
	v_and_b32_e32 v3, 0, v3
	v_and_b32_e32 v2, v36, v2
	v_add3_u32 v18, v8, v18, v9
	v_bfe_u32 v8, v26, 20, 1
	v_add_u32_e32 v8, -1, v8
	v_cmp_eq_u64_e32 vcc, v[2:3], v[22:23]
	v_cndmask_b32_e32 v2, 0, v8, vcc
	v_add_u32_e32 v2, v2, v26
	v_and_b32_e32 v2, 0xfffff, v2
	v_add_co_u32_e32 v2, vcc, v2, v26
	v_add_u32_e32 v9, 6, v18
	v_addc_co_u32_e32 v3, vcc, 0, v27, vcc
	v_cmp_ne_u32_e32 vcc, 0, v9
                                        ; implicit-def: $vgpr8
	s_and_saveexec_b64 s[18:19], vcc
	s_xor_b64 s[18:19], exec, s[18:19]
; %bb.5361:                             ;   in Loop: Header=BB6_5236 Depth=2
	v_add_u32_e32 v8, 7, v18
	v_cmp_lt_u64_e32 vcc, s[44:45], v[2:3]
	v_cndmask_b32_e32 v8, v9, v8, vcc
	v_cndmask_b32_e64 v9, 0, 1, vcc
	v_lshrrev_b64 v[2:3], v9, v[2:3]
; %bb.5362:                             ;   in Loop: Header=BB6_5236 Depth=2
	s_andn2_saveexec_b64 s[18:19], s[18:19]
; %bb.5363:                             ;   in Loop: Header=BB6_5236 Depth=2
	v_bfe_u32 v8, v2, 23, 1
; %bb.5364:                             ;   in Loop: Header=BB6_5236 Depth=2
	s_or_b64 exec, exec, s[18:19]
	v_lshrrev_b64 v[2:3], 20, v[2:3]
	v_cmp_gt_i32_e32 vcc, 16, v8
	v_cndmask_b32_e32 v3, 0, v3, vcc
	v_cndmask_b32_e32 v2, 7, v2, vcc
	v_cmp_ne_u32_e32 vcc, 0, v8
	v_cmp_ne_u64_e64 s[18:19], 0, v[2:3]
	s_or_b64 s[18:19], vcc, s[18:19]
                                        ; implicit-def: $vgpr31
	s_and_saveexec_b64 vcc, s[18:19]
	s_xor_b64 s[18:19], exec, vcc
; %bb.5365:                             ;   in Loop: Header=BB6_5236 Depth=2
	v_min_i32_e32 v3, 15, v8
	v_lshl_or_b32 v3, v3, 3, v6
	v_and_or_b32 v31, v2, 7, v3
                                        ; implicit-def: $vgpr6
; %bb.5366:                             ;   in Loop: Header=BB6_5236 Depth=2
	s_andn2_saveexec_b64 s[18:19], s[18:19]
; %bb.5367:                             ;   in Loop: Header=BB6_5236 Depth=2
	v_mov_b32_e32 v31, v6
; %bb.5368:                             ;   in Loop: Header=BB6_5236 Depth=2
	s_or_b64 exec, exec, s[18:19]
.LBB6_5369:                             ;   in Loop: Header=BB6_5236 Depth=2
	s_or_b64 exec, exec, s[58:59]
.LBB6_5370:                             ;   in Loop: Header=BB6_5236 Depth=2
	s_andn2_saveexec_b64 s[18:19], s[56:57]
	s_or_b64 exec, exec, s[18:19]
                                        ; implicit-def: $vgpr2
.LBB6_5371:                             ;   in Loop: Header=BB6_5236 Depth=2
	s_andn2_saveexec_b64 s[18:19], s[54:55]
; %bb.5372:                             ;   in Loop: Header=BB6_5236 Depth=2
	v_or_b32_sdwa v2, v2, s69 dst_sel:DWORD dst_unused:UNUSED_PAD src0_sel:BYTE_3 src1_sel:DWORD
	v_cmp_eq_u64_e32 vcc, 0, v[36:37]
	v_cndmask_b32_e32 v31, v2, v31, vcc
; %bb.5373:                             ;   in Loop: Header=BB6_5236 Depth=2
	s_or_b64 exec, exec, s[18:19]
	flat_load_ubyte v3, v[10:11] offset:384 glc slc
	v_mov_b32_e32 v6, 0
	s_waitcnt vmcnt(0) lgkmcnt(0)
	v_cmp_ne_u16_e32 vcc, 0, v3
	s_and_saveexec_b64 s[18:19], vcc
	s_cbranch_execz .LBB6_5379
; %bb.5374:                             ;   in Loop: Header=BB6_5236 Depth=2
	v_cmp_ne_u16_e32 vcc, s71, v3
	v_bfrev_b32_e32 v6, 1
	s_and_saveexec_b64 s[54:55], vcc
	s_cbranch_execz .LBB6_5378
; %bb.5375:                             ;   in Loop: Header=BB6_5236 Depth=2
	v_and_b32_e32 v2, 0xffff, v3
	v_and_b32_e32 v8, 0x7f, v2
	v_cmp_ne_u32_e32 vcc, s69, v8
	v_mov_b32_e32 v6, 0x7f800001
	s_and_saveexec_b64 s[56:57], vcc
	s_cbranch_execz .LBB6_5377
; %bb.5376:                             ;   in Loop: Header=BB6_5236 Depth=2
	v_and_b32_e32 v6, 7, v2
	v_ffbh_u32_e32 v18, v6
	v_min_u32_e32 v20, 32, v18
	v_subrev_u32_e32 v18, 28, v20
	v_lshlrev_b64 v[18:19], v18, v[2:3]
	v_lshrrev_b32_e32 v9, 3, v8
	v_sub_u32_e32 v2, 29, v20
	v_and_b32_e32 v18, 7, v18
	v_cmp_gt_u32_e32 vcc, 8, v8
	v_cndmask_b32_e32 v2, v9, v2, vcc
	v_cndmask_b32_e32 v6, v6, v18, vcc
	v_lshlrev_b32_e32 v3, 24, v3
	v_lshlrev_b32_e32 v6, 20, v6
	v_and_b32_e32 v3, 0x80000000, v3
	v_lshl_add_u32 v2, v2, 23, v21
	v_or3_b32 v6, v3, v2, v6
.LBB6_5377:                             ;   in Loop: Header=BB6_5236 Depth=2
	s_or_b64 exec, exec, s[56:57]
.LBB6_5378:                             ;   in Loop: Header=BB6_5236 Depth=2
	s_or_b64 exec, exec, s[54:55]
.LBB6_5379:                             ;   in Loop: Header=BB6_5236 Depth=2
	s_or_b64 exec, exec, s[18:19]
	v_mul_f32_e32 v2, s60, v6
	v_and_b32_sdwa v6, v2, s71 dst_sel:DWORD dst_unused:UNUSED_PAD src0_sel:BYTE_3 src1_sel:DWORD
	v_and_b32_e32 v8, 0x7f800000, v2
	v_mov_b32_e32 v9, v37
	v_and_b32_e32 v36, 0x7fffff, v2
	v_or_b32_e32 v30, 0x7e, v6
	v_cmp_ne_u64_e32 vcc, s[38:39], v[8:9]
	s_and_saveexec_b64 s[18:19], vcc
	s_xor_b64 s[54:55], exec, s[18:19]
	s_cbranch_execz .LBB6_5393
; %bb.5380:                             ;   in Loop: Header=BB6_5236 Depth=2
	v_and_b32_e32 v8, 0x7fffffff, v2
	v_mov_b32_e32 v9, v37
	v_cmp_gt_u64_e32 vcc, s[40:41], v[8:9]
	s_and_saveexec_b64 s[18:19], vcc
	s_xor_b64 s[56:57], exec, s[18:19]
	s_cbranch_execz .LBB6_5392
; %bb.5381:                             ;   in Loop: Header=BB6_5236 Depth=2
	v_cmp_ne_u32_e32 vcc, 0, v2
	v_mov_b32_e32 v30, 0
	s_and_saveexec_b64 s[58:59], vcc
	s_cbranch_execz .LBB6_5391
; %bb.5382:                             ;   in Loop: Header=BB6_5236 Depth=2
	v_bfe_u32 v2, v2, 23, 8
	v_sub_u32_e32 v8, 0x79, v2
	v_cmp_gt_u32_e32 vcc, s72, v2
	v_add_u32_e32 v3, 0xffffff81, v2
	v_cndmask_b32_e32 v8, 0, v8, vcc
	v_cmp_eq_u32_e32 vcc, 0, v2
	v_mov_b32_e32 v2, 0xffffff82
	v_cndmask_b32_e32 v18, v3, v2, vcc
	v_mov_b32_e32 v2, 0x78
	v_or_b32_e32 v9, 0x800000, v36
	v_cndmask_b32_e32 v8, v8, v2, vcc
	v_cndmask_b32_e32 v36, v9, v36, vcc
	v_add_u32_e32 v2, 20, v8
	v_lshlrev_b64 v[2:3], v2, -1
	v_add_u32_e32 v9, 19, v8
	v_lshrrev_b64 v[26:27], v8, v[36:37]
	v_not_b32_e32 v3, v3
	v_not_b32_e32 v2, v2
	v_lshlrev_b64 v[22:23], v9, 1
	v_lshrrev_b32_e32 v9, 23, v26
	v_and_b32_e32 v3, 0, v3
	v_and_b32_e32 v2, v36, v2
	v_add3_u32 v18, v8, v18, v9
	v_bfe_u32 v8, v26, 20, 1
	v_add_u32_e32 v8, -1, v8
	v_cmp_eq_u64_e32 vcc, v[2:3], v[22:23]
	v_cndmask_b32_e32 v2, 0, v8, vcc
	v_add_u32_e32 v2, v2, v26
	v_and_b32_e32 v2, 0xfffff, v2
	v_add_co_u32_e32 v2, vcc, v2, v26
	v_add_u32_e32 v9, 6, v18
	v_addc_co_u32_e32 v3, vcc, 0, v27, vcc
	v_cmp_ne_u32_e32 vcc, 0, v9
                                        ; implicit-def: $vgpr8
	s_and_saveexec_b64 s[18:19], vcc
	s_xor_b64 s[18:19], exec, s[18:19]
; %bb.5383:                             ;   in Loop: Header=BB6_5236 Depth=2
	v_add_u32_e32 v8, 7, v18
	v_cmp_lt_u64_e32 vcc, s[44:45], v[2:3]
	v_cndmask_b32_e32 v8, v9, v8, vcc
	v_cndmask_b32_e64 v9, 0, 1, vcc
	v_lshrrev_b64 v[2:3], v9, v[2:3]
; %bb.5384:                             ;   in Loop: Header=BB6_5236 Depth=2
	s_andn2_saveexec_b64 s[18:19], s[18:19]
; %bb.5385:                             ;   in Loop: Header=BB6_5236 Depth=2
	v_bfe_u32 v8, v2, 23, 1
; %bb.5386:                             ;   in Loop: Header=BB6_5236 Depth=2
	s_or_b64 exec, exec, s[18:19]
	v_lshrrev_b64 v[2:3], 20, v[2:3]
	v_cmp_gt_i32_e32 vcc, 16, v8
	v_cndmask_b32_e32 v3, 0, v3, vcc
	v_cndmask_b32_e32 v2, 7, v2, vcc
	v_cmp_ne_u32_e32 vcc, 0, v8
	v_cmp_ne_u64_e64 s[18:19], 0, v[2:3]
	s_or_b64 s[18:19], vcc, s[18:19]
                                        ; implicit-def: $vgpr30
	s_and_saveexec_b64 vcc, s[18:19]
	s_xor_b64 s[18:19], exec, vcc
; %bb.5387:                             ;   in Loop: Header=BB6_5236 Depth=2
	v_min_i32_e32 v3, 15, v8
	v_lshl_or_b32 v3, v3, 3, v6
	v_and_or_b32 v30, v2, 7, v3
                                        ; implicit-def: $vgpr6
; %bb.5388:                             ;   in Loop: Header=BB6_5236 Depth=2
	s_andn2_saveexec_b64 s[18:19], s[18:19]
; %bb.5389:                             ;   in Loop: Header=BB6_5236 Depth=2
	v_mov_b32_e32 v30, v6
; %bb.5390:                             ;   in Loop: Header=BB6_5236 Depth=2
	s_or_b64 exec, exec, s[18:19]
.LBB6_5391:                             ;   in Loop: Header=BB6_5236 Depth=2
	s_or_b64 exec, exec, s[58:59]
.LBB6_5392:                             ;   in Loop: Header=BB6_5236 Depth=2
	s_andn2_saveexec_b64 s[18:19], s[56:57]
	s_or_b64 exec, exec, s[18:19]
                                        ; implicit-def: $vgpr2
.LBB6_5393:                             ;   in Loop: Header=BB6_5236 Depth=2
	s_andn2_saveexec_b64 s[18:19], s[54:55]
; %bb.5394:                             ;   in Loop: Header=BB6_5236 Depth=2
	v_or_b32_sdwa v2, v2, s69 dst_sel:DWORD dst_unused:UNUSED_PAD src0_sel:BYTE_3 src1_sel:DWORD
	v_cmp_eq_u64_e32 vcc, 0, v[36:37]
	v_cndmask_b32_e32 v30, v2, v30, vcc
; %bb.5395:                             ;   in Loop: Header=BB6_5236 Depth=2
	s_or_b64 exec, exec, s[18:19]
	flat_load_ubyte v3, v[10:11] offset:448 glc slc
	v_mov_b32_e32 v6, 0
	s_waitcnt vmcnt(0) lgkmcnt(0)
	v_cmp_ne_u16_e32 vcc, 0, v3
	s_and_saveexec_b64 s[18:19], vcc
	s_cbranch_execz .LBB6_5401
; %bb.5396:                             ;   in Loop: Header=BB6_5236 Depth=2
	v_cmp_ne_u16_e32 vcc, s71, v3
	v_bfrev_b32_e32 v6, 1
	s_and_saveexec_b64 s[54:55], vcc
	s_cbranch_execz .LBB6_5400
; %bb.5397:                             ;   in Loop: Header=BB6_5236 Depth=2
	v_and_b32_e32 v2, 0xffff, v3
	v_and_b32_e32 v8, 0x7f, v2
	v_cmp_ne_u32_e32 vcc, s69, v8
	v_mov_b32_e32 v6, 0x7f800001
	s_and_saveexec_b64 s[56:57], vcc
	s_cbranch_execz .LBB6_5399
; %bb.5398:                             ;   in Loop: Header=BB6_5236 Depth=2
	v_and_b32_e32 v6, 7, v2
	v_ffbh_u32_e32 v18, v6
	v_min_u32_e32 v20, 32, v18
	v_subrev_u32_e32 v18, 28, v20
	v_lshlrev_b64 v[18:19], v18, v[2:3]
	v_lshrrev_b32_e32 v9, 3, v8
	v_sub_u32_e32 v2, 29, v20
	v_and_b32_e32 v18, 7, v18
	v_cmp_gt_u32_e32 vcc, 8, v8
	v_cndmask_b32_e32 v2, v9, v2, vcc
	v_cndmask_b32_e32 v6, v6, v18, vcc
	v_lshlrev_b32_e32 v3, 24, v3
	v_lshlrev_b32_e32 v6, 20, v6
	v_and_b32_e32 v3, 0x80000000, v3
	v_lshl_add_u32 v2, v2, 23, v21
	v_or3_b32 v6, v3, v2, v6
.LBB6_5399:                             ;   in Loop: Header=BB6_5236 Depth=2
	s_or_b64 exec, exec, s[56:57]
.LBB6_5400:                             ;   in Loop: Header=BB6_5236 Depth=2
	s_or_b64 exec, exec, s[54:55]
.LBB6_5401:                             ;   in Loop: Header=BB6_5236 Depth=2
	s_or_b64 exec, exec, s[18:19]
	v_mul_f32_e32 v2, s60, v6
	v_and_b32_sdwa v6, v2, s71 dst_sel:DWORD dst_unused:UNUSED_PAD src0_sel:BYTE_3 src1_sel:DWORD
	v_and_b32_e32 v8, 0x7f800000, v2
	v_mov_b32_e32 v9, v37
	v_and_b32_e32 v36, 0x7fffff, v2
	v_or_b32_e32 v27, 0x7e, v6
	v_cmp_ne_u64_e32 vcc, s[38:39], v[8:9]
	s_and_saveexec_b64 s[18:19], vcc
	s_xor_b64 s[54:55], exec, s[18:19]
	s_cbranch_execz .LBB6_5415
; %bb.5402:                             ;   in Loop: Header=BB6_5236 Depth=2
	v_and_b32_e32 v8, 0x7fffffff, v2
	v_mov_b32_e32 v9, v37
	v_cmp_gt_u64_e32 vcc, s[40:41], v[8:9]
	s_and_saveexec_b64 s[18:19], vcc
	s_xor_b64 s[56:57], exec, s[18:19]
	s_cbranch_execz .LBB6_5414
; %bb.5403:                             ;   in Loop: Header=BB6_5236 Depth=2
	v_cmp_ne_u32_e32 vcc, 0, v2
	v_mov_b32_e32 v27, 0
	s_and_saveexec_b64 s[58:59], vcc
	s_cbranch_execz .LBB6_5413
; %bb.5404:                             ;   in Loop: Header=BB6_5236 Depth=2
	v_bfe_u32 v2, v2, 23, 8
	v_sub_u32_e32 v8, 0x79, v2
	v_cmp_gt_u32_e32 vcc, s72, v2
	v_add_u32_e32 v3, 0xffffff81, v2
	v_cndmask_b32_e32 v8, 0, v8, vcc
	v_cmp_eq_u32_e32 vcc, 0, v2
	v_mov_b32_e32 v2, 0xffffff82
	v_cndmask_b32_e32 v18, v3, v2, vcc
	v_mov_b32_e32 v2, 0x78
	v_or_b32_e32 v9, 0x800000, v36
	v_cndmask_b32_e32 v8, v8, v2, vcc
	v_cndmask_b32_e32 v36, v9, v36, vcc
	v_add_u32_e32 v2, 20, v8
	v_lshlrev_b64 v[2:3], v2, -1
	v_add_u32_e32 v9, 19, v8
	v_lshrrev_b64 v[26:27], v8, v[36:37]
	v_not_b32_e32 v3, v3
	v_not_b32_e32 v2, v2
	v_lshlrev_b64 v[22:23], v9, 1
	v_lshrrev_b32_e32 v9, 23, v26
	v_and_b32_e32 v3, 0, v3
	v_and_b32_e32 v2, v36, v2
	v_add3_u32 v18, v8, v18, v9
	v_bfe_u32 v8, v26, 20, 1
	v_add_u32_e32 v8, -1, v8
	v_cmp_eq_u64_e32 vcc, v[2:3], v[22:23]
	v_cndmask_b32_e32 v2, 0, v8, vcc
	v_add_u32_e32 v2, v2, v26
	v_and_b32_e32 v2, 0xfffff, v2
	v_add_co_u32_e32 v2, vcc, v2, v26
	v_add_u32_e32 v9, 6, v18
	v_addc_co_u32_e32 v3, vcc, 0, v27, vcc
	v_cmp_ne_u32_e32 vcc, 0, v9
                                        ; implicit-def: $vgpr8
	s_and_saveexec_b64 s[18:19], vcc
	s_xor_b64 s[18:19], exec, s[18:19]
; %bb.5405:                             ;   in Loop: Header=BB6_5236 Depth=2
	v_add_u32_e32 v8, 7, v18
	v_cmp_lt_u64_e32 vcc, s[44:45], v[2:3]
	v_cndmask_b32_e32 v8, v9, v8, vcc
	v_cndmask_b32_e64 v9, 0, 1, vcc
	v_lshrrev_b64 v[2:3], v9, v[2:3]
; %bb.5406:                             ;   in Loop: Header=BB6_5236 Depth=2
	s_andn2_saveexec_b64 s[18:19], s[18:19]
; %bb.5407:                             ;   in Loop: Header=BB6_5236 Depth=2
	v_bfe_u32 v8, v2, 23, 1
; %bb.5408:                             ;   in Loop: Header=BB6_5236 Depth=2
	s_or_b64 exec, exec, s[18:19]
	v_lshrrev_b64 v[2:3], 20, v[2:3]
	v_cmp_gt_i32_e32 vcc, 16, v8
	v_cndmask_b32_e32 v3, 0, v3, vcc
	v_cndmask_b32_e32 v2, 7, v2, vcc
	v_cmp_ne_u32_e32 vcc, 0, v8
	v_cmp_ne_u64_e64 s[18:19], 0, v[2:3]
	s_or_b64 s[18:19], vcc, s[18:19]
                                        ; implicit-def: $vgpr27
	s_and_saveexec_b64 vcc, s[18:19]
	s_xor_b64 s[18:19], exec, vcc
; %bb.5409:                             ;   in Loop: Header=BB6_5236 Depth=2
	v_min_i32_e32 v3, 15, v8
	v_lshl_or_b32 v3, v3, 3, v6
	v_and_or_b32 v27, v2, 7, v3
                                        ; implicit-def: $vgpr6
; %bb.5410:                             ;   in Loop: Header=BB6_5236 Depth=2
	s_andn2_saveexec_b64 s[18:19], s[18:19]
; %bb.5411:                             ;   in Loop: Header=BB6_5236 Depth=2
	v_mov_b32_e32 v27, v6
; %bb.5412:                             ;   in Loop: Header=BB6_5236 Depth=2
	s_or_b64 exec, exec, s[18:19]
.LBB6_5413:                             ;   in Loop: Header=BB6_5236 Depth=2
	s_or_b64 exec, exec, s[58:59]
.LBB6_5414:                             ;   in Loop: Header=BB6_5236 Depth=2
	s_andn2_saveexec_b64 s[18:19], s[56:57]
	s_or_b64 exec, exec, s[18:19]
                                        ; implicit-def: $vgpr2
.LBB6_5415:                             ;   in Loop: Header=BB6_5236 Depth=2
	s_andn2_saveexec_b64 s[18:19], s[54:55]
; %bb.5416:                             ;   in Loop: Header=BB6_5236 Depth=2
	v_or_b32_sdwa v2, v2, s69 dst_sel:DWORD dst_unused:UNUSED_PAD src0_sel:BYTE_3 src1_sel:DWORD
	v_cmp_eq_u64_e32 vcc, 0, v[36:37]
	v_cndmask_b32_e32 v27, v2, v27, vcc
; %bb.5417:                             ;   in Loop: Header=BB6_5236 Depth=2
	s_or_b64 exec, exec, s[18:19]
	flat_load_ubyte v3, v[10:11] offset:512 glc slc
	v_mov_b32_e32 v6, 0
	s_waitcnt vmcnt(0) lgkmcnt(0)
	v_cmp_ne_u16_e32 vcc, 0, v3
	s_and_saveexec_b64 s[18:19], vcc
	s_cbranch_execz .LBB6_5423
; %bb.5418:                             ;   in Loop: Header=BB6_5236 Depth=2
	v_cmp_ne_u16_e32 vcc, s71, v3
	v_bfrev_b32_e32 v6, 1
	s_and_saveexec_b64 s[54:55], vcc
	s_cbranch_execz .LBB6_5422
; %bb.5419:                             ;   in Loop: Header=BB6_5236 Depth=2
	v_and_b32_e32 v2, 0xffff, v3
	v_and_b32_e32 v8, 0x7f, v2
	v_cmp_ne_u32_e32 vcc, s69, v8
	v_mov_b32_e32 v6, 0x7f800001
	s_and_saveexec_b64 s[56:57], vcc
	s_cbranch_execz .LBB6_5421
; %bb.5420:                             ;   in Loop: Header=BB6_5236 Depth=2
	v_and_b32_e32 v6, 7, v2
	v_ffbh_u32_e32 v18, v6
	v_min_u32_e32 v20, 32, v18
	v_subrev_u32_e32 v18, 28, v20
	v_lshlrev_b64 v[18:19], v18, v[2:3]
	v_lshrrev_b32_e32 v9, 3, v8
	v_sub_u32_e32 v2, 29, v20
	v_and_b32_e32 v18, 7, v18
	v_cmp_gt_u32_e32 vcc, 8, v8
	v_cndmask_b32_e32 v2, v9, v2, vcc
	v_cndmask_b32_e32 v6, v6, v18, vcc
	v_lshlrev_b32_e32 v3, 24, v3
	v_lshlrev_b32_e32 v6, 20, v6
	v_and_b32_e32 v3, 0x80000000, v3
	v_lshl_add_u32 v2, v2, 23, v21
	v_or3_b32 v6, v3, v2, v6
.LBB6_5421:                             ;   in Loop: Header=BB6_5236 Depth=2
	s_or_b64 exec, exec, s[56:57]
.LBB6_5422:                             ;   in Loop: Header=BB6_5236 Depth=2
	s_or_b64 exec, exec, s[54:55]
.LBB6_5423:                             ;   in Loop: Header=BB6_5236 Depth=2
	s_or_b64 exec, exec, s[18:19]
	v_mul_f32_e32 v2, s60, v6
	v_and_b32_sdwa v6, v2, s71 dst_sel:DWORD dst_unused:UNUSED_PAD src0_sel:BYTE_3 src1_sel:DWORD
	v_and_b32_e32 v8, 0x7f800000, v2
	v_mov_b32_e32 v9, v37
	v_and_b32_e32 v36, 0x7fffff, v2
	v_or_b32_e32 v26, 0x7e, v6
	v_cmp_ne_u64_e32 vcc, s[38:39], v[8:9]
	s_and_saveexec_b64 s[18:19], vcc
	s_xor_b64 s[54:55], exec, s[18:19]
	s_cbranch_execz .LBB6_5437
; %bb.5424:                             ;   in Loop: Header=BB6_5236 Depth=2
	v_and_b32_e32 v8, 0x7fffffff, v2
	v_mov_b32_e32 v9, v37
	v_cmp_gt_u64_e32 vcc, s[40:41], v[8:9]
	s_and_saveexec_b64 s[18:19], vcc
	s_xor_b64 s[56:57], exec, s[18:19]
	s_cbranch_execz .LBB6_5436
; %bb.5425:                             ;   in Loop: Header=BB6_5236 Depth=2
	v_cmp_ne_u32_e32 vcc, 0, v2
	v_mov_b32_e32 v26, 0
	s_and_saveexec_b64 s[58:59], vcc
	s_cbranch_execz .LBB6_5435
; %bb.5426:                             ;   in Loop: Header=BB6_5236 Depth=2
	v_bfe_u32 v2, v2, 23, 8
	v_sub_u32_e32 v8, 0x79, v2
	v_cmp_gt_u32_e32 vcc, s72, v2
	v_add_u32_e32 v3, 0xffffff81, v2
	v_cndmask_b32_e32 v8, 0, v8, vcc
	v_cmp_eq_u32_e32 vcc, 0, v2
	v_mov_b32_e32 v2, 0xffffff82
	v_cndmask_b32_e32 v18, v3, v2, vcc
	v_mov_b32_e32 v2, 0x78
	v_or_b32_e32 v9, 0x800000, v36
	v_cndmask_b32_e32 v8, v8, v2, vcc
	v_cndmask_b32_e32 v36, v9, v36, vcc
	v_add_u32_e32 v2, 20, v8
	v_lshlrev_b64 v[2:3], v2, -1
	v_add_u32_e32 v9, 19, v8
	v_lshrrev_b64 v[28:29], v8, v[36:37]
	v_not_b32_e32 v3, v3
	v_not_b32_e32 v2, v2
	v_lshlrev_b64 v[22:23], v9, 1
	v_lshrrev_b32_e32 v9, 23, v28
	v_and_b32_e32 v3, 0, v3
	v_and_b32_e32 v2, v36, v2
	v_add3_u32 v18, v8, v18, v9
	v_bfe_u32 v8, v28, 20, 1
	v_add_u32_e32 v8, -1, v8
	v_cmp_eq_u64_e32 vcc, v[2:3], v[22:23]
	v_cndmask_b32_e32 v2, 0, v8, vcc
	v_add_u32_e32 v2, v2, v28
	v_and_b32_e32 v2, 0xfffff, v2
	v_add_co_u32_e32 v2, vcc, v2, v28
	v_add_u32_e32 v9, 6, v18
	v_addc_co_u32_e32 v3, vcc, 0, v29, vcc
	v_cmp_ne_u32_e32 vcc, 0, v9
                                        ; implicit-def: $vgpr8
	s_and_saveexec_b64 s[18:19], vcc
	s_xor_b64 s[18:19], exec, s[18:19]
; %bb.5427:                             ;   in Loop: Header=BB6_5236 Depth=2
	v_add_u32_e32 v8, 7, v18
	v_cmp_lt_u64_e32 vcc, s[44:45], v[2:3]
	v_cndmask_b32_e32 v8, v9, v8, vcc
	v_cndmask_b32_e64 v9, 0, 1, vcc
	v_lshrrev_b64 v[2:3], v9, v[2:3]
; %bb.5428:                             ;   in Loop: Header=BB6_5236 Depth=2
	s_andn2_saveexec_b64 s[18:19], s[18:19]
; %bb.5429:                             ;   in Loop: Header=BB6_5236 Depth=2
	v_bfe_u32 v8, v2, 23, 1
; %bb.5430:                             ;   in Loop: Header=BB6_5236 Depth=2
	s_or_b64 exec, exec, s[18:19]
	v_lshrrev_b64 v[2:3], 20, v[2:3]
	v_cmp_gt_i32_e32 vcc, 16, v8
	v_cndmask_b32_e32 v3, 0, v3, vcc
	v_cndmask_b32_e32 v2, 7, v2, vcc
	v_cmp_ne_u32_e32 vcc, 0, v8
	v_cmp_ne_u64_e64 s[18:19], 0, v[2:3]
	s_or_b64 s[18:19], vcc, s[18:19]
                                        ; implicit-def: $vgpr26
	s_and_saveexec_b64 vcc, s[18:19]
	s_xor_b64 s[18:19], exec, vcc
; %bb.5431:                             ;   in Loop: Header=BB6_5236 Depth=2
	v_min_i32_e32 v3, 15, v8
	v_lshl_or_b32 v3, v3, 3, v6
	v_and_or_b32 v26, v2, 7, v3
                                        ; implicit-def: $vgpr6
; %bb.5432:                             ;   in Loop: Header=BB6_5236 Depth=2
	s_andn2_saveexec_b64 s[18:19], s[18:19]
; %bb.5433:                             ;   in Loop: Header=BB6_5236 Depth=2
	v_mov_b32_e32 v26, v6
; %bb.5434:                             ;   in Loop: Header=BB6_5236 Depth=2
	s_or_b64 exec, exec, s[18:19]
.LBB6_5435:                             ;   in Loop: Header=BB6_5236 Depth=2
	s_or_b64 exec, exec, s[58:59]
.LBB6_5436:                             ;   in Loop: Header=BB6_5236 Depth=2
	s_andn2_saveexec_b64 s[18:19], s[56:57]
	s_or_b64 exec, exec, s[18:19]
                                        ; implicit-def: $vgpr2
.LBB6_5437:                             ;   in Loop: Header=BB6_5236 Depth=2
	s_andn2_saveexec_b64 s[18:19], s[54:55]
; %bb.5438:                             ;   in Loop: Header=BB6_5236 Depth=2
	v_or_b32_sdwa v2, v2, s69 dst_sel:DWORD dst_unused:UNUSED_PAD src0_sel:BYTE_3 src1_sel:DWORD
	v_cmp_eq_u64_e32 vcc, 0, v[36:37]
	v_cndmask_b32_e32 v26, v2, v26, vcc
; %bb.5439:                             ;   in Loop: Header=BB6_5236 Depth=2
	s_or_b64 exec, exec, s[18:19]
	flat_load_ubyte v3, v[10:11] offset:576 glc slc
	v_mov_b32_e32 v6, 0
	s_waitcnt vmcnt(0) lgkmcnt(0)
	v_cmp_ne_u16_e32 vcc, 0, v3
	s_and_saveexec_b64 s[18:19], vcc
	s_cbranch_execz .LBB6_5445
; %bb.5440:                             ;   in Loop: Header=BB6_5236 Depth=2
	v_cmp_ne_u16_e32 vcc, s71, v3
	v_bfrev_b32_e32 v6, 1
	s_and_saveexec_b64 s[54:55], vcc
	s_cbranch_execz .LBB6_5444
; %bb.5441:                             ;   in Loop: Header=BB6_5236 Depth=2
	v_and_b32_e32 v2, 0xffff, v3
	v_and_b32_e32 v8, 0x7f, v2
	v_cmp_ne_u32_e32 vcc, s69, v8
	v_mov_b32_e32 v6, 0x7f800001
	s_and_saveexec_b64 s[56:57], vcc
	s_cbranch_execz .LBB6_5443
; %bb.5442:                             ;   in Loop: Header=BB6_5236 Depth=2
	v_and_b32_e32 v6, 7, v2
	v_ffbh_u32_e32 v18, v6
	v_min_u32_e32 v20, 32, v18
	v_subrev_u32_e32 v18, 28, v20
	v_lshlrev_b64 v[18:19], v18, v[2:3]
	v_lshrrev_b32_e32 v9, 3, v8
	v_sub_u32_e32 v2, 29, v20
	v_and_b32_e32 v18, 7, v18
	v_cmp_gt_u32_e32 vcc, 8, v8
	v_cndmask_b32_e32 v2, v9, v2, vcc
	v_cndmask_b32_e32 v6, v6, v18, vcc
	v_lshlrev_b32_e32 v3, 24, v3
	v_lshlrev_b32_e32 v6, 20, v6
	v_and_b32_e32 v3, 0x80000000, v3
	v_lshl_add_u32 v2, v2, 23, v21
	v_or3_b32 v6, v3, v2, v6
.LBB6_5443:                             ;   in Loop: Header=BB6_5236 Depth=2
	s_or_b64 exec, exec, s[56:57]
.LBB6_5444:                             ;   in Loop: Header=BB6_5236 Depth=2
	s_or_b64 exec, exec, s[54:55]
.LBB6_5445:                             ;   in Loop: Header=BB6_5236 Depth=2
	s_or_b64 exec, exec, s[18:19]
	v_mul_f32_e32 v2, s60, v6
	v_and_b32_sdwa v6, v2, s71 dst_sel:DWORD dst_unused:UNUSED_PAD src0_sel:BYTE_3 src1_sel:DWORD
	v_and_b32_e32 v8, 0x7f800000, v2
	v_mov_b32_e32 v9, v37
	v_and_b32_e32 v36, 0x7fffff, v2
	v_or_b32_e32 v23, 0x7e, v6
	v_cmp_ne_u64_e32 vcc, s[38:39], v[8:9]
	s_and_saveexec_b64 s[18:19], vcc
	s_xor_b64 s[54:55], exec, s[18:19]
	s_cbranch_execz .LBB6_5459
; %bb.5446:                             ;   in Loop: Header=BB6_5236 Depth=2
	v_and_b32_e32 v8, 0x7fffffff, v2
	v_mov_b32_e32 v9, v37
	v_cmp_gt_u64_e32 vcc, s[40:41], v[8:9]
	s_and_saveexec_b64 s[18:19], vcc
	s_xor_b64 s[56:57], exec, s[18:19]
	s_cbranch_execz .LBB6_5458
; %bb.5447:                             ;   in Loop: Header=BB6_5236 Depth=2
	v_cmp_ne_u32_e32 vcc, 0, v2
	v_mov_b32_e32 v23, 0
	s_and_saveexec_b64 s[58:59], vcc
	s_cbranch_execz .LBB6_5457
; %bb.5448:                             ;   in Loop: Header=BB6_5236 Depth=2
	v_bfe_u32 v2, v2, 23, 8
	v_sub_u32_e32 v8, 0x79, v2
	v_cmp_gt_u32_e32 vcc, s72, v2
	v_add_u32_e32 v3, 0xffffff81, v2
	v_cndmask_b32_e32 v8, 0, v8, vcc
	v_cmp_eq_u32_e32 vcc, 0, v2
	v_mov_b32_e32 v2, 0xffffff82
	v_cndmask_b32_e32 v18, v3, v2, vcc
	v_mov_b32_e32 v2, 0x78
	v_or_b32_e32 v9, 0x800000, v36
	v_cndmask_b32_e32 v8, v8, v2, vcc
	v_cndmask_b32_e32 v36, v9, v36, vcc
	v_add_u32_e32 v2, 20, v8
	v_lshlrev_b64 v[2:3], v2, -1
	v_add_u32_e32 v9, 19, v8
	v_lshrrev_b64 v[28:29], v8, v[36:37]
	v_not_b32_e32 v3, v3
	v_not_b32_e32 v2, v2
	v_lshlrev_b64 v[22:23], v9, 1
	v_lshrrev_b32_e32 v9, 23, v28
	v_and_b32_e32 v3, 0, v3
	v_and_b32_e32 v2, v36, v2
	v_add3_u32 v18, v8, v18, v9
	v_bfe_u32 v8, v28, 20, 1
	v_add_u32_e32 v8, -1, v8
	v_cmp_eq_u64_e32 vcc, v[2:3], v[22:23]
	v_cndmask_b32_e32 v2, 0, v8, vcc
	v_add_u32_e32 v2, v2, v28
	v_and_b32_e32 v2, 0xfffff, v2
	v_add_co_u32_e32 v2, vcc, v2, v28
	v_add_u32_e32 v9, 6, v18
	v_addc_co_u32_e32 v3, vcc, 0, v29, vcc
	v_cmp_ne_u32_e32 vcc, 0, v9
                                        ; implicit-def: $vgpr8
	s_and_saveexec_b64 s[18:19], vcc
	s_xor_b64 s[18:19], exec, s[18:19]
; %bb.5449:                             ;   in Loop: Header=BB6_5236 Depth=2
	v_add_u32_e32 v8, 7, v18
	v_cmp_lt_u64_e32 vcc, s[44:45], v[2:3]
	v_cndmask_b32_e32 v8, v9, v8, vcc
	v_cndmask_b32_e64 v9, 0, 1, vcc
	v_lshrrev_b64 v[2:3], v9, v[2:3]
; %bb.5450:                             ;   in Loop: Header=BB6_5236 Depth=2
	s_andn2_saveexec_b64 s[18:19], s[18:19]
; %bb.5451:                             ;   in Loop: Header=BB6_5236 Depth=2
	v_bfe_u32 v8, v2, 23, 1
; %bb.5452:                             ;   in Loop: Header=BB6_5236 Depth=2
	s_or_b64 exec, exec, s[18:19]
	v_lshrrev_b64 v[2:3], 20, v[2:3]
	v_cmp_gt_i32_e32 vcc, 16, v8
	v_cndmask_b32_e32 v3, 0, v3, vcc
	v_cndmask_b32_e32 v2, 7, v2, vcc
	v_cmp_ne_u32_e32 vcc, 0, v8
	v_cmp_ne_u64_e64 s[18:19], 0, v[2:3]
	s_or_b64 s[18:19], vcc, s[18:19]
                                        ; implicit-def: $vgpr23
	s_and_saveexec_b64 vcc, s[18:19]
	s_xor_b64 s[18:19], exec, vcc
; %bb.5453:                             ;   in Loop: Header=BB6_5236 Depth=2
	v_min_i32_e32 v3, 15, v8
	v_lshl_or_b32 v3, v3, 3, v6
	v_and_or_b32 v23, v2, 7, v3
                                        ; implicit-def: $vgpr6
; %bb.5454:                             ;   in Loop: Header=BB6_5236 Depth=2
	s_andn2_saveexec_b64 s[18:19], s[18:19]
; %bb.5455:                             ;   in Loop: Header=BB6_5236 Depth=2
	v_mov_b32_e32 v23, v6
; %bb.5456:                             ;   in Loop: Header=BB6_5236 Depth=2
	s_or_b64 exec, exec, s[18:19]
.LBB6_5457:                             ;   in Loop: Header=BB6_5236 Depth=2
	s_or_b64 exec, exec, s[58:59]
.LBB6_5458:                             ;   in Loop: Header=BB6_5236 Depth=2
	s_andn2_saveexec_b64 s[18:19], s[56:57]
	s_or_b64 exec, exec, s[18:19]
                                        ; implicit-def: $vgpr2
.LBB6_5459:                             ;   in Loop: Header=BB6_5236 Depth=2
	s_andn2_saveexec_b64 s[18:19], s[54:55]
; %bb.5460:                             ;   in Loop: Header=BB6_5236 Depth=2
	v_or_b32_sdwa v2, v2, s69 dst_sel:DWORD dst_unused:UNUSED_PAD src0_sel:BYTE_3 src1_sel:DWORD
	v_cmp_eq_u64_e32 vcc, 0, v[36:37]
	v_cndmask_b32_e32 v23, v2, v23, vcc
; %bb.5461:                             ;   in Loop: Header=BB6_5236 Depth=2
	s_or_b64 exec, exec, s[18:19]
	flat_load_ubyte v3, v[10:11] offset:640 glc slc
	v_mov_b32_e32 v6, 0
	s_waitcnt vmcnt(0) lgkmcnt(0)
	v_cmp_ne_u16_e32 vcc, 0, v3
	s_and_saveexec_b64 s[18:19], vcc
	s_cbranch_execz .LBB6_5467
; %bb.5462:                             ;   in Loop: Header=BB6_5236 Depth=2
	v_cmp_ne_u16_e32 vcc, s71, v3
	v_bfrev_b32_e32 v6, 1
	s_and_saveexec_b64 s[54:55], vcc
	s_cbranch_execz .LBB6_5466
; %bb.5463:                             ;   in Loop: Header=BB6_5236 Depth=2
	v_and_b32_e32 v2, 0xffff, v3
	v_and_b32_e32 v8, 0x7f, v2
	v_cmp_ne_u32_e32 vcc, s69, v8
	v_mov_b32_e32 v6, 0x7f800001
	s_and_saveexec_b64 s[56:57], vcc
	s_cbranch_execz .LBB6_5465
; %bb.5464:                             ;   in Loop: Header=BB6_5236 Depth=2
	v_and_b32_e32 v6, 7, v2
	v_ffbh_u32_e32 v18, v6
	v_min_u32_e32 v20, 32, v18
	v_subrev_u32_e32 v18, 28, v20
	v_lshlrev_b64 v[18:19], v18, v[2:3]
	v_lshrrev_b32_e32 v9, 3, v8
	v_sub_u32_e32 v2, 29, v20
	v_and_b32_e32 v18, 7, v18
	v_cmp_gt_u32_e32 vcc, 8, v8
	v_cndmask_b32_e32 v2, v9, v2, vcc
	v_cndmask_b32_e32 v6, v6, v18, vcc
	v_lshlrev_b32_e32 v3, 24, v3
	v_lshlrev_b32_e32 v6, 20, v6
	v_and_b32_e32 v3, 0x80000000, v3
	v_lshl_add_u32 v2, v2, 23, v21
	v_or3_b32 v6, v3, v2, v6
.LBB6_5465:                             ;   in Loop: Header=BB6_5236 Depth=2
	s_or_b64 exec, exec, s[56:57]
.LBB6_5466:                             ;   in Loop: Header=BB6_5236 Depth=2
	s_or_b64 exec, exec, s[54:55]
.LBB6_5467:                             ;   in Loop: Header=BB6_5236 Depth=2
	s_or_b64 exec, exec, s[18:19]
	v_mul_f32_e32 v2, s60, v6
	v_and_b32_sdwa v6, v2, s71 dst_sel:DWORD dst_unused:UNUSED_PAD src0_sel:BYTE_3 src1_sel:DWORD
	v_and_b32_e32 v8, 0x7f800000, v2
	v_mov_b32_e32 v9, v37
	v_and_b32_e32 v36, 0x7fffff, v2
	v_or_b32_e32 v22, 0x7e, v6
	v_cmp_ne_u64_e32 vcc, s[38:39], v[8:9]
	s_and_saveexec_b64 s[18:19], vcc
	s_xor_b64 s[54:55], exec, s[18:19]
	s_cbranch_execz .LBB6_5481
; %bb.5468:                             ;   in Loop: Header=BB6_5236 Depth=2
	v_and_b32_e32 v8, 0x7fffffff, v2
	v_mov_b32_e32 v9, v37
	v_cmp_gt_u64_e32 vcc, s[40:41], v[8:9]
	s_and_saveexec_b64 s[18:19], vcc
	s_xor_b64 s[56:57], exec, s[18:19]
	s_cbranch_execz .LBB6_5480
; %bb.5469:                             ;   in Loop: Header=BB6_5236 Depth=2
	v_cmp_ne_u32_e32 vcc, 0, v2
	v_mov_b32_e32 v22, 0
	s_and_saveexec_b64 s[58:59], vcc
	s_cbranch_execz .LBB6_5479
; %bb.5470:                             ;   in Loop: Header=BB6_5236 Depth=2
	v_bfe_u32 v2, v2, 23, 8
	v_sub_u32_e32 v8, 0x79, v2
	v_cmp_gt_u32_e32 vcc, s72, v2
	v_add_u32_e32 v3, 0xffffff81, v2
	v_cndmask_b32_e32 v8, 0, v8, vcc
	v_cmp_eq_u32_e32 vcc, 0, v2
	v_mov_b32_e32 v2, 0xffffff82
	v_cndmask_b32_e32 v18, v3, v2, vcc
	v_mov_b32_e32 v2, 0x78
	v_or_b32_e32 v9, 0x800000, v36
	v_cndmask_b32_e32 v8, v8, v2, vcc
	v_cndmask_b32_e32 v36, v9, v36, vcc
	v_add_u32_e32 v2, 20, v8
	v_lshlrev_b64 v[2:3], v2, -1
	v_add_u32_e32 v9, 19, v8
	v_lshrrev_b64 v[38:39], v8, v[36:37]
	v_not_b32_e32 v3, v3
	v_not_b32_e32 v2, v2
	v_lshlrev_b64 v[28:29], v9, 1
	v_lshrrev_b32_e32 v9, 23, v38
	v_and_b32_e32 v3, 0, v3
	v_and_b32_e32 v2, v36, v2
	v_add3_u32 v18, v8, v18, v9
	v_bfe_u32 v8, v38, 20, 1
	v_add_u32_e32 v8, -1, v8
	v_cmp_eq_u64_e32 vcc, v[2:3], v[28:29]
	v_cndmask_b32_e32 v2, 0, v8, vcc
	v_add_u32_e32 v2, v2, v38
	v_and_b32_e32 v2, 0xfffff, v2
	v_add_co_u32_e32 v2, vcc, v2, v38
	v_add_u32_e32 v9, 6, v18
	v_addc_co_u32_e32 v3, vcc, 0, v39, vcc
	v_cmp_ne_u32_e32 vcc, 0, v9
                                        ; implicit-def: $vgpr8
	s_and_saveexec_b64 s[18:19], vcc
	s_xor_b64 s[18:19], exec, s[18:19]
; %bb.5471:                             ;   in Loop: Header=BB6_5236 Depth=2
	v_add_u32_e32 v8, 7, v18
	v_cmp_lt_u64_e32 vcc, s[44:45], v[2:3]
	v_cndmask_b32_e32 v8, v9, v8, vcc
	v_cndmask_b32_e64 v9, 0, 1, vcc
	v_lshrrev_b64 v[2:3], v9, v[2:3]
; %bb.5472:                             ;   in Loop: Header=BB6_5236 Depth=2
	s_andn2_saveexec_b64 s[18:19], s[18:19]
; %bb.5473:                             ;   in Loop: Header=BB6_5236 Depth=2
	v_bfe_u32 v8, v2, 23, 1
; %bb.5474:                             ;   in Loop: Header=BB6_5236 Depth=2
	s_or_b64 exec, exec, s[18:19]
	v_lshrrev_b64 v[2:3], 20, v[2:3]
	v_cmp_gt_i32_e32 vcc, 16, v8
	v_cndmask_b32_e32 v3, 0, v3, vcc
	v_cndmask_b32_e32 v2, 7, v2, vcc
	v_cmp_ne_u32_e32 vcc, 0, v8
	v_cmp_ne_u64_e64 s[18:19], 0, v[2:3]
	s_or_b64 s[18:19], vcc, s[18:19]
                                        ; implicit-def: $vgpr22
	s_and_saveexec_b64 vcc, s[18:19]
	s_xor_b64 s[18:19], exec, vcc
; %bb.5475:                             ;   in Loop: Header=BB6_5236 Depth=2
	v_min_i32_e32 v3, 15, v8
	v_lshl_or_b32 v3, v3, 3, v6
	v_and_or_b32 v22, v2, 7, v3
                                        ; implicit-def: $vgpr6
; %bb.5476:                             ;   in Loop: Header=BB6_5236 Depth=2
	s_andn2_saveexec_b64 s[18:19], s[18:19]
; %bb.5477:                             ;   in Loop: Header=BB6_5236 Depth=2
	v_mov_b32_e32 v22, v6
; %bb.5478:                             ;   in Loop: Header=BB6_5236 Depth=2
	s_or_b64 exec, exec, s[18:19]
.LBB6_5479:                             ;   in Loop: Header=BB6_5236 Depth=2
	s_or_b64 exec, exec, s[58:59]
.LBB6_5480:                             ;   in Loop: Header=BB6_5236 Depth=2
	s_andn2_saveexec_b64 s[18:19], s[56:57]
	s_or_b64 exec, exec, s[18:19]
                                        ; implicit-def: $vgpr2
.LBB6_5481:                             ;   in Loop: Header=BB6_5236 Depth=2
	s_andn2_saveexec_b64 s[18:19], s[54:55]
; %bb.5482:                             ;   in Loop: Header=BB6_5236 Depth=2
	v_or_b32_sdwa v2, v2, s69 dst_sel:DWORD dst_unused:UNUSED_PAD src0_sel:BYTE_3 src1_sel:DWORD
	v_cmp_eq_u64_e32 vcc, 0, v[36:37]
	v_cndmask_b32_e32 v22, v2, v22, vcc
; %bb.5483:                             ;   in Loop: Header=BB6_5236 Depth=2
	s_or_b64 exec, exec, s[18:19]
	flat_load_ubyte v3, v[10:11] offset:704 glc slc
	v_mov_b32_e32 v6, 0
	s_waitcnt vmcnt(0) lgkmcnt(0)
	v_cmp_ne_u16_e32 vcc, 0, v3
	s_and_saveexec_b64 s[18:19], vcc
	s_cbranch_execz .LBB6_5489
; %bb.5484:                             ;   in Loop: Header=BB6_5236 Depth=2
	v_cmp_ne_u16_e32 vcc, s71, v3
	v_bfrev_b32_e32 v6, 1
	s_and_saveexec_b64 s[54:55], vcc
	s_cbranch_execz .LBB6_5488
; %bb.5485:                             ;   in Loop: Header=BB6_5236 Depth=2
	v_and_b32_e32 v2, 0xffff, v3
	v_and_b32_e32 v8, 0x7f, v2
	v_cmp_ne_u32_e32 vcc, s69, v8
	v_mov_b32_e32 v6, 0x7f800001
	s_and_saveexec_b64 s[56:57], vcc
	s_cbranch_execz .LBB6_5487
; %bb.5486:                             ;   in Loop: Header=BB6_5236 Depth=2
	v_and_b32_e32 v6, 7, v2
	v_ffbh_u32_e32 v18, v6
	v_min_u32_e32 v20, 32, v18
	v_subrev_u32_e32 v18, 28, v20
	v_lshlrev_b64 v[18:19], v18, v[2:3]
	v_lshrrev_b32_e32 v9, 3, v8
	v_sub_u32_e32 v2, 29, v20
	v_and_b32_e32 v18, 7, v18
	v_cmp_gt_u32_e32 vcc, 8, v8
	v_cndmask_b32_e32 v2, v9, v2, vcc
	v_cndmask_b32_e32 v6, v6, v18, vcc
	v_lshlrev_b32_e32 v3, 24, v3
	v_lshlrev_b32_e32 v6, 20, v6
	v_and_b32_e32 v3, 0x80000000, v3
	v_lshl_add_u32 v2, v2, 23, v21
	v_or3_b32 v6, v3, v2, v6
.LBB6_5487:                             ;   in Loop: Header=BB6_5236 Depth=2
	s_or_b64 exec, exec, s[56:57]
.LBB6_5488:                             ;   in Loop: Header=BB6_5236 Depth=2
	s_or_b64 exec, exec, s[54:55]
.LBB6_5489:                             ;   in Loop: Header=BB6_5236 Depth=2
	s_or_b64 exec, exec, s[18:19]
	v_mul_f32_e32 v2, s60, v6
	v_and_b32_sdwa v6, v2, s71 dst_sel:DWORD dst_unused:UNUSED_PAD src0_sel:BYTE_3 src1_sel:DWORD
	v_and_b32_e32 v8, 0x7f800000, v2
	v_mov_b32_e32 v9, v37
	v_and_b32_e32 v36, 0x7fffff, v2
	v_or_b32_e32 v20, 0x7e, v6
	v_cmp_ne_u64_e32 vcc, s[38:39], v[8:9]
	s_and_saveexec_b64 s[18:19], vcc
	s_xor_b64 s[54:55], exec, s[18:19]
	s_cbranch_execz .LBB6_5503
; %bb.5490:                             ;   in Loop: Header=BB6_5236 Depth=2
	v_and_b32_e32 v8, 0x7fffffff, v2
	v_mov_b32_e32 v9, v37
	v_cmp_gt_u64_e32 vcc, s[40:41], v[8:9]
	s_and_saveexec_b64 s[18:19], vcc
	s_xor_b64 s[56:57], exec, s[18:19]
	s_cbranch_execz .LBB6_5502
; %bb.5491:                             ;   in Loop: Header=BB6_5236 Depth=2
	v_cmp_ne_u32_e32 vcc, 0, v2
	v_mov_b32_e32 v20, 0
	s_and_saveexec_b64 s[58:59], vcc
	s_cbranch_execz .LBB6_5501
; %bb.5492:                             ;   in Loop: Header=BB6_5236 Depth=2
	v_bfe_u32 v2, v2, 23, 8
	v_sub_u32_e32 v8, 0x79, v2
	v_cmp_gt_u32_e32 vcc, s72, v2
	v_add_u32_e32 v3, 0xffffff81, v2
	v_cndmask_b32_e32 v8, 0, v8, vcc
	v_cmp_eq_u32_e32 vcc, 0, v2
	v_mov_b32_e32 v2, 0xffffff82
	v_cndmask_b32_e32 v18, v3, v2, vcc
	v_mov_b32_e32 v2, 0x78
	v_or_b32_e32 v9, 0x800000, v36
	v_cndmask_b32_e32 v8, v8, v2, vcc
	v_cndmask_b32_e32 v36, v9, v36, vcc
	v_add_u32_e32 v2, 20, v8
	v_lshlrev_b64 v[2:3], v2, -1
	v_add_u32_e32 v9, 19, v8
	v_lshrrev_b64 v[38:39], v8, v[36:37]
	v_not_b32_e32 v3, v3
	v_not_b32_e32 v2, v2
	v_lshlrev_b64 v[28:29], v9, 1
	v_lshrrev_b32_e32 v9, 23, v38
	v_and_b32_e32 v3, 0, v3
	v_and_b32_e32 v2, v36, v2
	v_add3_u32 v18, v8, v18, v9
	v_bfe_u32 v8, v38, 20, 1
	v_add_u32_e32 v8, -1, v8
	v_cmp_eq_u64_e32 vcc, v[2:3], v[28:29]
	v_cndmask_b32_e32 v2, 0, v8, vcc
	v_add_u32_e32 v2, v2, v38
	v_and_b32_e32 v2, 0xfffff, v2
	v_add_co_u32_e32 v2, vcc, v2, v38
	v_add_u32_e32 v9, 6, v18
	v_addc_co_u32_e32 v3, vcc, 0, v39, vcc
	v_cmp_ne_u32_e32 vcc, 0, v9
                                        ; implicit-def: $vgpr8
	s_and_saveexec_b64 s[18:19], vcc
	s_xor_b64 s[18:19], exec, s[18:19]
; %bb.5493:                             ;   in Loop: Header=BB6_5236 Depth=2
	v_add_u32_e32 v8, 7, v18
	v_cmp_lt_u64_e32 vcc, s[44:45], v[2:3]
	v_cndmask_b32_e32 v8, v9, v8, vcc
	v_cndmask_b32_e64 v9, 0, 1, vcc
	v_lshrrev_b64 v[2:3], v9, v[2:3]
; %bb.5494:                             ;   in Loop: Header=BB6_5236 Depth=2
	s_andn2_saveexec_b64 s[18:19], s[18:19]
; %bb.5495:                             ;   in Loop: Header=BB6_5236 Depth=2
	v_bfe_u32 v8, v2, 23, 1
; %bb.5496:                             ;   in Loop: Header=BB6_5236 Depth=2
	s_or_b64 exec, exec, s[18:19]
	v_lshrrev_b64 v[2:3], 20, v[2:3]
	v_cmp_gt_i32_e32 vcc, 16, v8
	v_cndmask_b32_e32 v3, 0, v3, vcc
	v_cndmask_b32_e32 v2, 7, v2, vcc
	v_cmp_ne_u32_e32 vcc, 0, v8
	v_cmp_ne_u64_e64 s[18:19], 0, v[2:3]
	s_or_b64 s[18:19], vcc, s[18:19]
                                        ; implicit-def: $vgpr20
	s_and_saveexec_b64 vcc, s[18:19]
	s_xor_b64 s[18:19], exec, vcc
; %bb.5497:                             ;   in Loop: Header=BB6_5236 Depth=2
	v_min_i32_e32 v3, 15, v8
	v_lshl_or_b32 v3, v3, 3, v6
	v_and_or_b32 v20, v2, 7, v3
                                        ; implicit-def: $vgpr6
; %bb.5498:                             ;   in Loop: Header=BB6_5236 Depth=2
	s_andn2_saveexec_b64 s[18:19], s[18:19]
; %bb.5499:                             ;   in Loop: Header=BB6_5236 Depth=2
	v_mov_b32_e32 v20, v6
; %bb.5500:                             ;   in Loop: Header=BB6_5236 Depth=2
	s_or_b64 exec, exec, s[18:19]
.LBB6_5501:                             ;   in Loop: Header=BB6_5236 Depth=2
	s_or_b64 exec, exec, s[58:59]
.LBB6_5502:                             ;   in Loop: Header=BB6_5236 Depth=2
	s_andn2_saveexec_b64 s[18:19], s[56:57]
	s_or_b64 exec, exec, s[18:19]
                                        ; implicit-def: $vgpr2
.LBB6_5503:                             ;   in Loop: Header=BB6_5236 Depth=2
	s_andn2_saveexec_b64 s[18:19], s[54:55]
; %bb.5504:                             ;   in Loop: Header=BB6_5236 Depth=2
	v_or_b32_sdwa v2, v2, s69 dst_sel:DWORD dst_unused:UNUSED_PAD src0_sel:BYTE_3 src1_sel:DWORD
	v_cmp_eq_u64_e32 vcc, 0, v[36:37]
	v_cndmask_b32_e32 v20, v2, v20, vcc
; %bb.5505:                             ;   in Loop: Header=BB6_5236 Depth=2
	s_or_b64 exec, exec, s[18:19]
	flat_load_ubyte v3, v[10:11] offset:768 glc slc
	v_mov_b32_e32 v6, 0
	s_waitcnt vmcnt(0) lgkmcnt(0)
	v_cmp_ne_u16_e32 vcc, 0, v3
	s_and_saveexec_b64 s[18:19], vcc
	s_cbranch_execz .LBB6_5511
; %bb.5506:                             ;   in Loop: Header=BB6_5236 Depth=2
	v_cmp_ne_u16_e32 vcc, s71, v3
	v_bfrev_b32_e32 v6, 1
	s_and_saveexec_b64 s[54:55], vcc
	s_cbranch_execz .LBB6_5510
; %bb.5507:                             ;   in Loop: Header=BB6_5236 Depth=2
	v_and_b32_e32 v2, 0xffff, v3
	v_and_b32_e32 v8, 0x7f, v2
	v_cmp_ne_u32_e32 vcc, s69, v8
	v_mov_b32_e32 v6, 0x7f800001
	s_and_saveexec_b64 s[56:57], vcc
	s_cbranch_execz .LBB6_5509
; %bb.5508:                             ;   in Loop: Header=BB6_5236 Depth=2
	v_and_b32_e32 v6, 7, v2
	v_ffbh_u32_e32 v18, v6
	v_min_u32_e32 v25, 32, v18
	v_subrev_u32_e32 v18, 28, v25
	v_lshlrev_b64 v[18:19], v18, v[2:3]
	v_lshrrev_b32_e32 v9, 3, v8
	v_sub_u32_e32 v2, 29, v25
	v_and_b32_e32 v18, 7, v18
	v_cmp_gt_u32_e32 vcc, 8, v8
	v_cndmask_b32_e32 v2, v9, v2, vcc
	v_cndmask_b32_e32 v6, v6, v18, vcc
	v_lshlrev_b32_e32 v3, 24, v3
	v_lshlrev_b32_e32 v6, 20, v6
	v_and_b32_e32 v3, 0x80000000, v3
	v_lshl_add_u32 v2, v2, 23, v21
	v_or3_b32 v6, v3, v2, v6
.LBB6_5509:                             ;   in Loop: Header=BB6_5236 Depth=2
	s_or_b64 exec, exec, s[56:57]
.LBB6_5510:                             ;   in Loop: Header=BB6_5236 Depth=2
	s_or_b64 exec, exec, s[54:55]
.LBB6_5511:                             ;   in Loop: Header=BB6_5236 Depth=2
	s_or_b64 exec, exec, s[18:19]
	v_mul_f32_e32 v2, s60, v6
	v_and_b32_sdwa v6, v2, s71 dst_sel:DWORD dst_unused:UNUSED_PAD src0_sel:BYTE_3 src1_sel:DWORD
	v_and_b32_e32 v8, 0x7f800000, v2
	v_mov_b32_e32 v9, v37
	v_and_b32_e32 v36, 0x7fffff, v2
	v_or_b32_e32 v19, 0x7e, v6
	v_cmp_ne_u64_e32 vcc, s[38:39], v[8:9]
	s_and_saveexec_b64 s[18:19], vcc
	s_xor_b64 s[54:55], exec, s[18:19]
	s_cbranch_execz .LBB6_5525
; %bb.5512:                             ;   in Loop: Header=BB6_5236 Depth=2
	v_and_b32_e32 v8, 0x7fffffff, v2
	v_mov_b32_e32 v9, v37
	v_cmp_gt_u64_e32 vcc, s[40:41], v[8:9]
	s_and_saveexec_b64 s[18:19], vcc
	s_xor_b64 s[56:57], exec, s[18:19]
	s_cbranch_execz .LBB6_5524
; %bb.5513:                             ;   in Loop: Header=BB6_5236 Depth=2
	v_cmp_ne_u32_e32 vcc, 0, v2
	v_mov_b32_e32 v19, 0
	s_and_saveexec_b64 s[58:59], vcc
	s_cbranch_execz .LBB6_5523
; %bb.5514:                             ;   in Loop: Header=BB6_5236 Depth=2
	v_bfe_u32 v2, v2, 23, 8
	v_sub_u32_e32 v8, 0x79, v2
	v_cmp_gt_u32_e32 vcc, s72, v2
	v_add_u32_e32 v3, 0xffffff81, v2
	v_cndmask_b32_e32 v8, 0, v8, vcc
	v_cmp_eq_u32_e32 vcc, 0, v2
	v_mov_b32_e32 v2, 0xffffff82
	v_cndmask_b32_e32 v18, v3, v2, vcc
	v_mov_b32_e32 v2, 0x78
	v_or_b32_e32 v9, 0x800000, v36
	v_cndmask_b32_e32 v8, v8, v2, vcc
	v_cndmask_b32_e32 v36, v9, v36, vcc
	v_add_u32_e32 v2, 20, v8
	v_lshlrev_b64 v[2:3], v2, -1
	v_add_u32_e32 v9, 19, v8
	v_lshrrev_b64 v[38:39], v8, v[36:37]
	v_not_b32_e32 v3, v3
	v_not_b32_e32 v2, v2
	v_lshlrev_b64 v[28:29], v9, 1
	v_lshrrev_b32_e32 v9, 23, v38
	v_and_b32_e32 v3, 0, v3
	v_and_b32_e32 v2, v36, v2
	v_add3_u32 v18, v8, v18, v9
	v_bfe_u32 v8, v38, 20, 1
	v_add_u32_e32 v8, -1, v8
	v_cmp_eq_u64_e32 vcc, v[2:3], v[28:29]
	v_cndmask_b32_e32 v2, 0, v8, vcc
	v_add_u32_e32 v2, v2, v38
	v_and_b32_e32 v2, 0xfffff, v2
	v_add_co_u32_e32 v2, vcc, v2, v38
	v_add_u32_e32 v9, 6, v18
	v_addc_co_u32_e32 v3, vcc, 0, v39, vcc
	v_cmp_ne_u32_e32 vcc, 0, v9
                                        ; implicit-def: $vgpr8
	s_and_saveexec_b64 s[18:19], vcc
	s_xor_b64 s[18:19], exec, s[18:19]
; %bb.5515:                             ;   in Loop: Header=BB6_5236 Depth=2
	v_add_u32_e32 v8, 7, v18
	v_cmp_lt_u64_e32 vcc, s[44:45], v[2:3]
	v_cndmask_b32_e32 v8, v9, v8, vcc
	v_cndmask_b32_e64 v9, 0, 1, vcc
	v_lshrrev_b64 v[2:3], v9, v[2:3]
; %bb.5516:                             ;   in Loop: Header=BB6_5236 Depth=2
	s_andn2_saveexec_b64 s[18:19], s[18:19]
; %bb.5517:                             ;   in Loop: Header=BB6_5236 Depth=2
	v_bfe_u32 v8, v2, 23, 1
; %bb.5518:                             ;   in Loop: Header=BB6_5236 Depth=2
	s_or_b64 exec, exec, s[18:19]
	v_lshrrev_b64 v[2:3], 20, v[2:3]
	v_cmp_gt_i32_e32 vcc, 16, v8
	v_cndmask_b32_e32 v3, 0, v3, vcc
	v_cndmask_b32_e32 v2, 7, v2, vcc
	v_cmp_ne_u32_e32 vcc, 0, v8
	v_cmp_ne_u64_e64 s[18:19], 0, v[2:3]
	s_or_b64 s[18:19], vcc, s[18:19]
                                        ; implicit-def: $vgpr19
	s_and_saveexec_b64 vcc, s[18:19]
	s_xor_b64 s[18:19], exec, vcc
; %bb.5519:                             ;   in Loop: Header=BB6_5236 Depth=2
	v_min_i32_e32 v3, 15, v8
	v_lshl_or_b32 v3, v3, 3, v6
	v_and_or_b32 v19, v2, 7, v3
                                        ; implicit-def: $vgpr6
; %bb.5520:                             ;   in Loop: Header=BB6_5236 Depth=2
	s_andn2_saveexec_b64 s[18:19], s[18:19]
; %bb.5521:                             ;   in Loop: Header=BB6_5236 Depth=2
	v_mov_b32_e32 v19, v6
; %bb.5522:                             ;   in Loop: Header=BB6_5236 Depth=2
	s_or_b64 exec, exec, s[18:19]
.LBB6_5523:                             ;   in Loop: Header=BB6_5236 Depth=2
	s_or_b64 exec, exec, s[58:59]
.LBB6_5524:                             ;   in Loop: Header=BB6_5236 Depth=2
	s_andn2_saveexec_b64 s[18:19], s[56:57]
	s_or_b64 exec, exec, s[18:19]
                                        ; implicit-def: $vgpr2
.LBB6_5525:                             ;   in Loop: Header=BB6_5236 Depth=2
	s_andn2_saveexec_b64 s[18:19], s[54:55]
; %bb.5526:                             ;   in Loop: Header=BB6_5236 Depth=2
	v_or_b32_sdwa v2, v2, s69 dst_sel:DWORD dst_unused:UNUSED_PAD src0_sel:BYTE_3 src1_sel:DWORD
	v_cmp_eq_u64_e32 vcc, 0, v[36:37]
	v_cndmask_b32_e32 v19, v2, v19, vcc
; %bb.5527:                             ;   in Loop: Header=BB6_5236 Depth=2
	s_or_b64 exec, exec, s[18:19]
	flat_load_ubyte v3, v[10:11] offset:832 glc slc
	v_mov_b32_e32 v6, 0
	s_waitcnt vmcnt(0) lgkmcnt(0)
	v_cmp_ne_u16_e32 vcc, 0, v3
	s_and_saveexec_b64 s[18:19], vcc
	s_cbranch_execz .LBB6_5533
; %bb.5528:                             ;   in Loop: Header=BB6_5236 Depth=2
	v_cmp_ne_u16_e32 vcc, s71, v3
	v_bfrev_b32_e32 v6, 1
	s_and_saveexec_b64 s[54:55], vcc
	s_cbranch_execz .LBB6_5532
; %bb.5529:                             ;   in Loop: Header=BB6_5236 Depth=2
	v_and_b32_e32 v2, 0xffff, v3
	v_and_b32_e32 v8, 0x7f, v2
	v_cmp_ne_u32_e32 vcc, s69, v8
	v_mov_b32_e32 v6, 0x7f800001
	s_and_saveexec_b64 s[56:57], vcc
	s_cbranch_execz .LBB6_5531
; %bb.5530:                             ;   in Loop: Header=BB6_5236 Depth=2
	v_and_b32_e32 v6, 7, v2
	v_ffbh_u32_e32 v18, v6
	v_min_u32_e32 v18, 32, v18
	v_subrev_u32_e32 v25, 28, v18
	v_lshlrev_b64 v[28:29], v25, v[2:3]
	v_lshrrev_b32_e32 v9, 3, v8
	v_sub_u32_e32 v2, 29, v18
	v_and_b32_e32 v18, 7, v28
	v_cmp_gt_u32_e32 vcc, 8, v8
	v_cndmask_b32_e32 v2, v9, v2, vcc
	v_cndmask_b32_e32 v6, v6, v18, vcc
	v_lshlrev_b32_e32 v3, 24, v3
	v_lshlrev_b32_e32 v6, 20, v6
	v_and_b32_e32 v3, 0x80000000, v3
	v_lshl_add_u32 v2, v2, 23, v21
	v_or3_b32 v6, v3, v2, v6
.LBB6_5531:                             ;   in Loop: Header=BB6_5236 Depth=2
	s_or_b64 exec, exec, s[56:57]
.LBB6_5532:                             ;   in Loop: Header=BB6_5236 Depth=2
	s_or_b64 exec, exec, s[54:55]
.LBB6_5533:                             ;   in Loop: Header=BB6_5236 Depth=2
	s_or_b64 exec, exec, s[18:19]
	v_mul_f32_e32 v2, s60, v6
	v_and_b32_sdwa v6, v2, s71 dst_sel:DWORD dst_unused:UNUSED_PAD src0_sel:BYTE_3 src1_sel:DWORD
	v_and_b32_e32 v8, 0x7f800000, v2
	v_mov_b32_e32 v9, v37
	v_and_b32_e32 v36, 0x7fffff, v2
	v_or_b32_e32 v18, 0x7e, v6
	v_cmp_ne_u64_e32 vcc, s[38:39], v[8:9]
	s_and_saveexec_b64 s[18:19], vcc
	s_xor_b64 s[54:55], exec, s[18:19]
	s_cbranch_execz .LBB6_5547
; %bb.5534:                             ;   in Loop: Header=BB6_5236 Depth=2
	v_and_b32_e32 v8, 0x7fffffff, v2
	v_mov_b32_e32 v9, v37
	v_cmp_gt_u64_e32 vcc, s[40:41], v[8:9]
	s_and_saveexec_b64 s[18:19], vcc
	s_xor_b64 s[56:57], exec, s[18:19]
	s_cbranch_execz .LBB6_5546
; %bb.5535:                             ;   in Loop: Header=BB6_5236 Depth=2
	v_cmp_ne_u32_e32 vcc, 0, v2
	v_mov_b32_e32 v18, 0
	s_and_saveexec_b64 s[58:59], vcc
	s_cbranch_execz .LBB6_5545
; %bb.5536:                             ;   in Loop: Header=BB6_5236 Depth=2
	v_bfe_u32 v2, v2, 23, 8
	v_sub_u32_e32 v8, 0x79, v2
	v_cmp_gt_u32_e32 vcc, s72, v2
	v_add_u32_e32 v3, 0xffffff81, v2
	v_cndmask_b32_e32 v8, 0, v8, vcc
	v_cmp_eq_u32_e32 vcc, 0, v2
	v_mov_b32_e32 v2, 0xffffff82
	v_cndmask_b32_e32 v18, v3, v2, vcc
	v_mov_b32_e32 v2, 0x78
	v_or_b32_e32 v9, 0x800000, v36
	v_cndmask_b32_e32 v8, v8, v2, vcc
	v_cndmask_b32_e32 v36, v9, v36, vcc
	v_add_u32_e32 v2, 20, v8
	v_lshlrev_b64 v[2:3], v2, -1
	v_add_u32_e32 v9, 19, v8
	v_lshrrev_b64 v[38:39], v8, v[36:37]
	v_not_b32_e32 v3, v3
	v_not_b32_e32 v2, v2
	v_lshlrev_b64 v[28:29], v9, 1
	v_lshrrev_b32_e32 v9, 23, v38
	v_and_b32_e32 v3, 0, v3
	v_and_b32_e32 v2, v36, v2
	v_add3_u32 v18, v8, v18, v9
	v_bfe_u32 v8, v38, 20, 1
	v_add_u32_e32 v8, -1, v8
	v_cmp_eq_u64_e32 vcc, v[2:3], v[28:29]
	v_cndmask_b32_e32 v2, 0, v8, vcc
	v_add_u32_e32 v2, v2, v38
	v_and_b32_e32 v2, 0xfffff, v2
	v_add_co_u32_e32 v2, vcc, v2, v38
	v_add_u32_e32 v9, 6, v18
	v_addc_co_u32_e32 v3, vcc, 0, v39, vcc
	v_cmp_ne_u32_e32 vcc, 0, v9
                                        ; implicit-def: $vgpr8
	s_and_saveexec_b64 s[18:19], vcc
	s_xor_b64 s[18:19], exec, s[18:19]
; %bb.5537:                             ;   in Loop: Header=BB6_5236 Depth=2
	v_add_u32_e32 v8, 7, v18
	v_cmp_lt_u64_e32 vcc, s[44:45], v[2:3]
	v_cndmask_b32_e32 v8, v9, v8, vcc
	v_cndmask_b32_e64 v9, 0, 1, vcc
	v_lshrrev_b64 v[2:3], v9, v[2:3]
; %bb.5538:                             ;   in Loop: Header=BB6_5236 Depth=2
	s_andn2_saveexec_b64 s[18:19], s[18:19]
; %bb.5539:                             ;   in Loop: Header=BB6_5236 Depth=2
	v_bfe_u32 v8, v2, 23, 1
; %bb.5540:                             ;   in Loop: Header=BB6_5236 Depth=2
	s_or_b64 exec, exec, s[18:19]
	v_lshrrev_b64 v[2:3], 20, v[2:3]
	v_cmp_gt_i32_e32 vcc, 16, v8
	v_cndmask_b32_e32 v3, 0, v3, vcc
	v_cndmask_b32_e32 v2, 7, v2, vcc
	v_cmp_ne_u32_e32 vcc, 0, v8
	v_cmp_ne_u64_e64 s[18:19], 0, v[2:3]
	s_or_b64 s[18:19], vcc, s[18:19]
                                        ; implicit-def: $vgpr18
	s_and_saveexec_b64 vcc, s[18:19]
	s_xor_b64 s[18:19], exec, vcc
; %bb.5541:                             ;   in Loop: Header=BB6_5236 Depth=2
	v_min_i32_e32 v3, 15, v8
	v_lshl_or_b32 v3, v3, 3, v6
	v_and_or_b32 v18, v2, 7, v3
                                        ; implicit-def: $vgpr6
; %bb.5542:                             ;   in Loop: Header=BB6_5236 Depth=2
	s_andn2_saveexec_b64 s[18:19], s[18:19]
; %bb.5543:                             ;   in Loop: Header=BB6_5236 Depth=2
	v_mov_b32_e32 v18, v6
; %bb.5544:                             ;   in Loop: Header=BB6_5236 Depth=2
	s_or_b64 exec, exec, s[18:19]
.LBB6_5545:                             ;   in Loop: Header=BB6_5236 Depth=2
	s_or_b64 exec, exec, s[58:59]
.LBB6_5546:                             ;   in Loop: Header=BB6_5236 Depth=2
	s_andn2_saveexec_b64 s[18:19], s[56:57]
	s_or_b64 exec, exec, s[18:19]
                                        ; implicit-def: $vgpr2
.LBB6_5547:                             ;   in Loop: Header=BB6_5236 Depth=2
	s_andn2_saveexec_b64 s[18:19], s[54:55]
; %bb.5548:                             ;   in Loop: Header=BB6_5236 Depth=2
	v_or_b32_sdwa v2, v2, s69 dst_sel:DWORD dst_unused:UNUSED_PAD src0_sel:BYTE_3 src1_sel:DWORD
	v_cmp_eq_u64_e32 vcc, 0, v[36:37]
	v_cndmask_b32_e32 v18, v2, v18, vcc
; %bb.5549:                             ;   in Loop: Header=BB6_5236 Depth=2
	s_or_b64 exec, exec, s[18:19]
	flat_load_ubyte v3, v[10:11] offset:896 glc slc
	v_mov_b32_e32 v6, 0
	s_waitcnt vmcnt(0) lgkmcnt(0)
	v_cmp_ne_u16_e32 vcc, 0, v3
	s_and_saveexec_b64 s[18:19], vcc
	s_cbranch_execz .LBB6_5555
; %bb.5550:                             ;   in Loop: Header=BB6_5236 Depth=2
	v_cmp_ne_u16_e32 vcc, s71, v3
	v_bfrev_b32_e32 v6, 1
	s_and_saveexec_b64 s[54:55], vcc
	s_cbranch_execz .LBB6_5554
; %bb.5551:                             ;   in Loop: Header=BB6_5236 Depth=2
	v_and_b32_e32 v2, 0xffff, v3
	v_and_b32_e32 v8, 0x7f, v2
	v_cmp_ne_u32_e32 vcc, s69, v8
	v_mov_b32_e32 v6, 0x7f800001
	s_and_saveexec_b64 s[56:57], vcc
	s_cbranch_execz .LBB6_5553
; %bb.5552:                             ;   in Loop: Header=BB6_5236 Depth=2
	v_and_b32_e32 v6, 7, v2
	v_ffbh_u32_e32 v25, v6
	v_min_u32_e32 v25, 32, v25
	v_subrev_u32_e32 v28, 28, v25
	v_lshlrev_b64 v[28:29], v28, v[2:3]
	v_lshrrev_b32_e32 v9, 3, v8
	v_sub_u32_e32 v2, 29, v25
	v_and_b32_e32 v25, 7, v28
	v_cmp_gt_u32_e32 vcc, 8, v8
	v_cndmask_b32_e32 v2, v9, v2, vcc
	v_cndmask_b32_e32 v6, v6, v25, vcc
	v_lshlrev_b32_e32 v3, 24, v3
	v_lshlrev_b32_e32 v6, 20, v6
	v_and_b32_e32 v3, 0x80000000, v3
	v_lshl_add_u32 v2, v2, 23, v21
	v_or3_b32 v6, v3, v2, v6
.LBB6_5553:                             ;   in Loop: Header=BB6_5236 Depth=2
	s_or_b64 exec, exec, s[56:57]
.LBB6_5554:                             ;   in Loop: Header=BB6_5236 Depth=2
	s_or_b64 exec, exec, s[54:55]
.LBB6_5555:                             ;   in Loop: Header=BB6_5236 Depth=2
	s_or_b64 exec, exec, s[18:19]
	v_mul_f32_e32 v2, s60, v6
	v_and_b32_sdwa v6, v2, s71 dst_sel:DWORD dst_unused:UNUSED_PAD src0_sel:BYTE_3 src1_sel:DWORD
	v_and_b32_e32 v28, 0x7f800000, v2
	v_mov_b32_e32 v29, v37
	v_and_b32_e32 v36, 0x7fffff, v2
	v_or_b32_e32 v8, 0x7e, v6
	v_cmp_ne_u64_e32 vcc, s[38:39], v[28:29]
	s_and_saveexec_b64 s[18:19], vcc
	s_xor_b64 s[54:55], exec, s[18:19]
	s_cbranch_execz .LBB6_5569
; %bb.5556:                             ;   in Loop: Header=BB6_5236 Depth=2
	v_and_b32_e32 v28, 0x7fffffff, v2
	v_mov_b32_e32 v29, v37
	v_cmp_gt_u64_e32 vcc, s[40:41], v[28:29]
	s_and_saveexec_b64 s[18:19], vcc
	s_xor_b64 s[56:57], exec, s[18:19]
	s_cbranch_execz .LBB6_5568
; %bb.5557:                             ;   in Loop: Header=BB6_5236 Depth=2
	v_cmp_ne_u32_e32 vcc, 0, v2
	v_mov_b32_e32 v8, 0
	s_and_saveexec_b64 s[58:59], vcc
	s_cbranch_execz .LBB6_5567
; %bb.5558:                             ;   in Loop: Header=BB6_5236 Depth=2
	v_bfe_u32 v2, v2, 23, 8
	v_sub_u32_e32 v8, 0x79, v2
	v_cmp_gt_u32_e32 vcc, s72, v2
	v_add_u32_e32 v3, 0xffffff81, v2
	v_cndmask_b32_e32 v8, 0, v8, vcc
	v_cmp_eq_u32_e32 vcc, 0, v2
	v_mov_b32_e32 v2, 0xffffff82
	v_cndmask_b32_e32 v25, v3, v2, vcc
	v_mov_b32_e32 v2, 0x78
	v_or_b32_e32 v9, 0x800000, v36
	v_cndmask_b32_e32 v8, v8, v2, vcc
	v_cndmask_b32_e32 v36, v9, v36, vcc
	v_add_u32_e32 v2, 20, v8
	v_lshlrev_b64 v[2:3], v2, -1
	v_add_u32_e32 v9, 19, v8
	v_lshrrev_b64 v[38:39], v8, v[36:37]
	v_not_b32_e32 v3, v3
	v_not_b32_e32 v2, v2
	v_lshlrev_b64 v[28:29], v9, 1
	v_lshrrev_b32_e32 v9, 23, v38
	v_and_b32_e32 v3, 0, v3
	v_and_b32_e32 v2, v36, v2
	v_add3_u32 v25, v8, v25, v9
	v_bfe_u32 v9, v38, 20, 1
	v_add_u32_e32 v9, -1, v9
	v_cmp_eq_u64_e32 vcc, v[2:3], v[28:29]
	v_cndmask_b32_e32 v2, 0, v9, vcc
	v_add_u32_e32 v2, v2, v38
	v_and_b32_e32 v2, 0xfffff, v2
	v_add_co_u32_e32 v2, vcc, v2, v38
	v_add_u32_e32 v8, 6, v25
	v_addc_co_u32_e32 v3, vcc, 0, v39, vcc
	v_cmp_ne_u32_e32 vcc, 0, v8
                                        ; implicit-def: $vgpr9
	s_and_saveexec_b64 s[18:19], vcc
	s_xor_b64 s[18:19], exec, s[18:19]
; %bb.5559:                             ;   in Loop: Header=BB6_5236 Depth=2
	v_add_u32_e32 v9, 7, v25
	v_cmp_lt_u64_e32 vcc, s[44:45], v[2:3]
	v_cndmask_b32_e32 v9, v8, v9, vcc
	v_cndmask_b32_e64 v8, 0, 1, vcc
	v_lshrrev_b64 v[2:3], v8, v[2:3]
; %bb.5560:                             ;   in Loop: Header=BB6_5236 Depth=2
	s_andn2_saveexec_b64 s[18:19], s[18:19]
; %bb.5561:                             ;   in Loop: Header=BB6_5236 Depth=2
	v_bfe_u32 v9, v2, 23, 1
; %bb.5562:                             ;   in Loop: Header=BB6_5236 Depth=2
	s_or_b64 exec, exec, s[18:19]
	v_lshrrev_b64 v[2:3], 20, v[2:3]
	v_cmp_gt_i32_e32 vcc, 16, v9
	v_cndmask_b32_e32 v3, 0, v3, vcc
	v_cndmask_b32_e32 v2, 7, v2, vcc
	v_cmp_ne_u32_e32 vcc, 0, v9
	v_cmp_ne_u64_e64 s[18:19], 0, v[2:3]
	s_or_b64 s[18:19], vcc, s[18:19]
                                        ; implicit-def: $vgpr8
	s_and_saveexec_b64 vcc, s[18:19]
	s_xor_b64 s[18:19], exec, vcc
; %bb.5563:                             ;   in Loop: Header=BB6_5236 Depth=2
	v_min_i32_e32 v3, 15, v9
	v_lshl_or_b32 v3, v3, 3, v6
	v_and_or_b32 v8, v2, 7, v3
                                        ; implicit-def: $vgpr6
; %bb.5564:                             ;   in Loop: Header=BB6_5236 Depth=2
	s_andn2_saveexec_b64 s[18:19], s[18:19]
; %bb.5565:                             ;   in Loop: Header=BB6_5236 Depth=2
	v_mov_b32_e32 v8, v6
; %bb.5566:                             ;   in Loop: Header=BB6_5236 Depth=2
	s_or_b64 exec, exec, s[18:19]
.LBB6_5567:                             ;   in Loop: Header=BB6_5236 Depth=2
	s_or_b64 exec, exec, s[58:59]
.LBB6_5568:                             ;   in Loop: Header=BB6_5236 Depth=2
	s_andn2_saveexec_b64 s[18:19], s[56:57]
	s_or_b64 exec, exec, s[18:19]
                                        ; implicit-def: $vgpr2
.LBB6_5569:                             ;   in Loop: Header=BB6_5236 Depth=2
	s_andn2_saveexec_b64 s[18:19], s[54:55]
; %bb.5570:                             ;   in Loop: Header=BB6_5236 Depth=2
	v_or_b32_sdwa v2, v2, s69 dst_sel:DWORD dst_unused:UNUSED_PAD src0_sel:BYTE_3 src1_sel:DWORD
	v_cmp_eq_u64_e32 vcc, 0, v[36:37]
	v_cndmask_b32_e32 v8, v2, v8, vcc
; %bb.5571:                             ;   in Loop: Header=BB6_5236 Depth=2
	s_or_b64 exec, exec, s[18:19]
	flat_load_ubyte v3, v[10:11] offset:960 glc slc
	v_mov_b32_e32 v6, 0
	s_waitcnt vmcnt(0) lgkmcnt(0)
	v_cmp_ne_u16_e32 vcc, 0, v3
	s_and_saveexec_b64 s[18:19], vcc
	s_cbranch_execz .LBB6_5577
; %bb.5572:                             ;   in Loop: Header=BB6_5236 Depth=2
	v_cmp_ne_u16_e32 vcc, s71, v3
	v_bfrev_b32_e32 v6, 1
	s_and_saveexec_b64 s[54:55], vcc
	s_cbranch_execz .LBB6_5576
; %bb.5573:                             ;   in Loop: Header=BB6_5236 Depth=2
	v_and_b32_e32 v2, 0xffff, v3
	v_and_b32_e32 v9, 0x7f, v2
	v_cmp_ne_u32_e32 vcc, s69, v9
	v_mov_b32_e32 v6, 0x7f800001
	s_and_saveexec_b64 s[56:57], vcc
	s_cbranch_execz .LBB6_5575
; %bb.5574:                             ;   in Loop: Header=BB6_5236 Depth=2
	v_and_b32_e32 v6, 7, v2
	v_ffbh_u32_e32 v28, v6
	v_min_u32_e32 v35, 32, v28
	v_subrev_u32_e32 v28, 28, v35
	v_lshlrev_b64 v[28:29], v28, v[2:3]
	v_lshrrev_b32_e32 v25, 3, v9
	v_sub_u32_e32 v2, 29, v35
	v_and_b32_e32 v28, 7, v28
	v_cmp_gt_u32_e32 vcc, 8, v9
	v_cndmask_b32_e32 v2, v25, v2, vcc
	v_cndmask_b32_e32 v6, v6, v28, vcc
	v_lshlrev_b32_e32 v3, 24, v3
	v_lshlrev_b32_e32 v6, 20, v6
	v_and_b32_e32 v3, 0x80000000, v3
	v_lshl_add_u32 v2, v2, 23, v21
	v_or3_b32 v6, v3, v2, v6
.LBB6_5575:                             ;   in Loop: Header=BB6_5236 Depth=2
	s_or_b64 exec, exec, s[56:57]
.LBB6_5576:                             ;   in Loop: Header=BB6_5236 Depth=2
	s_or_b64 exec, exec, s[54:55]
.LBB6_5577:                             ;   in Loop: Header=BB6_5236 Depth=2
	s_or_b64 exec, exec, s[18:19]
	v_mul_f32_e32 v2, s60, v6
	v_and_b32_sdwa v9, v2, s71 dst_sel:DWORD dst_unused:UNUSED_PAD src0_sel:BYTE_3 src1_sel:DWORD
	v_and_b32_e32 v28, 0x7f800000, v2
	v_mov_b32_e32 v29, v37
	v_and_b32_e32 v36, 0x7fffff, v2
	v_or_b32_e32 v6, 0x7e, v9
	v_cmp_ne_u64_e32 vcc, s[38:39], v[28:29]
	s_and_saveexec_b64 s[18:19], vcc
	s_xor_b64 s[54:55], exec, s[18:19]
	s_cbranch_execz .LBB6_5591
; %bb.5578:                             ;   in Loop: Header=BB6_5236 Depth=2
	v_and_b32_e32 v28, 0x7fffffff, v2
	v_mov_b32_e32 v29, v37
	v_cmp_gt_u64_e32 vcc, s[40:41], v[28:29]
	s_and_saveexec_b64 s[18:19], vcc
	s_xor_b64 s[56:57], exec, s[18:19]
	s_cbranch_execz .LBB6_5590
; %bb.5579:                             ;   in Loop: Header=BB6_5236 Depth=2
	v_cmp_ne_u32_e32 vcc, 0, v2
	v_mov_b32_e32 v6, 0
	s_and_saveexec_b64 s[58:59], vcc
	s_cbranch_execz .LBB6_5589
; %bb.5580:                             ;   in Loop: Header=BB6_5236 Depth=2
	v_bfe_u32 v2, v2, 23, 8
	v_sub_u32_e32 v6, 0x79, v2
	v_cmp_gt_u32_e32 vcc, s72, v2
	v_add_u32_e32 v3, 0xffffff81, v2
	v_cndmask_b32_e32 v6, 0, v6, vcc
	v_cmp_eq_u32_e32 vcc, 0, v2
	v_mov_b32_e32 v2, 0xffffff82
	v_cndmask_b32_e32 v28, v3, v2, vcc
	v_mov_b32_e32 v2, 0x78
	v_or_b32_e32 v25, 0x800000, v36
	v_cndmask_b32_e32 v6, v6, v2, vcc
	v_cndmask_b32_e32 v36, v25, v36, vcc
	v_add_u32_e32 v2, 20, v6
	v_lshlrev_b64 v[2:3], v2, -1
	v_add_u32_e32 v25, 19, v6
	v_lshrrev_b64 v[48:49], v6, v[36:37]
	v_not_b32_e32 v3, v3
	v_not_b32_e32 v2, v2
	v_lshlrev_b64 v[38:39], v25, 1
	v_lshrrev_b32_e32 v25, 23, v48
	v_and_b32_e32 v3, 0, v3
	v_and_b32_e32 v2, v36, v2
	v_add3_u32 v28, v6, v28, v25
	v_bfe_u32 v25, v48, 20, 1
	v_add_u32_e32 v25, -1, v25
	v_cmp_eq_u64_e32 vcc, v[2:3], v[38:39]
	v_cndmask_b32_e32 v2, 0, v25, vcc
	v_add_u32_e32 v2, v2, v48
	v_and_b32_e32 v2, 0xfffff, v2
	v_add_co_u32_e32 v2, vcc, v2, v48
	v_add_u32_e32 v6, 6, v28
	v_addc_co_u32_e32 v3, vcc, 0, v49, vcc
	v_cmp_ne_u32_e32 vcc, 0, v6
                                        ; implicit-def: $vgpr25
	s_and_saveexec_b64 s[18:19], vcc
	s_xor_b64 s[18:19], exec, s[18:19]
; %bb.5581:                             ;   in Loop: Header=BB6_5236 Depth=2
	v_add_u32_e32 v25, 7, v28
	v_cmp_lt_u64_e32 vcc, s[44:45], v[2:3]
	v_cndmask_b32_e32 v25, v6, v25, vcc
	v_cndmask_b32_e64 v6, 0, 1, vcc
	v_lshrrev_b64 v[2:3], v6, v[2:3]
; %bb.5582:                             ;   in Loop: Header=BB6_5236 Depth=2
	s_andn2_saveexec_b64 s[18:19], s[18:19]
; %bb.5583:                             ;   in Loop: Header=BB6_5236 Depth=2
	v_bfe_u32 v25, v2, 23, 1
; %bb.5584:                             ;   in Loop: Header=BB6_5236 Depth=2
	s_or_b64 exec, exec, s[18:19]
	v_lshrrev_b64 v[2:3], 20, v[2:3]
	v_cmp_gt_i32_e32 vcc, 16, v25
	v_cndmask_b32_e32 v3, 0, v3, vcc
	v_cndmask_b32_e32 v2, 7, v2, vcc
	v_cmp_ne_u32_e32 vcc, 0, v25
	v_cmp_ne_u64_e64 s[18:19], 0, v[2:3]
	s_or_b64 s[18:19], vcc, s[18:19]
                                        ; implicit-def: $vgpr6
	s_and_saveexec_b64 vcc, s[18:19]
	s_xor_b64 s[18:19], exec, vcc
; %bb.5585:                             ;   in Loop: Header=BB6_5236 Depth=2
	v_min_i32_e32 v3, 15, v25
	v_lshl_or_b32 v3, v3, 3, v9
	v_and_or_b32 v6, v2, 7, v3
                                        ; implicit-def: $vgpr9
; %bb.5586:                             ;   in Loop: Header=BB6_5236 Depth=2
	s_andn2_saveexec_b64 s[18:19], s[18:19]
; %bb.5587:                             ;   in Loop: Header=BB6_5236 Depth=2
	v_mov_b32_e32 v6, v9
; %bb.5588:                             ;   in Loop: Header=BB6_5236 Depth=2
	s_or_b64 exec, exec, s[18:19]
.LBB6_5589:                             ;   in Loop: Header=BB6_5236 Depth=2
	s_or_b64 exec, exec, s[58:59]
.LBB6_5590:                             ;   in Loop: Header=BB6_5236 Depth=2
	s_andn2_saveexec_b64 s[18:19], s[56:57]
	s_or_b64 exec, exec, s[18:19]
                                        ; implicit-def: $vgpr2
.LBB6_5591:                             ;   in Loop: Header=BB6_5236 Depth=2
	s_andn2_saveexec_b64 s[18:19], s[54:55]
; %bb.5592:                             ;   in Loop: Header=BB6_5236 Depth=2
	v_or_b32_sdwa v2, v2, s69 dst_sel:DWORD dst_unused:UNUSED_PAD src0_sel:BYTE_3 src1_sel:DWORD
	v_cmp_eq_u64_e32 vcc, 0, v[36:37]
	v_cndmask_b32_e32 v6, v2, v6, vcc
; %bb.5593:                             ;   in Loop: Header=BB6_5236 Depth=2
	s_or_b64 exec, exec, s[18:19]
	flat_load_ubyte v3, v[12:13] glc slc
	flat_load_ubyte v42, v[12:13] offset:64 glc slc
	flat_load_ubyte v41, v[12:13] offset:128 glc slc
	flat_load_ubyte v29, v[12:13] offset:192 glc slc
	flat_load_ubyte v28, v[12:13] offset:256 glc slc
	flat_load_ubyte v40, v[12:13] offset:320 glc slc
	flat_load_ubyte v55, v[12:13] offset:384 glc slc
	flat_load_ubyte v54, v[12:13] offset:448 glc slc
	flat_load_ubyte v53, v[12:13] offset:512 glc slc
	flat_load_ubyte v52, v[12:13] offset:576 glc slc
	flat_load_ubyte v49, v[12:13] offset:640 glc slc
	flat_load_ubyte v48, v[12:13] offset:704 glc slc
	flat_load_ubyte v39, v[12:13] offset:768 glc slc
	flat_load_ubyte v35, v[12:13] offset:832 glc slc
	flat_load_ubyte v25, v[12:13] offset:896 glc slc
	flat_load_ubyte v9, v[12:13] offset:960 glc slc
	v_and_b32_e32 v2, 0xff, v7
	v_cmp_ne_u16_e32 vcc, 0, v2
	v_mov_b32_e32 v36, 0
	v_mov_b32_e32 v43, 0
	s_and_saveexec_b64 s[18:19], vcc
	s_cbranch_execz .LBB6_5599
; %bb.5594:                             ;   in Loop: Header=BB6_5236 Depth=2
	v_cmp_ne_u16_e32 vcc, s71, v2
	v_bfrev_b32_e32 v43, 1
	s_and_saveexec_b64 s[54:55], vcc
	s_cbranch_execz .LBB6_5598
; %bb.5595:                             ;   in Loop: Header=BB6_5236 Depth=2
	v_and_b32_e32 v44, 0x7f, v7
	v_cmp_ne_u32_e32 vcc, s69, v44
	v_mov_b32_e32 v43, 0x7f800001
	s_and_saveexec_b64 s[56:57], vcc
	s_cbranch_execz .LBB6_5597
; %bb.5596:                             ;   in Loop: Header=BB6_5236 Depth=2
	v_and_b32_e32 v38, 7, v2
	v_ffbh_u32_e32 v50, v38
	v_min_u32_e32 v45, 32, v50
	v_subrev_u32_e32 v50, 28, v45
	s_waitcnt vmcnt(0) lgkmcnt(0)
	v_lshlrev_b64 v[50:51], v50, v[2:3]
	v_lshrrev_b32_e32 v43, 3, v44
	v_sub_u32_e32 v2, 29, v45
	v_and_b32_e32 v50, 7, v50
	v_cmp_gt_u32_e32 vcc, 8, v44
	v_cndmask_b32_e32 v2, v43, v2, vcc
	v_cndmask_b32_e32 v38, v38, v50, vcc
	v_lshlrev_b32_e32 v7, 24, v7
	v_lshlrev_b32_e32 v38, 20, v38
	v_and_b32_e32 v7, 0x80000000, v7
	v_lshl_add_u32 v2, v2, 23, v21
	v_or3_b32 v43, v7, v2, v38
.LBB6_5597:                             ;   in Loop: Header=BB6_5236 Depth=2
	s_or_b64 exec, exec, s[56:57]
.LBB6_5598:                             ;   in Loop: Header=BB6_5236 Depth=2
	s_or_b64 exec, exec, s[54:55]
.LBB6_5599:                             ;   in Loop: Header=BB6_5236 Depth=2
	s_or_b64 exec, exec, s[18:19]
	s_waitcnt vmcnt(0) lgkmcnt(0)
	v_and_b32_e32 v2, 0xff, v3
	v_cmp_ne_u16_e32 vcc, 0, v2
	s_and_saveexec_b64 s[18:19], vcc
	s_cbranch_execz .LBB6_5605
; %bb.5600:                             ;   in Loop: Header=BB6_5236 Depth=2
	v_cmp_ne_u16_e32 vcc, s71, v2
	v_bfrev_b32_e32 v36, 1
	s_and_saveexec_b64 s[54:55], vcc
	s_cbranch_execz .LBB6_5604
; %bb.5601:                             ;   in Loop: Header=BB6_5236 Depth=2
	v_and_b32_e32 v7, 0x7f, v3
	v_cmp_ne_u32_e32 vcc, s69, v7
	v_mov_b32_e32 v36, 0x7f800001
	s_and_saveexec_b64 s[56:57], vcc
	s_cbranch_execz .LBB6_5603
; %bb.5602:                             ;   in Loop: Header=BB6_5236 Depth=2
	v_and_b32_e32 v36, 7, v2
	v_ffbh_u32_e32 v50, v36
	v_min_u32_e32 v44, 32, v50
	v_subrev_u32_e32 v50, 28, v44
	v_lshlrev_b64 v[50:51], v50, v[2:3]
	v_lshrrev_b32_e32 v38, 3, v7
	v_sub_u32_e32 v2, 29, v44
	v_and_b32_e32 v50, 7, v50
	v_cmp_gt_u32_e32 vcc, 8, v7
	v_cndmask_b32_e32 v2, v38, v2, vcc
	v_cndmask_b32_e32 v7, v36, v50, vcc
	v_lshlrev_b32_e32 v3, 24, v3
	v_lshlrev_b32_e32 v7, 20, v7
	v_and_b32_e32 v3, 0x80000000, v3
	v_lshl_add_u32 v2, v2, 23, v21
	v_or3_b32 v36, v3, v2, v7
.LBB6_5603:                             ;   in Loop: Header=BB6_5236 Depth=2
	s_or_b64 exec, exec, s[56:57]
.LBB6_5604:                             ;   in Loop: Header=BB6_5236 Depth=2
	s_or_b64 exec, exec, s[54:55]
.LBB6_5605:                             ;   in Loop: Header=BB6_5236 Depth=2
	s_or_b64 exec, exec, s[18:19]
	v_add_f32_e32 v2, v43, v36
	v_and_b32_sdwa v43, v2, s71 dst_sel:DWORD dst_unused:UNUSED_PAD src0_sel:BYTE_3 src1_sel:DWORD
	v_and_b32_e32 v50, 0x7f800000, v2
	v_mov_b32_e32 v51, v37
	v_and_b32_e32 v36, 0x7fffff, v2
	v_or_b32_e32 v7, 0x7e, v43
	v_cmp_ne_u64_e32 vcc, s[38:39], v[50:51]
	s_and_saveexec_b64 s[18:19], vcc
	s_xor_b64 s[54:55], exec, s[18:19]
	s_cbranch_execz .LBB6_5619
; %bb.5606:                             ;   in Loop: Header=BB6_5236 Depth=2
	v_and_b32_e32 v50, 0x7fffffff, v2
	v_mov_b32_e32 v51, v37
	v_cmp_gt_u64_e32 vcc, s[40:41], v[50:51]
	s_and_saveexec_b64 s[18:19], vcc
	s_xor_b64 s[56:57], exec, s[18:19]
	s_cbranch_execz .LBB6_5618
; %bb.5607:                             ;   in Loop: Header=BB6_5236 Depth=2
	v_cmp_ne_u32_e32 vcc, 0, v2
	v_mov_b32_e32 v7, 0
	s_and_saveexec_b64 s[58:59], vcc
	s_cbranch_execz .LBB6_5617
; %bb.5608:                             ;   in Loop: Header=BB6_5236 Depth=2
	v_bfe_u32 v2, v2, 23, 8
	v_sub_u32_e32 v7, 0x79, v2
	v_cmp_gt_u32_e32 vcc, s72, v2
	v_add_u32_e32 v3, 0xffffff81, v2
	v_cndmask_b32_e32 v7, 0, v7, vcc
	v_cmp_eq_u32_e32 vcc, 0, v2
	v_mov_b32_e32 v2, 0xffffff82
	v_cndmask_b32_e32 v44, v3, v2, vcc
	v_mov_b32_e32 v2, 0x78
	v_cndmask_b32_e32 v7, v7, v2, vcc
	v_or_b32_e32 v38, 0x800000, v36
	v_add_u32_e32 v2, 20, v7
	v_cndmask_b32_e32 v36, v38, v36, vcc
	v_lshlrev_b64 v[2:3], v2, -1
	v_not_b32_e32 v2, v2
	v_lshrrev_b64 v[46:47], v7, v[36:37]
	v_not_b32_e32 v3, v3
	v_and_b32_e32 v2, v36, v2
	v_add_u32_e32 v38, 19, v7
	v_lshrrev_b32_e32 v36, 23, v46
	v_and_b32_e32 v3, 0, v3
	v_lshlrev_b64 v[50:51], v38, 1
	v_add3_u32 v44, v7, v44, v36
	v_bfe_u32 v36, v46, 20, 1
	v_add_u32_e32 v36, -1, v36
	v_cmp_eq_u64_e32 vcc, v[2:3], v[50:51]
	v_cndmask_b32_e32 v2, 0, v36, vcc
	v_add_u32_e32 v2, v2, v46
	v_and_b32_e32 v2, 0xfffff, v2
	v_add_co_u32_e32 v2, vcc, v2, v46
	v_add_u32_e32 v7, 6, v44
	v_addc_co_u32_e32 v3, vcc, 0, v47, vcc
	v_cmp_ne_u32_e32 vcc, 0, v7
                                        ; implicit-def: $vgpr36
	s_and_saveexec_b64 s[18:19], vcc
	s_xor_b64 s[18:19], exec, s[18:19]
; %bb.5609:                             ;   in Loop: Header=BB6_5236 Depth=2
	v_add_u32_e32 v36, 7, v44
	v_cmp_lt_u64_e32 vcc, s[44:45], v[2:3]
	v_cndmask_b32_e32 v36, v7, v36, vcc
	v_cndmask_b32_e64 v7, 0, 1, vcc
	v_lshrrev_b64 v[2:3], v7, v[2:3]
; %bb.5610:                             ;   in Loop: Header=BB6_5236 Depth=2
	s_andn2_saveexec_b64 s[18:19], s[18:19]
; %bb.5611:                             ;   in Loop: Header=BB6_5236 Depth=2
	v_bfe_u32 v36, v2, 23, 1
; %bb.5612:                             ;   in Loop: Header=BB6_5236 Depth=2
	s_or_b64 exec, exec, s[18:19]
	v_lshrrev_b64 v[2:3], 20, v[2:3]
	v_cmp_gt_i32_e32 vcc, 16, v36
	v_cndmask_b32_e32 v3, 0, v3, vcc
	v_cndmask_b32_e32 v2, 7, v2, vcc
	v_cmp_ne_u32_e32 vcc, 0, v36
	v_cmp_ne_u64_e64 s[18:19], 0, v[2:3]
	s_or_b64 s[18:19], vcc, s[18:19]
                                        ; implicit-def: $vgpr7
	s_and_saveexec_b64 vcc, s[18:19]
	s_xor_b64 s[18:19], exec, vcc
; %bb.5613:                             ;   in Loop: Header=BB6_5236 Depth=2
	v_min_i32_e32 v3, 15, v36
	v_lshl_or_b32 v3, v3, 3, v43
	v_and_or_b32 v7, v2, 7, v3
                                        ; implicit-def: $vgpr43
; %bb.5614:                             ;   in Loop: Header=BB6_5236 Depth=2
	s_andn2_saveexec_b64 s[18:19], s[18:19]
; %bb.5615:                             ;   in Loop: Header=BB6_5236 Depth=2
	v_mov_b32_e32 v7, v43
; %bb.5616:                             ;   in Loop: Header=BB6_5236 Depth=2
	s_or_b64 exec, exec, s[18:19]
.LBB6_5617:                             ;   in Loop: Header=BB6_5236 Depth=2
	s_or_b64 exec, exec, s[58:59]
.LBB6_5618:                             ;   in Loop: Header=BB6_5236 Depth=2
	s_andn2_saveexec_b64 s[18:19], s[56:57]
	s_or_b64 exec, exec, s[18:19]
                                        ; implicit-def: $vgpr2
.LBB6_5619:                             ;   in Loop: Header=BB6_5236 Depth=2
	s_andn2_saveexec_b64 s[18:19], s[54:55]
; %bb.5620:                             ;   in Loop: Header=BB6_5236 Depth=2
	v_or_b32_sdwa v2, v2, s69 dst_sel:DWORD dst_unused:UNUSED_PAD src0_sel:BYTE_3 src1_sel:DWORD
	v_cmp_eq_u64_e32 vcc, 0, v[36:37]
	v_cndmask_b32_e32 v7, v2, v7, vcc
; %bb.5621:                             ;   in Loop: Header=BB6_5236 Depth=2
	s_or_b64 exec, exec, s[18:19]
	v_and_b32_e32 v2, 0xff, v24
	v_cmp_ne_u16_e32 vcc, 0, v2
	v_mov_b32_e32 v3, 0
	v_mov_b32_e32 v36, 0
	s_and_saveexec_b64 s[18:19], vcc
	s_cbranch_execz .LBB6_5627
; %bb.5622:                             ;   in Loop: Header=BB6_5236 Depth=2
	v_cmp_ne_u16_e32 vcc, s71, v2
	v_bfrev_b32_e32 v36, 1
	s_and_saveexec_b64 s[54:55], vcc
	s_cbranch_execz .LBB6_5626
; %bb.5623:                             ;   in Loop: Header=BB6_5236 Depth=2
	v_and_b32_e32 v43, 0x7f, v24
	v_cmp_ne_u32_e32 vcc, s69, v43
	v_mov_b32_e32 v36, 0x7f800001
	s_and_saveexec_b64 s[56:57], vcc
	s_cbranch_execz .LBB6_5625
; %bb.5624:                             ;   in Loop: Header=BB6_5236 Depth=2
	v_and_b32_e32 v36, 7, v2
	v_ffbh_u32_e32 v50, v36
	v_min_u32_e32 v44, 32, v50
	v_subrev_u32_e32 v50, 28, v44
	v_lshlrev_b64 v[50:51], v50, v[2:3]
	v_lshrrev_b32_e32 v38, 3, v43
	v_sub_u32_e32 v2, 29, v44
	v_and_b32_e32 v50, 7, v50
	v_cmp_gt_u32_e32 vcc, 8, v43
	v_cndmask_b32_e32 v2, v38, v2, vcc
	v_cndmask_b32_e32 v36, v36, v50, vcc
	v_lshlrev_b32_e32 v24, 24, v24
	v_lshlrev_b32_e32 v36, 20, v36
	v_and_b32_e32 v24, 0x80000000, v24
	v_lshl_add_u32 v2, v2, 23, v21
	v_or3_b32 v36, v24, v2, v36
.LBB6_5625:                             ;   in Loop: Header=BB6_5236 Depth=2
	s_or_b64 exec, exec, s[56:57]
.LBB6_5626:                             ;   in Loop: Header=BB6_5236 Depth=2
	s_or_b64 exec, exec, s[54:55]
.LBB6_5627:                             ;   in Loop: Header=BB6_5236 Depth=2
	s_or_b64 exec, exec, s[18:19]
	v_and_b32_e32 v2, 0xff, v42
	v_cmp_ne_u16_e32 vcc, 0, v2
	s_and_saveexec_b64 s[18:19], vcc
	s_cbranch_execz .LBB6_5633
; %bb.5628:                             ;   in Loop: Header=BB6_5236 Depth=2
	v_cmp_ne_u16_e32 vcc, s71, v2
	v_bfrev_b32_e32 v3, 1
	s_and_saveexec_b64 s[54:55], vcc
	s_cbranch_execz .LBB6_5632
; %bb.5629:                             ;   in Loop: Header=BB6_5236 Depth=2
	v_and_b32_e32 v24, 0x7f, v42
	v_cmp_ne_u32_e32 vcc, s69, v24
	v_mov_b32_e32 v3, 0x7f800001
	s_and_saveexec_b64 s[56:57], vcc
	s_cbranch_execz .LBB6_5631
; %bb.5630:                             ;   in Loop: Header=BB6_5236 Depth=2
	v_and_b32_e32 v38, 7, v2
	v_ffbh_u32_e32 v3, v38
	v_min_u32_e32 v51, 32, v3
	v_subrev_u32_e32 v3, 28, v51
	v_lshlrev_b64 v[2:3], v3, v[2:3]
	v_lshrrev_b32_e32 v50, 3, v24
	v_sub_u32_e32 v3, 29, v51
	v_and_b32_e32 v2, 7, v2
	v_cmp_gt_u32_e32 vcc, 8, v24
	v_cndmask_b32_e32 v3, v50, v3, vcc
	v_cndmask_b32_e32 v2, v38, v2, vcc
	v_lshlrev_b32_e32 v24, 24, v42
	v_lshlrev_b32_e32 v2, 20, v2
	v_and_b32_e32 v24, 0x80000000, v24
	v_lshl_add_u32 v3, v3, 23, v21
	v_or3_b32 v3, v24, v3, v2
.LBB6_5631:                             ;   in Loop: Header=BB6_5236 Depth=2
	s_or_b64 exec, exec, s[56:57]
.LBB6_5632:                             ;   in Loop: Header=BB6_5236 Depth=2
	s_or_b64 exec, exec, s[54:55]
.LBB6_5633:                             ;   in Loop: Header=BB6_5236 Depth=2
	s_or_b64 exec, exec, s[18:19]
	v_add_f32_e32 v2, v36, v3
	v_and_b32_sdwa v42, v2, s71 dst_sel:DWORD dst_unused:UNUSED_PAD src0_sel:BYTE_3 src1_sel:DWORD
	v_and_b32_e32 v50, 0x7f800000, v2
	v_mov_b32_e32 v51, v37
	v_and_b32_e32 v36, 0x7fffff, v2
	v_or_b32_e32 v24, 0x7e, v42
	v_cmp_ne_u64_e32 vcc, s[38:39], v[50:51]
	s_and_saveexec_b64 s[18:19], vcc
	s_xor_b64 s[54:55], exec, s[18:19]
	s_cbranch_execz .LBB6_5647
; %bb.5634:                             ;   in Loop: Header=BB6_5236 Depth=2
	v_and_b32_e32 v50, 0x7fffffff, v2
	v_mov_b32_e32 v51, v37
	v_cmp_gt_u64_e32 vcc, s[40:41], v[50:51]
	s_and_saveexec_b64 s[18:19], vcc
	s_xor_b64 s[56:57], exec, s[18:19]
	s_cbranch_execz .LBB6_5646
; %bb.5635:                             ;   in Loop: Header=BB6_5236 Depth=2
	v_cmp_ne_u32_e32 vcc, 0, v2
	v_mov_b32_e32 v24, 0
	s_and_saveexec_b64 s[58:59], vcc
	s_cbranch_execz .LBB6_5645
; %bb.5636:                             ;   in Loop: Header=BB6_5236 Depth=2
	v_bfe_u32 v2, v2, 23, 8
	v_sub_u32_e32 v24, 0x79, v2
	v_cmp_gt_u32_e32 vcc, s72, v2
	v_add_u32_e32 v3, 0xffffff81, v2
	v_cndmask_b32_e32 v24, 0, v24, vcc
	v_cmp_eq_u32_e32 vcc, 0, v2
	v_mov_b32_e32 v2, 0xffffff82
	v_cndmask_b32_e32 v43, v3, v2, vcc
	v_mov_b32_e32 v2, 0x78
	v_cndmask_b32_e32 v24, v24, v2, vcc
	v_or_b32_e32 v38, 0x800000, v36
	v_add_u32_e32 v2, 20, v24
	v_cndmask_b32_e32 v36, v38, v36, vcc
	v_lshlrev_b64 v[2:3], v2, -1
	v_not_b32_e32 v2, v2
	v_lshrrev_b64 v[44:45], v24, v[36:37]
	v_not_b32_e32 v3, v3
	v_and_b32_e32 v2, v36, v2
	v_add_u32_e32 v38, 19, v24
	v_lshrrev_b32_e32 v36, 23, v44
	v_and_b32_e32 v3, 0, v3
	v_lshlrev_b64 v[50:51], v38, 1
	v_add3_u32 v43, v24, v43, v36
	v_bfe_u32 v36, v44, 20, 1
	v_add_u32_e32 v36, -1, v36
	v_cmp_eq_u64_e32 vcc, v[2:3], v[50:51]
	v_cndmask_b32_e32 v2, 0, v36, vcc
	v_add_u32_e32 v2, v2, v44
	v_and_b32_e32 v2, 0xfffff, v2
	v_add_co_u32_e32 v2, vcc, v2, v44
	v_add_u32_e32 v24, 6, v43
	v_addc_co_u32_e32 v3, vcc, 0, v45, vcc
	v_cmp_ne_u32_e32 vcc, 0, v24
                                        ; implicit-def: $vgpr36
	s_and_saveexec_b64 s[18:19], vcc
	s_xor_b64 s[18:19], exec, s[18:19]
; %bb.5637:                             ;   in Loop: Header=BB6_5236 Depth=2
	v_add_u32_e32 v36, 7, v43
	v_cmp_lt_u64_e32 vcc, s[44:45], v[2:3]
	v_cndmask_b32_e32 v36, v24, v36, vcc
	v_cndmask_b32_e64 v24, 0, 1, vcc
	v_lshrrev_b64 v[2:3], v24, v[2:3]
; %bb.5638:                             ;   in Loop: Header=BB6_5236 Depth=2
	s_andn2_saveexec_b64 s[18:19], s[18:19]
; %bb.5639:                             ;   in Loop: Header=BB6_5236 Depth=2
	v_bfe_u32 v36, v2, 23, 1
; %bb.5640:                             ;   in Loop: Header=BB6_5236 Depth=2
	s_or_b64 exec, exec, s[18:19]
	v_lshrrev_b64 v[2:3], 20, v[2:3]
	v_cmp_gt_i32_e32 vcc, 16, v36
	v_cndmask_b32_e32 v3, 0, v3, vcc
	v_cndmask_b32_e32 v2, 7, v2, vcc
	v_cmp_ne_u32_e32 vcc, 0, v36
	v_cmp_ne_u64_e64 s[18:19], 0, v[2:3]
	s_or_b64 s[18:19], vcc, s[18:19]
                                        ; implicit-def: $vgpr24
	s_and_saveexec_b64 vcc, s[18:19]
	s_xor_b64 s[18:19], exec, vcc
; %bb.5641:                             ;   in Loop: Header=BB6_5236 Depth=2
	v_min_i32_e32 v3, 15, v36
	v_lshl_or_b32 v3, v3, 3, v42
	v_and_or_b32 v24, v2, 7, v3
                                        ; implicit-def: $vgpr42
; %bb.5642:                             ;   in Loop: Header=BB6_5236 Depth=2
	s_andn2_saveexec_b64 s[18:19], s[18:19]
; %bb.5643:                             ;   in Loop: Header=BB6_5236 Depth=2
	v_mov_b32_e32 v24, v42
; %bb.5644:                             ;   in Loop: Header=BB6_5236 Depth=2
	s_or_b64 exec, exec, s[18:19]
.LBB6_5645:                             ;   in Loop: Header=BB6_5236 Depth=2
	s_or_b64 exec, exec, s[58:59]
.LBB6_5646:                             ;   in Loop: Header=BB6_5236 Depth=2
	s_andn2_saveexec_b64 s[18:19], s[56:57]
	s_or_b64 exec, exec, s[18:19]
                                        ; implicit-def: $vgpr2
.LBB6_5647:                             ;   in Loop: Header=BB6_5236 Depth=2
	s_andn2_saveexec_b64 s[18:19], s[54:55]
; %bb.5648:                             ;   in Loop: Header=BB6_5236 Depth=2
	v_or_b32_sdwa v2, v2, s69 dst_sel:DWORD dst_unused:UNUSED_PAD src0_sel:BYTE_3 src1_sel:DWORD
	v_cmp_eq_u64_e32 vcc, 0, v[36:37]
	v_cndmask_b32_e32 v24, v2, v24, vcc
; %bb.5649:                             ;   in Loop: Header=BB6_5236 Depth=2
	s_or_b64 exec, exec, s[18:19]
	v_and_b32_e32 v2, 0xff, v34
	v_cmp_ne_u16_e32 vcc, 0, v2
	v_mov_b32_e32 v3, 0
	v_mov_b32_e32 v36, 0
	s_and_saveexec_b64 s[18:19], vcc
	s_cbranch_execz .LBB6_5655
; %bb.5650:                             ;   in Loop: Header=BB6_5236 Depth=2
	v_cmp_ne_u16_e32 vcc, s71, v2
	v_bfrev_b32_e32 v36, 1
	s_and_saveexec_b64 s[54:55], vcc
	s_cbranch_execz .LBB6_5654
; %bb.5651:                             ;   in Loop: Header=BB6_5236 Depth=2
	v_and_b32_e32 v42, 0x7f, v34
	v_cmp_ne_u32_e32 vcc, s69, v42
	v_mov_b32_e32 v36, 0x7f800001
	s_and_saveexec_b64 s[56:57], vcc
	s_cbranch_execz .LBB6_5653
; %bb.5652:                             ;   in Loop: Header=BB6_5236 Depth=2
	v_and_b32_e32 v36, 7, v2
	v_ffbh_u32_e32 v50, v36
	v_min_u32_e32 v43, 32, v50
	v_subrev_u32_e32 v50, 28, v43
	v_lshlrev_b64 v[50:51], v50, v[2:3]
	v_lshrrev_b32_e32 v38, 3, v42
	v_sub_u32_e32 v2, 29, v43
	v_and_b32_e32 v50, 7, v50
	v_cmp_gt_u32_e32 vcc, 8, v42
	v_cndmask_b32_e32 v2, v38, v2, vcc
	v_cndmask_b32_e32 v36, v36, v50, vcc
	v_lshlrev_b32_e32 v34, 24, v34
	v_lshlrev_b32_e32 v36, 20, v36
	v_and_b32_e32 v34, 0x80000000, v34
	v_lshl_add_u32 v2, v2, 23, v21
	v_or3_b32 v36, v34, v2, v36
.LBB6_5653:                             ;   in Loop: Header=BB6_5236 Depth=2
	s_or_b64 exec, exec, s[56:57]
.LBB6_5654:                             ;   in Loop: Header=BB6_5236 Depth=2
	s_or_b64 exec, exec, s[54:55]
.LBB6_5655:                             ;   in Loop: Header=BB6_5236 Depth=2
	s_or_b64 exec, exec, s[18:19]
	v_and_b32_e32 v2, 0xff, v41
	v_cmp_ne_u16_e32 vcc, 0, v2
	s_and_saveexec_b64 s[18:19], vcc
	s_cbranch_execz .LBB6_5661
; %bb.5656:                             ;   in Loop: Header=BB6_5236 Depth=2
	v_cmp_ne_u16_e32 vcc, s71, v2
	v_bfrev_b32_e32 v3, 1
	s_and_saveexec_b64 s[54:55], vcc
	s_cbranch_execz .LBB6_5660
; %bb.5657:                             ;   in Loop: Header=BB6_5236 Depth=2
	v_and_b32_e32 v34, 0x7f, v41
	v_cmp_ne_u32_e32 vcc, s69, v34
	v_mov_b32_e32 v3, 0x7f800001
	s_and_saveexec_b64 s[56:57], vcc
	s_cbranch_execz .LBB6_5659
; %bb.5658:                             ;   in Loop: Header=BB6_5236 Depth=2
	v_and_b32_e32 v38, 7, v2
	v_ffbh_u32_e32 v3, v38
	v_min_u32_e32 v51, 32, v3
	v_subrev_u32_e32 v3, 28, v51
	v_lshlrev_b64 v[2:3], v3, v[2:3]
	v_lshrrev_b32_e32 v50, 3, v34
	v_sub_u32_e32 v3, 29, v51
	v_and_b32_e32 v2, 7, v2
	v_cmp_gt_u32_e32 vcc, 8, v34
	v_cndmask_b32_e32 v3, v50, v3, vcc
	v_cndmask_b32_e32 v2, v38, v2, vcc
	v_lshlrev_b32_e32 v34, 24, v41
	v_lshlrev_b32_e32 v2, 20, v2
	v_and_b32_e32 v34, 0x80000000, v34
	v_lshl_add_u32 v3, v3, 23, v21
	v_or3_b32 v3, v34, v3, v2
.LBB6_5659:                             ;   in Loop: Header=BB6_5236 Depth=2
	s_or_b64 exec, exec, s[56:57]
.LBB6_5660:                             ;   in Loop: Header=BB6_5236 Depth=2
	s_or_b64 exec, exec, s[54:55]
.LBB6_5661:                             ;   in Loop: Header=BB6_5236 Depth=2
	s_or_b64 exec, exec, s[18:19]
	v_add_f32_e32 v2, v36, v3
	v_and_b32_sdwa v41, v2, s71 dst_sel:DWORD dst_unused:UNUSED_PAD src0_sel:BYTE_3 src1_sel:DWORD
	v_and_b32_e32 v50, 0x7f800000, v2
	v_mov_b32_e32 v51, v37
	v_and_b32_e32 v36, 0x7fffff, v2
	v_or_b32_e32 v34, 0x7e, v41
	v_cmp_ne_u64_e32 vcc, s[38:39], v[50:51]
	s_and_saveexec_b64 s[18:19], vcc
	s_xor_b64 s[54:55], exec, s[18:19]
	s_cbranch_execz .LBB6_5675
; %bb.5662:                             ;   in Loop: Header=BB6_5236 Depth=2
	v_and_b32_e32 v50, 0x7fffffff, v2
	v_mov_b32_e32 v51, v37
	v_cmp_gt_u64_e32 vcc, s[40:41], v[50:51]
	s_and_saveexec_b64 s[18:19], vcc
	s_xor_b64 s[56:57], exec, s[18:19]
	s_cbranch_execz .LBB6_5674
; %bb.5663:                             ;   in Loop: Header=BB6_5236 Depth=2
	v_cmp_ne_u32_e32 vcc, 0, v2
	v_mov_b32_e32 v34, 0
	s_and_saveexec_b64 s[58:59], vcc
	s_cbranch_execz .LBB6_5673
; %bb.5664:                             ;   in Loop: Header=BB6_5236 Depth=2
	v_bfe_u32 v2, v2, 23, 8
	v_sub_u32_e32 v34, 0x79, v2
	v_cmp_gt_u32_e32 vcc, s72, v2
	v_add_u32_e32 v3, 0xffffff81, v2
	v_cndmask_b32_e32 v34, 0, v34, vcc
	v_cmp_eq_u32_e32 vcc, 0, v2
	v_mov_b32_e32 v2, 0xffffff82
	v_cndmask_b32_e32 v42, v3, v2, vcc
	v_mov_b32_e32 v2, 0x78
	v_cndmask_b32_e32 v34, v34, v2, vcc
	v_or_b32_e32 v38, 0x800000, v36
	v_add_u32_e32 v2, 20, v34
	v_cndmask_b32_e32 v36, v38, v36, vcc
	v_lshlrev_b64 v[2:3], v2, -1
	v_not_b32_e32 v2, v2
	v_lshrrev_b64 v[44:45], v34, v[36:37]
	v_not_b32_e32 v3, v3
	v_and_b32_e32 v2, v36, v2
	v_add_u32_e32 v38, 19, v34
	v_lshrrev_b32_e32 v36, 23, v44
	v_and_b32_e32 v3, 0, v3
	v_lshlrev_b64 v[50:51], v38, 1
	v_add3_u32 v42, v34, v42, v36
	v_bfe_u32 v36, v44, 20, 1
	v_add_u32_e32 v36, -1, v36
	v_cmp_eq_u64_e32 vcc, v[2:3], v[50:51]
	v_cndmask_b32_e32 v2, 0, v36, vcc
	v_add_u32_e32 v2, v2, v44
	v_and_b32_e32 v2, 0xfffff, v2
	v_add_co_u32_e32 v2, vcc, v2, v44
	v_add_u32_e32 v34, 6, v42
	v_addc_co_u32_e32 v3, vcc, 0, v45, vcc
	v_cmp_ne_u32_e32 vcc, 0, v34
                                        ; implicit-def: $vgpr36
	s_and_saveexec_b64 s[18:19], vcc
	s_xor_b64 s[18:19], exec, s[18:19]
; %bb.5665:                             ;   in Loop: Header=BB6_5236 Depth=2
	v_add_u32_e32 v36, 7, v42
	v_cmp_lt_u64_e32 vcc, s[44:45], v[2:3]
	v_cndmask_b32_e32 v36, v34, v36, vcc
	v_cndmask_b32_e64 v34, 0, 1, vcc
	v_lshrrev_b64 v[2:3], v34, v[2:3]
; %bb.5666:                             ;   in Loop: Header=BB6_5236 Depth=2
	s_andn2_saveexec_b64 s[18:19], s[18:19]
; %bb.5667:                             ;   in Loop: Header=BB6_5236 Depth=2
	v_bfe_u32 v36, v2, 23, 1
; %bb.5668:                             ;   in Loop: Header=BB6_5236 Depth=2
	s_or_b64 exec, exec, s[18:19]
	v_lshrrev_b64 v[2:3], 20, v[2:3]
	v_cmp_gt_i32_e32 vcc, 16, v36
	v_cndmask_b32_e32 v3, 0, v3, vcc
	v_cndmask_b32_e32 v2, 7, v2, vcc
	v_cmp_ne_u32_e32 vcc, 0, v36
	v_cmp_ne_u64_e64 s[18:19], 0, v[2:3]
	s_or_b64 s[18:19], vcc, s[18:19]
                                        ; implicit-def: $vgpr34
	s_and_saveexec_b64 vcc, s[18:19]
	s_xor_b64 s[18:19], exec, vcc
; %bb.5669:                             ;   in Loop: Header=BB6_5236 Depth=2
	v_min_i32_e32 v3, 15, v36
	v_lshl_or_b32 v3, v3, 3, v41
	v_and_or_b32 v34, v2, 7, v3
                                        ; implicit-def: $vgpr41
; %bb.5670:                             ;   in Loop: Header=BB6_5236 Depth=2
	s_andn2_saveexec_b64 s[18:19], s[18:19]
; %bb.5671:                             ;   in Loop: Header=BB6_5236 Depth=2
	v_mov_b32_e32 v34, v41
; %bb.5672:                             ;   in Loop: Header=BB6_5236 Depth=2
	s_or_b64 exec, exec, s[18:19]
.LBB6_5673:                             ;   in Loop: Header=BB6_5236 Depth=2
	s_or_b64 exec, exec, s[58:59]
.LBB6_5674:                             ;   in Loop: Header=BB6_5236 Depth=2
	s_andn2_saveexec_b64 s[18:19], s[56:57]
	s_or_b64 exec, exec, s[18:19]
                                        ; implicit-def: $vgpr2
.LBB6_5675:                             ;   in Loop: Header=BB6_5236 Depth=2
	s_andn2_saveexec_b64 s[18:19], s[54:55]
; %bb.5676:                             ;   in Loop: Header=BB6_5236 Depth=2
	v_or_b32_sdwa v2, v2, s69 dst_sel:DWORD dst_unused:UNUSED_PAD src0_sel:BYTE_3 src1_sel:DWORD
	v_cmp_eq_u64_e32 vcc, 0, v[36:37]
	v_cndmask_b32_e32 v34, v2, v34, vcc
; %bb.5677:                             ;   in Loop: Header=BB6_5236 Depth=2
	s_or_b64 exec, exec, s[18:19]
	v_and_b32_e32 v2, 0xff, v33
	v_cmp_ne_u16_e32 vcc, 0, v2
	v_mov_b32_e32 v3, 0
	v_mov_b32_e32 v36, 0
	s_and_saveexec_b64 s[18:19], vcc
	s_cbranch_execz .LBB6_5683
; %bb.5678:                             ;   in Loop: Header=BB6_5236 Depth=2
	v_cmp_ne_u16_e32 vcc, s71, v2
	v_bfrev_b32_e32 v36, 1
	s_and_saveexec_b64 s[54:55], vcc
	s_cbranch_execz .LBB6_5682
; %bb.5679:                             ;   in Loop: Header=BB6_5236 Depth=2
	v_and_b32_e32 v41, 0x7f, v33
	v_cmp_ne_u32_e32 vcc, s69, v41
	v_mov_b32_e32 v36, 0x7f800001
	s_and_saveexec_b64 s[56:57], vcc
	s_cbranch_execz .LBB6_5681
; %bb.5680:                             ;   in Loop: Header=BB6_5236 Depth=2
	v_and_b32_e32 v36, 7, v2
	v_ffbh_u32_e32 v50, v36
	v_min_u32_e32 v42, 32, v50
	v_subrev_u32_e32 v50, 28, v42
	v_lshlrev_b64 v[50:51], v50, v[2:3]
	v_lshrrev_b32_e32 v38, 3, v41
	v_sub_u32_e32 v2, 29, v42
	v_and_b32_e32 v50, 7, v50
	v_cmp_gt_u32_e32 vcc, 8, v41
	v_cndmask_b32_e32 v2, v38, v2, vcc
	v_cndmask_b32_e32 v36, v36, v50, vcc
	v_lshlrev_b32_e32 v33, 24, v33
	v_lshlrev_b32_e32 v36, 20, v36
	v_and_b32_e32 v33, 0x80000000, v33
	v_lshl_add_u32 v2, v2, 23, v21
	v_or3_b32 v36, v33, v2, v36
.LBB6_5681:                             ;   in Loop: Header=BB6_5236 Depth=2
	s_or_b64 exec, exec, s[56:57]
.LBB6_5682:                             ;   in Loop: Header=BB6_5236 Depth=2
	s_or_b64 exec, exec, s[54:55]
.LBB6_5683:                             ;   in Loop: Header=BB6_5236 Depth=2
	s_or_b64 exec, exec, s[18:19]
	v_and_b32_e32 v2, 0xff, v29
	v_cmp_ne_u16_e32 vcc, 0, v2
	s_and_saveexec_b64 s[18:19], vcc
	s_cbranch_execz .LBB6_5689
; %bb.5684:                             ;   in Loop: Header=BB6_5236 Depth=2
	v_cmp_ne_u16_e32 vcc, s71, v2
	v_bfrev_b32_e32 v3, 1
	s_and_saveexec_b64 s[54:55], vcc
	s_cbranch_execz .LBB6_5688
; %bb.5685:                             ;   in Loop: Header=BB6_5236 Depth=2
	v_and_b32_e32 v33, 0x7f, v29
	v_cmp_ne_u32_e32 vcc, s69, v33
	v_mov_b32_e32 v3, 0x7f800001
	s_and_saveexec_b64 s[56:57], vcc
	s_cbranch_execz .LBB6_5687
; %bb.5686:                             ;   in Loop: Header=BB6_5236 Depth=2
	v_and_b32_e32 v38, 7, v2
	v_ffbh_u32_e32 v3, v38
	v_min_u32_e32 v51, 32, v3
	v_subrev_u32_e32 v3, 28, v51
	v_lshlrev_b64 v[2:3], v3, v[2:3]
	v_lshrrev_b32_e32 v50, 3, v33
	v_sub_u32_e32 v3, 29, v51
	v_and_b32_e32 v2, 7, v2
	v_cmp_gt_u32_e32 vcc, 8, v33
	v_cndmask_b32_e32 v3, v50, v3, vcc
	v_cndmask_b32_e32 v2, v38, v2, vcc
	v_lshlrev_b32_e32 v29, 24, v29
	v_lshlrev_b32_e32 v2, 20, v2
	v_and_b32_e32 v29, 0x80000000, v29
	v_lshl_add_u32 v3, v3, 23, v21
	v_or3_b32 v3, v29, v3, v2
.LBB6_5687:                             ;   in Loop: Header=BB6_5236 Depth=2
	s_or_b64 exec, exec, s[56:57]
.LBB6_5688:                             ;   in Loop: Header=BB6_5236 Depth=2
	s_or_b64 exec, exec, s[54:55]
.LBB6_5689:                             ;   in Loop: Header=BB6_5236 Depth=2
	s_or_b64 exec, exec, s[18:19]
	v_add_f32_e32 v2, v36, v3
	v_and_b32_sdwa v29, v2, s71 dst_sel:DWORD dst_unused:UNUSED_PAD src0_sel:BYTE_3 src1_sel:DWORD
	v_and_b32_e32 v50, 0x7f800000, v2
	v_mov_b32_e32 v51, v37
	v_and_b32_e32 v36, 0x7fffff, v2
	v_or_b32_e32 v33, 0x7e, v29
	v_cmp_ne_u64_e32 vcc, s[38:39], v[50:51]
	s_and_saveexec_b64 s[18:19], vcc
	s_xor_b64 s[54:55], exec, s[18:19]
	s_cbranch_execz .LBB6_5703
; %bb.5690:                             ;   in Loop: Header=BB6_5236 Depth=2
	v_and_b32_e32 v50, 0x7fffffff, v2
	v_mov_b32_e32 v51, v37
	v_cmp_gt_u64_e32 vcc, s[40:41], v[50:51]
	s_and_saveexec_b64 s[18:19], vcc
	s_xor_b64 s[56:57], exec, s[18:19]
	s_cbranch_execz .LBB6_5702
; %bb.5691:                             ;   in Loop: Header=BB6_5236 Depth=2
	v_cmp_ne_u32_e32 vcc, 0, v2
	v_mov_b32_e32 v33, 0
	s_and_saveexec_b64 s[58:59], vcc
	s_cbranch_execz .LBB6_5701
; %bb.5692:                             ;   in Loop: Header=BB6_5236 Depth=2
	v_bfe_u32 v2, v2, 23, 8
	v_sub_u32_e32 v33, 0x79, v2
	v_cmp_gt_u32_e32 vcc, s72, v2
	v_add_u32_e32 v3, 0xffffff81, v2
	v_cndmask_b32_e32 v33, 0, v33, vcc
	v_cmp_eq_u32_e32 vcc, 0, v2
	v_mov_b32_e32 v2, 0xffffff82
	v_cndmask_b32_e32 v41, v3, v2, vcc
	v_mov_b32_e32 v2, 0x78
	v_cndmask_b32_e32 v33, v33, v2, vcc
	v_or_b32_e32 v38, 0x800000, v36
	v_add_u32_e32 v2, 20, v33
	v_cndmask_b32_e32 v36, v38, v36, vcc
	v_lshlrev_b64 v[2:3], v2, -1
	v_not_b32_e32 v2, v2
	v_lshrrev_b64 v[42:43], v33, v[36:37]
	v_not_b32_e32 v3, v3
	v_and_b32_e32 v2, v36, v2
	v_add_u32_e32 v38, 19, v33
	v_lshrrev_b32_e32 v36, 23, v42
	v_and_b32_e32 v3, 0, v3
	v_lshlrev_b64 v[50:51], v38, 1
	v_add3_u32 v41, v33, v41, v36
	v_bfe_u32 v36, v42, 20, 1
	v_add_u32_e32 v36, -1, v36
	v_cmp_eq_u64_e32 vcc, v[2:3], v[50:51]
	v_cndmask_b32_e32 v2, 0, v36, vcc
	v_add_u32_e32 v2, v2, v42
	v_and_b32_e32 v2, 0xfffff, v2
	v_add_co_u32_e32 v2, vcc, v2, v42
	v_add_u32_e32 v33, 6, v41
	v_addc_co_u32_e32 v3, vcc, 0, v43, vcc
	v_cmp_ne_u32_e32 vcc, 0, v33
                                        ; implicit-def: $vgpr36
	s_and_saveexec_b64 s[18:19], vcc
	s_xor_b64 s[18:19], exec, s[18:19]
; %bb.5693:                             ;   in Loop: Header=BB6_5236 Depth=2
	v_add_u32_e32 v36, 7, v41
	v_cmp_lt_u64_e32 vcc, s[44:45], v[2:3]
	v_cndmask_b32_e32 v36, v33, v36, vcc
	v_cndmask_b32_e64 v33, 0, 1, vcc
	v_lshrrev_b64 v[2:3], v33, v[2:3]
; %bb.5694:                             ;   in Loop: Header=BB6_5236 Depth=2
	s_andn2_saveexec_b64 s[18:19], s[18:19]
; %bb.5695:                             ;   in Loop: Header=BB6_5236 Depth=2
	v_bfe_u32 v36, v2, 23, 1
; %bb.5696:                             ;   in Loop: Header=BB6_5236 Depth=2
	s_or_b64 exec, exec, s[18:19]
	v_lshrrev_b64 v[2:3], 20, v[2:3]
	v_cmp_gt_i32_e32 vcc, 16, v36
	v_cndmask_b32_e32 v3, 0, v3, vcc
	v_cndmask_b32_e32 v2, 7, v2, vcc
	v_cmp_ne_u32_e32 vcc, 0, v36
	v_cmp_ne_u64_e64 s[18:19], 0, v[2:3]
	s_or_b64 s[18:19], vcc, s[18:19]
                                        ; implicit-def: $vgpr33
	s_and_saveexec_b64 vcc, s[18:19]
	s_xor_b64 s[18:19], exec, vcc
; %bb.5697:                             ;   in Loop: Header=BB6_5236 Depth=2
	v_min_i32_e32 v3, 15, v36
	v_lshl_or_b32 v3, v3, 3, v29
	v_and_or_b32 v33, v2, 7, v3
                                        ; implicit-def: $vgpr29
; %bb.5698:                             ;   in Loop: Header=BB6_5236 Depth=2
	s_andn2_saveexec_b64 s[18:19], s[18:19]
; %bb.5699:                             ;   in Loop: Header=BB6_5236 Depth=2
	v_mov_b32_e32 v33, v29
; %bb.5700:                             ;   in Loop: Header=BB6_5236 Depth=2
	s_or_b64 exec, exec, s[18:19]
.LBB6_5701:                             ;   in Loop: Header=BB6_5236 Depth=2
	s_or_b64 exec, exec, s[58:59]
.LBB6_5702:                             ;   in Loop: Header=BB6_5236 Depth=2
	s_andn2_saveexec_b64 s[18:19], s[56:57]
	s_or_b64 exec, exec, s[18:19]
                                        ; implicit-def: $vgpr2
.LBB6_5703:                             ;   in Loop: Header=BB6_5236 Depth=2
	s_andn2_saveexec_b64 s[18:19], s[54:55]
; %bb.5704:                             ;   in Loop: Header=BB6_5236 Depth=2
	v_or_b32_sdwa v2, v2, s69 dst_sel:DWORD dst_unused:UNUSED_PAD src0_sel:BYTE_3 src1_sel:DWORD
	v_cmp_eq_u64_e32 vcc, 0, v[36:37]
	v_cndmask_b32_e32 v33, v2, v33, vcc
; %bb.5705:                             ;   in Loop: Header=BB6_5236 Depth=2
	s_or_b64 exec, exec, s[18:19]
	v_and_b32_e32 v2, 0xff, v32
	v_cmp_ne_u16_e32 vcc, 0, v2
	v_mov_b32_e32 v3, 0
	v_mov_b32_e32 v29, 0
	s_and_saveexec_b64 s[18:19], vcc
	s_cbranch_execz .LBB6_5711
; %bb.5706:                             ;   in Loop: Header=BB6_5236 Depth=2
	v_cmp_ne_u16_e32 vcc, s71, v2
	v_bfrev_b32_e32 v29, 1
	s_and_saveexec_b64 s[54:55], vcc
	s_cbranch_execz .LBB6_5710
; %bb.5707:                             ;   in Loop: Header=BB6_5236 Depth=2
	v_and_b32_e32 v36, 0x7f, v32
	v_cmp_ne_u32_e32 vcc, s69, v36
	v_mov_b32_e32 v29, 0x7f800001
	s_and_saveexec_b64 s[56:57], vcc
	s_cbranch_execz .LBB6_5709
; %bb.5708:                             ;   in Loop: Header=BB6_5236 Depth=2
	v_and_b32_e32 v29, 7, v2
	v_ffbh_u32_e32 v50, v29
	v_min_u32_e32 v41, 32, v50
	v_subrev_u32_e32 v50, 28, v41
	v_lshlrev_b64 v[50:51], v50, v[2:3]
	v_lshrrev_b32_e32 v38, 3, v36
	v_sub_u32_e32 v2, 29, v41
	v_and_b32_e32 v50, 7, v50
	v_cmp_gt_u32_e32 vcc, 8, v36
	v_cndmask_b32_e32 v2, v38, v2, vcc
	v_cndmask_b32_e32 v29, v29, v50, vcc
	v_lshlrev_b32_e32 v32, 24, v32
	v_lshlrev_b32_e32 v29, 20, v29
	v_and_b32_e32 v32, 0x80000000, v32
	v_lshl_add_u32 v2, v2, 23, v21
	v_or3_b32 v29, v32, v2, v29
.LBB6_5709:                             ;   in Loop: Header=BB6_5236 Depth=2
	s_or_b64 exec, exec, s[56:57]
.LBB6_5710:                             ;   in Loop: Header=BB6_5236 Depth=2
	s_or_b64 exec, exec, s[54:55]
.LBB6_5711:                             ;   in Loop: Header=BB6_5236 Depth=2
	s_or_b64 exec, exec, s[18:19]
	v_and_b32_e32 v2, 0xff, v28
	v_cmp_ne_u16_e32 vcc, 0, v2
	s_and_saveexec_b64 s[18:19], vcc
	s_cbranch_execz .LBB6_5717
; %bb.5712:                             ;   in Loop: Header=BB6_5236 Depth=2
	v_cmp_ne_u16_e32 vcc, s71, v2
	v_bfrev_b32_e32 v3, 1
	s_and_saveexec_b64 s[54:55], vcc
	s_cbranch_execz .LBB6_5716
; %bb.5713:                             ;   in Loop: Header=BB6_5236 Depth=2
	v_and_b32_e32 v32, 0x7f, v28
	v_cmp_ne_u32_e32 vcc, s69, v32
	v_mov_b32_e32 v3, 0x7f800001
	s_and_saveexec_b64 s[56:57], vcc
	s_cbranch_execz .LBB6_5715
; %bb.5714:                             ;   in Loop: Header=BB6_5236 Depth=2
	v_and_b32_e32 v36, 7, v2
	v_ffbh_u32_e32 v3, v36
	v_min_u32_e32 v50, 32, v3
	v_subrev_u32_e32 v3, 28, v50
	v_lshlrev_b64 v[2:3], v3, v[2:3]
	v_lshrrev_b32_e32 v38, 3, v32
	v_sub_u32_e32 v3, 29, v50
	v_and_b32_e32 v2, 7, v2
	v_cmp_gt_u32_e32 vcc, 8, v32
	v_cndmask_b32_e32 v3, v38, v3, vcc
	v_cndmask_b32_e32 v2, v36, v2, vcc
	v_lshlrev_b32_e32 v28, 24, v28
	v_lshlrev_b32_e32 v2, 20, v2
	v_and_b32_e32 v28, 0x80000000, v28
	v_lshl_add_u32 v3, v3, 23, v21
	v_or3_b32 v3, v28, v3, v2
.LBB6_5715:                             ;   in Loop: Header=BB6_5236 Depth=2
	s_or_b64 exec, exec, s[56:57]
.LBB6_5716:                             ;   in Loop: Header=BB6_5236 Depth=2
	s_or_b64 exec, exec, s[54:55]
.LBB6_5717:                             ;   in Loop: Header=BB6_5236 Depth=2
	s_or_b64 exec, exec, s[18:19]
	v_add_f32_e32 v2, v29, v3
	v_and_b32_sdwa v28, v2, s71 dst_sel:DWORD dst_unused:UNUSED_PAD src0_sel:BYTE_3 src1_sel:DWORD
	v_and_b32_e32 v50, 0x7f800000, v2
	v_mov_b32_e32 v51, v37
	v_and_b32_e32 v36, 0x7fffff, v2
	v_or_b32_e32 v32, 0x7e, v28
	v_cmp_ne_u64_e32 vcc, s[38:39], v[50:51]
	s_and_saveexec_b64 s[18:19], vcc
	s_xor_b64 s[54:55], exec, s[18:19]
	s_cbranch_execz .LBB6_5731
; %bb.5718:                             ;   in Loop: Header=BB6_5236 Depth=2
	v_and_b32_e32 v50, 0x7fffffff, v2
	v_mov_b32_e32 v51, v37
	v_cmp_gt_u64_e32 vcc, s[40:41], v[50:51]
	s_and_saveexec_b64 s[18:19], vcc
	s_xor_b64 s[56:57], exec, s[18:19]
	s_cbranch_execz .LBB6_5730
; %bb.5719:                             ;   in Loop: Header=BB6_5236 Depth=2
	v_cmp_ne_u32_e32 vcc, 0, v2
	v_mov_b32_e32 v32, 0
	s_and_saveexec_b64 s[58:59], vcc
	s_cbranch_execz .LBB6_5729
; %bb.5720:                             ;   in Loop: Header=BB6_5236 Depth=2
	v_bfe_u32 v2, v2, 23, 8
	v_sub_u32_e32 v29, 0x79, v2
	v_cmp_gt_u32_e32 vcc, s72, v2
	v_add_u32_e32 v3, 0xffffff81, v2
	v_cndmask_b32_e32 v29, 0, v29, vcc
	v_cmp_eq_u32_e32 vcc, 0, v2
	v_mov_b32_e32 v2, 0xffffff82
	v_cndmask_b32_e32 v38, v3, v2, vcc
	v_mov_b32_e32 v2, 0x78
	v_or_b32_e32 v32, 0x800000, v36
	v_cndmask_b32_e32 v29, v29, v2, vcc
	v_cndmask_b32_e32 v36, v32, v36, vcc
	v_add_u32_e32 v2, 20, v29
	v_lshlrev_b64 v[2:3], v2, -1
	v_add_u32_e32 v32, 19, v29
	v_lshrrev_b64 v[42:43], v29, v[36:37]
	v_not_b32_e32 v3, v3
	v_not_b32_e32 v2, v2
	v_lshlrev_b64 v[50:51], v32, 1
	v_lshrrev_b32_e32 v32, 23, v42
	v_and_b32_e32 v3, 0, v3
	v_and_b32_e32 v2, v36, v2
	v_add3_u32 v36, v29, v38, v32
	v_bfe_u32 v29, v42, 20, 1
	v_add_u32_e32 v29, -1, v29
	v_cmp_eq_u64_e32 vcc, v[2:3], v[50:51]
	v_cndmask_b32_e32 v2, 0, v29, vcc
	v_add_u32_e32 v2, v2, v42
	v_and_b32_e32 v2, 0xfffff, v2
	v_add_co_u32_e32 v2, vcc, v2, v42
	v_add_u32_e32 v32, 6, v36
	v_addc_co_u32_e32 v3, vcc, 0, v43, vcc
	v_cmp_ne_u32_e32 vcc, 0, v32
                                        ; implicit-def: $vgpr29
	s_and_saveexec_b64 s[18:19], vcc
	s_xor_b64 s[18:19], exec, s[18:19]
; %bb.5721:                             ;   in Loop: Header=BB6_5236 Depth=2
	v_add_u32_e32 v29, 7, v36
	v_cmp_lt_u64_e32 vcc, s[44:45], v[2:3]
	v_cndmask_b32_e32 v29, v32, v29, vcc
	v_cndmask_b32_e64 v32, 0, 1, vcc
	v_lshrrev_b64 v[2:3], v32, v[2:3]
; %bb.5722:                             ;   in Loop: Header=BB6_5236 Depth=2
	s_andn2_saveexec_b64 s[18:19], s[18:19]
; %bb.5723:                             ;   in Loop: Header=BB6_5236 Depth=2
	v_bfe_u32 v29, v2, 23, 1
; %bb.5724:                             ;   in Loop: Header=BB6_5236 Depth=2
	s_or_b64 exec, exec, s[18:19]
	v_lshrrev_b64 v[2:3], 20, v[2:3]
	v_cmp_gt_i32_e32 vcc, 16, v29
	v_cndmask_b32_e32 v3, 0, v3, vcc
	v_cndmask_b32_e32 v2, 7, v2, vcc
	v_cmp_ne_u32_e32 vcc, 0, v29
	v_cmp_ne_u64_e64 s[18:19], 0, v[2:3]
	s_or_b64 s[18:19], vcc, s[18:19]
                                        ; implicit-def: $vgpr32
	s_and_saveexec_b64 vcc, s[18:19]
	s_xor_b64 s[18:19], exec, vcc
; %bb.5725:                             ;   in Loop: Header=BB6_5236 Depth=2
	v_min_i32_e32 v3, 15, v29
	v_lshl_or_b32 v3, v3, 3, v28
	v_and_or_b32 v32, v2, 7, v3
                                        ; implicit-def: $vgpr28
; %bb.5726:                             ;   in Loop: Header=BB6_5236 Depth=2
	s_andn2_saveexec_b64 s[18:19], s[18:19]
; %bb.5727:                             ;   in Loop: Header=BB6_5236 Depth=2
	v_mov_b32_e32 v32, v28
; %bb.5728:                             ;   in Loop: Header=BB6_5236 Depth=2
	s_or_b64 exec, exec, s[18:19]
.LBB6_5729:                             ;   in Loop: Header=BB6_5236 Depth=2
	s_or_b64 exec, exec, s[58:59]
.LBB6_5730:                             ;   in Loop: Header=BB6_5236 Depth=2
	s_andn2_saveexec_b64 s[18:19], s[56:57]
	s_or_b64 exec, exec, s[18:19]
                                        ; implicit-def: $vgpr2
.LBB6_5731:                             ;   in Loop: Header=BB6_5236 Depth=2
	s_andn2_saveexec_b64 s[18:19], s[54:55]
; %bb.5732:                             ;   in Loop: Header=BB6_5236 Depth=2
	v_or_b32_sdwa v2, v2, s69 dst_sel:DWORD dst_unused:UNUSED_PAD src0_sel:BYTE_3 src1_sel:DWORD
	v_cmp_eq_u64_e32 vcc, 0, v[36:37]
	v_cndmask_b32_e32 v32, v2, v32, vcc
; %bb.5733:                             ;   in Loop: Header=BB6_5236 Depth=2
	s_or_b64 exec, exec, s[18:19]
	v_and_b32_e32 v2, 0xff, v31
	v_cmp_ne_u16_e32 vcc, 0, v2
	v_mov_b32_e32 v3, 0
	v_mov_b32_e32 v28, 0
	s_and_saveexec_b64 s[18:19], vcc
	s_cbranch_execz .LBB6_5739
; %bb.5734:                             ;   in Loop: Header=BB6_5236 Depth=2
	v_cmp_ne_u16_e32 vcc, s71, v2
	v_bfrev_b32_e32 v28, 1
	s_and_saveexec_b64 s[54:55], vcc
	s_cbranch_execz .LBB6_5738
; %bb.5735:                             ;   in Loop: Header=BB6_5236 Depth=2
	v_and_b32_e32 v29, 0x7f, v31
	v_cmp_ne_u32_e32 vcc, s69, v29
	v_mov_b32_e32 v28, 0x7f800001
	s_and_saveexec_b64 s[56:57], vcc
	s_cbranch_execz .LBB6_5737
; %bb.5736:                             ;   in Loop: Header=BB6_5236 Depth=2
	v_and_b32_e32 v28, 7, v2
	v_ffbh_u32_e32 v38, v28
	v_min_u32_e32 v38, 32, v38
	v_subrev_u32_e32 v50, 28, v38
	v_lshlrev_b64 v[50:51], v50, v[2:3]
	v_lshrrev_b32_e32 v36, 3, v29
	v_sub_u32_e32 v2, 29, v38
	v_and_b32_e32 v38, 7, v50
	v_cmp_gt_u32_e32 vcc, 8, v29
	v_cndmask_b32_e32 v2, v36, v2, vcc
	v_cndmask_b32_e32 v28, v28, v38, vcc
	v_lshlrev_b32_e32 v29, 24, v31
	v_lshlrev_b32_e32 v28, 20, v28
	v_and_b32_e32 v29, 0x80000000, v29
	v_lshl_add_u32 v2, v2, 23, v21
	v_or3_b32 v28, v29, v2, v28
.LBB6_5737:                             ;   in Loop: Header=BB6_5236 Depth=2
	s_or_b64 exec, exec, s[56:57]
.LBB6_5738:                             ;   in Loop: Header=BB6_5236 Depth=2
	s_or_b64 exec, exec, s[54:55]
.LBB6_5739:                             ;   in Loop: Header=BB6_5236 Depth=2
	s_or_b64 exec, exec, s[18:19]
	v_and_b32_e32 v2, 0xff, v40
	v_cmp_ne_u16_e32 vcc, 0, v2
	s_and_saveexec_b64 s[18:19], vcc
	s_cbranch_execz .LBB6_5745
; %bb.5740:                             ;   in Loop: Header=BB6_5236 Depth=2
	v_cmp_ne_u16_e32 vcc, s71, v2
	v_bfrev_b32_e32 v3, 1
	s_and_saveexec_b64 s[54:55], vcc
	s_cbranch_execz .LBB6_5744
; %bb.5741:                             ;   in Loop: Header=BB6_5236 Depth=2
	v_and_b32_e32 v29, 0x7f, v40
	v_cmp_ne_u32_e32 vcc, s69, v29
	v_mov_b32_e32 v3, 0x7f800001
	s_and_saveexec_b64 s[56:57], vcc
	s_cbranch_execz .LBB6_5743
; %bb.5742:                             ;   in Loop: Header=BB6_5236 Depth=2
	v_and_b32_e32 v31, 7, v2
	v_ffbh_u32_e32 v3, v31
	v_min_u32_e32 v38, 32, v3
	v_subrev_u32_e32 v3, 28, v38
	v_lshlrev_b64 v[2:3], v3, v[2:3]
	v_lshrrev_b32_e32 v36, 3, v29
	v_sub_u32_e32 v3, 29, v38
	v_and_b32_e32 v2, 7, v2
	v_cmp_gt_u32_e32 vcc, 8, v29
	v_cndmask_b32_e32 v3, v36, v3, vcc
	v_cndmask_b32_e32 v2, v31, v2, vcc
	v_lshlrev_b32_e32 v29, 24, v40
	v_lshlrev_b32_e32 v2, 20, v2
	v_and_b32_e32 v29, 0x80000000, v29
	v_lshl_add_u32 v3, v3, 23, v21
	v_or3_b32 v3, v29, v3, v2
.LBB6_5743:                             ;   in Loop: Header=BB6_5236 Depth=2
	s_or_b64 exec, exec, s[56:57]
.LBB6_5744:                             ;   in Loop: Header=BB6_5236 Depth=2
	s_or_b64 exec, exec, s[54:55]
.LBB6_5745:                             ;   in Loop: Header=BB6_5236 Depth=2
	s_or_b64 exec, exec, s[18:19]
	v_add_f32_e32 v2, v28, v3
	v_and_b32_sdwa v28, v2, s71 dst_sel:DWORD dst_unused:UNUSED_PAD src0_sel:BYTE_3 src1_sel:DWORD
	v_and_b32_e32 v50, 0x7f800000, v2
	v_mov_b32_e32 v51, v37
	v_and_b32_e32 v36, 0x7fffff, v2
	v_or_b32_e32 v31, 0x7e, v28
	v_cmp_ne_u64_e32 vcc, s[38:39], v[50:51]
	s_and_saveexec_b64 s[18:19], vcc
	s_xor_b64 s[54:55], exec, s[18:19]
	s_cbranch_execz .LBB6_5759
; %bb.5746:                             ;   in Loop: Header=BB6_5236 Depth=2
	v_and_b32_e32 v50, 0x7fffffff, v2
	v_mov_b32_e32 v51, v37
	v_cmp_gt_u64_e32 vcc, s[40:41], v[50:51]
	s_and_saveexec_b64 s[18:19], vcc
	s_xor_b64 s[56:57], exec, s[18:19]
	s_cbranch_execz .LBB6_5758
; %bb.5747:                             ;   in Loop: Header=BB6_5236 Depth=2
	v_cmp_ne_u32_e32 vcc, 0, v2
	v_mov_b32_e32 v31, 0
	s_and_saveexec_b64 s[58:59], vcc
	s_cbranch_execz .LBB6_5757
; %bb.5748:                             ;   in Loop: Header=BB6_5236 Depth=2
	v_bfe_u32 v2, v2, 23, 8
	v_sub_u32_e32 v29, 0x79, v2
	v_cmp_gt_u32_e32 vcc, s72, v2
	v_add_u32_e32 v3, 0xffffff81, v2
	v_cndmask_b32_e32 v29, 0, v29, vcc
	v_cmp_eq_u32_e32 vcc, 0, v2
	v_mov_b32_e32 v2, 0xffffff82
	v_cndmask_b32_e32 v38, v3, v2, vcc
	v_mov_b32_e32 v2, 0x78
	v_or_b32_e32 v31, 0x800000, v36
	v_cndmask_b32_e32 v29, v29, v2, vcc
	v_cndmask_b32_e32 v36, v31, v36, vcc
	v_add_u32_e32 v2, 20, v29
	v_lshlrev_b64 v[2:3], v2, -1
	v_add_u32_e32 v31, 19, v29
	v_lshrrev_b64 v[40:41], v29, v[36:37]
	v_not_b32_e32 v3, v3
	v_not_b32_e32 v2, v2
	v_lshlrev_b64 v[50:51], v31, 1
	v_lshrrev_b32_e32 v31, 23, v40
	v_and_b32_e32 v3, 0, v3
	v_and_b32_e32 v2, v36, v2
	v_add3_u32 v36, v29, v38, v31
	v_bfe_u32 v29, v40, 20, 1
	v_add_u32_e32 v29, -1, v29
	v_cmp_eq_u64_e32 vcc, v[2:3], v[50:51]
	v_cndmask_b32_e32 v2, 0, v29, vcc
	v_add_u32_e32 v2, v2, v40
	v_and_b32_e32 v2, 0xfffff, v2
	v_add_co_u32_e32 v2, vcc, v2, v40
	v_add_u32_e32 v31, 6, v36
	v_addc_co_u32_e32 v3, vcc, 0, v41, vcc
	v_cmp_ne_u32_e32 vcc, 0, v31
                                        ; implicit-def: $vgpr29
	s_and_saveexec_b64 s[18:19], vcc
	s_xor_b64 s[18:19], exec, s[18:19]
; %bb.5749:                             ;   in Loop: Header=BB6_5236 Depth=2
	v_add_u32_e32 v29, 7, v36
	v_cmp_lt_u64_e32 vcc, s[44:45], v[2:3]
	v_cndmask_b32_e32 v29, v31, v29, vcc
	v_cndmask_b32_e64 v31, 0, 1, vcc
	v_lshrrev_b64 v[2:3], v31, v[2:3]
; %bb.5750:                             ;   in Loop: Header=BB6_5236 Depth=2
	s_andn2_saveexec_b64 s[18:19], s[18:19]
; %bb.5751:                             ;   in Loop: Header=BB6_5236 Depth=2
	v_bfe_u32 v29, v2, 23, 1
; %bb.5752:                             ;   in Loop: Header=BB6_5236 Depth=2
	s_or_b64 exec, exec, s[18:19]
	v_lshrrev_b64 v[2:3], 20, v[2:3]
	v_cmp_gt_i32_e32 vcc, 16, v29
	v_cndmask_b32_e32 v3, 0, v3, vcc
	v_cndmask_b32_e32 v2, 7, v2, vcc
	v_cmp_ne_u32_e32 vcc, 0, v29
	v_cmp_ne_u64_e64 s[18:19], 0, v[2:3]
	s_or_b64 s[18:19], vcc, s[18:19]
                                        ; implicit-def: $vgpr31
	s_and_saveexec_b64 vcc, s[18:19]
	s_xor_b64 s[18:19], exec, vcc
; %bb.5753:                             ;   in Loop: Header=BB6_5236 Depth=2
	v_min_i32_e32 v3, 15, v29
	v_lshl_or_b32 v3, v3, 3, v28
	v_and_or_b32 v31, v2, 7, v3
                                        ; implicit-def: $vgpr28
; %bb.5754:                             ;   in Loop: Header=BB6_5236 Depth=2
	s_andn2_saveexec_b64 s[18:19], s[18:19]
; %bb.5755:                             ;   in Loop: Header=BB6_5236 Depth=2
	v_mov_b32_e32 v31, v28
; %bb.5756:                             ;   in Loop: Header=BB6_5236 Depth=2
	s_or_b64 exec, exec, s[18:19]
.LBB6_5757:                             ;   in Loop: Header=BB6_5236 Depth=2
	s_or_b64 exec, exec, s[58:59]
.LBB6_5758:                             ;   in Loop: Header=BB6_5236 Depth=2
	s_andn2_saveexec_b64 s[18:19], s[56:57]
	s_or_b64 exec, exec, s[18:19]
                                        ; implicit-def: $vgpr2
.LBB6_5759:                             ;   in Loop: Header=BB6_5236 Depth=2
	s_andn2_saveexec_b64 s[18:19], s[54:55]
; %bb.5760:                             ;   in Loop: Header=BB6_5236 Depth=2
	v_or_b32_sdwa v2, v2, s69 dst_sel:DWORD dst_unused:UNUSED_PAD src0_sel:BYTE_3 src1_sel:DWORD
	v_cmp_eq_u64_e32 vcc, 0, v[36:37]
	v_cndmask_b32_e32 v31, v2, v31, vcc
; %bb.5761:                             ;   in Loop: Header=BB6_5236 Depth=2
	s_or_b64 exec, exec, s[18:19]
	v_and_b32_e32 v2, 0xff, v30
	v_cmp_ne_u16_e32 vcc, 0, v2
	v_mov_b32_e32 v3, 0
	v_mov_b32_e32 v28, 0
	s_and_saveexec_b64 s[18:19], vcc
	s_cbranch_execz .LBB6_5767
; %bb.5762:                             ;   in Loop: Header=BB6_5236 Depth=2
	v_cmp_ne_u16_e32 vcc, s71, v2
	v_bfrev_b32_e32 v28, 1
	s_and_saveexec_b64 s[54:55], vcc
	s_cbranch_execz .LBB6_5766
; %bb.5763:                             ;   in Loop: Header=BB6_5236 Depth=2
	v_and_b32_e32 v29, 0x7f, v30
	v_cmp_ne_u32_e32 vcc, s69, v29
	v_mov_b32_e32 v28, 0x7f800001
	s_and_saveexec_b64 s[56:57], vcc
	s_cbranch_execz .LBB6_5765
; %bb.5764:                             ;   in Loop: Header=BB6_5236 Depth=2
	v_and_b32_e32 v28, 7, v2
	v_ffbh_u32_e32 v38, v28
	v_min_u32_e32 v38, 32, v38
	v_subrev_u32_e32 v50, 28, v38
	v_lshlrev_b64 v[50:51], v50, v[2:3]
	v_lshrrev_b32_e32 v36, 3, v29
	v_sub_u32_e32 v2, 29, v38
	v_and_b32_e32 v38, 7, v50
	v_cmp_gt_u32_e32 vcc, 8, v29
	v_cndmask_b32_e32 v2, v36, v2, vcc
	v_cndmask_b32_e32 v28, v28, v38, vcc
	v_lshlrev_b32_e32 v29, 24, v30
	v_lshlrev_b32_e32 v28, 20, v28
	v_and_b32_e32 v29, 0x80000000, v29
	v_lshl_add_u32 v2, v2, 23, v21
	v_or3_b32 v28, v29, v2, v28
.LBB6_5765:                             ;   in Loop: Header=BB6_5236 Depth=2
	s_or_b64 exec, exec, s[56:57]
.LBB6_5766:                             ;   in Loop: Header=BB6_5236 Depth=2
	s_or_b64 exec, exec, s[54:55]
.LBB6_5767:                             ;   in Loop: Header=BB6_5236 Depth=2
	s_or_b64 exec, exec, s[18:19]
	v_and_b32_e32 v2, 0xff, v55
	v_cmp_ne_u16_e32 vcc, 0, v2
	s_and_saveexec_b64 s[18:19], vcc
	s_cbranch_execz .LBB6_5773
; %bb.5768:                             ;   in Loop: Header=BB6_5236 Depth=2
	v_cmp_ne_u16_e32 vcc, s71, v2
	v_bfrev_b32_e32 v3, 1
	s_and_saveexec_b64 s[54:55], vcc
	s_cbranch_execz .LBB6_5772
; %bb.5769:                             ;   in Loop: Header=BB6_5236 Depth=2
	v_and_b32_e32 v29, 0x7f, v55
	v_cmp_ne_u32_e32 vcc, s69, v29
	v_mov_b32_e32 v3, 0x7f800001
	s_and_saveexec_b64 s[56:57], vcc
	s_cbranch_execz .LBB6_5771
; %bb.5770:                             ;   in Loop: Header=BB6_5236 Depth=2
	v_and_b32_e32 v30, 7, v2
	v_ffbh_u32_e32 v3, v30
	v_min_u32_e32 v38, 32, v3
	v_subrev_u32_e32 v3, 28, v38
	v_lshlrev_b64 v[2:3], v3, v[2:3]
	v_lshrrev_b32_e32 v36, 3, v29
	v_sub_u32_e32 v3, 29, v38
	v_and_b32_e32 v2, 7, v2
	v_cmp_gt_u32_e32 vcc, 8, v29
	v_cndmask_b32_e32 v3, v36, v3, vcc
	v_cndmask_b32_e32 v2, v30, v2, vcc
	v_lshlrev_b32_e32 v29, 24, v55
	v_lshlrev_b32_e32 v2, 20, v2
	v_and_b32_e32 v29, 0x80000000, v29
	v_lshl_add_u32 v3, v3, 23, v21
	v_or3_b32 v3, v29, v3, v2
.LBB6_5771:                             ;   in Loop: Header=BB6_5236 Depth=2
	s_or_b64 exec, exec, s[56:57]
.LBB6_5772:                             ;   in Loop: Header=BB6_5236 Depth=2
	s_or_b64 exec, exec, s[54:55]
.LBB6_5773:                             ;   in Loop: Header=BB6_5236 Depth=2
	s_or_b64 exec, exec, s[18:19]
	v_add_f32_e32 v2, v28, v3
	v_and_b32_sdwa v28, v2, s71 dst_sel:DWORD dst_unused:UNUSED_PAD src0_sel:BYTE_3 src1_sel:DWORD
	v_and_b32_e32 v50, 0x7f800000, v2
	v_mov_b32_e32 v51, v37
	v_and_b32_e32 v36, 0x7fffff, v2
	v_or_b32_e32 v30, 0x7e, v28
	v_cmp_ne_u64_e32 vcc, s[38:39], v[50:51]
	s_and_saveexec_b64 s[18:19], vcc
	s_xor_b64 s[54:55], exec, s[18:19]
	s_cbranch_execz .LBB6_5787
; %bb.5774:                             ;   in Loop: Header=BB6_5236 Depth=2
	v_and_b32_e32 v50, 0x7fffffff, v2
	v_mov_b32_e32 v51, v37
	v_cmp_gt_u64_e32 vcc, s[40:41], v[50:51]
	s_and_saveexec_b64 s[18:19], vcc
	s_xor_b64 s[56:57], exec, s[18:19]
	s_cbranch_execz .LBB6_5786
; %bb.5775:                             ;   in Loop: Header=BB6_5236 Depth=2
	v_cmp_ne_u32_e32 vcc, 0, v2
	v_mov_b32_e32 v30, 0
	s_and_saveexec_b64 s[58:59], vcc
	s_cbranch_execz .LBB6_5785
; %bb.5776:                             ;   in Loop: Header=BB6_5236 Depth=2
	v_bfe_u32 v2, v2, 23, 8
	v_sub_u32_e32 v29, 0x79, v2
	v_cmp_gt_u32_e32 vcc, s72, v2
	v_add_u32_e32 v3, 0xffffff81, v2
	v_cndmask_b32_e32 v29, 0, v29, vcc
	v_cmp_eq_u32_e32 vcc, 0, v2
	v_mov_b32_e32 v2, 0xffffff82
	v_cndmask_b32_e32 v38, v3, v2, vcc
	v_mov_b32_e32 v2, 0x78
	v_or_b32_e32 v30, 0x800000, v36
	v_cndmask_b32_e32 v29, v29, v2, vcc
	v_cndmask_b32_e32 v36, v30, v36, vcc
	v_add_u32_e32 v2, 20, v29
	v_lshlrev_b64 v[2:3], v2, -1
	v_add_u32_e32 v30, 19, v29
	v_lshrrev_b64 v[40:41], v29, v[36:37]
	v_not_b32_e32 v3, v3
	v_not_b32_e32 v2, v2
	v_lshlrev_b64 v[50:51], v30, 1
	v_lshrrev_b32_e32 v30, 23, v40
	v_and_b32_e32 v3, 0, v3
	v_and_b32_e32 v2, v36, v2
	v_add3_u32 v36, v29, v38, v30
	v_bfe_u32 v29, v40, 20, 1
	v_add_u32_e32 v29, -1, v29
	v_cmp_eq_u64_e32 vcc, v[2:3], v[50:51]
	v_cndmask_b32_e32 v2, 0, v29, vcc
	v_add_u32_e32 v2, v2, v40
	v_and_b32_e32 v2, 0xfffff, v2
	v_add_co_u32_e32 v2, vcc, v2, v40
	v_add_u32_e32 v30, 6, v36
	v_addc_co_u32_e32 v3, vcc, 0, v41, vcc
	v_cmp_ne_u32_e32 vcc, 0, v30
                                        ; implicit-def: $vgpr29
	s_and_saveexec_b64 s[18:19], vcc
	s_xor_b64 s[18:19], exec, s[18:19]
; %bb.5777:                             ;   in Loop: Header=BB6_5236 Depth=2
	v_add_u32_e32 v29, 7, v36
	v_cmp_lt_u64_e32 vcc, s[44:45], v[2:3]
	v_cndmask_b32_e32 v29, v30, v29, vcc
	v_cndmask_b32_e64 v30, 0, 1, vcc
	v_lshrrev_b64 v[2:3], v30, v[2:3]
; %bb.5778:                             ;   in Loop: Header=BB6_5236 Depth=2
	s_andn2_saveexec_b64 s[18:19], s[18:19]
; %bb.5779:                             ;   in Loop: Header=BB6_5236 Depth=2
	v_bfe_u32 v29, v2, 23, 1
; %bb.5780:                             ;   in Loop: Header=BB6_5236 Depth=2
	s_or_b64 exec, exec, s[18:19]
	v_lshrrev_b64 v[2:3], 20, v[2:3]
	v_cmp_gt_i32_e32 vcc, 16, v29
	v_cndmask_b32_e32 v3, 0, v3, vcc
	v_cndmask_b32_e32 v2, 7, v2, vcc
	v_cmp_ne_u32_e32 vcc, 0, v29
	v_cmp_ne_u64_e64 s[18:19], 0, v[2:3]
	s_or_b64 s[18:19], vcc, s[18:19]
                                        ; implicit-def: $vgpr30
	s_and_saveexec_b64 vcc, s[18:19]
	s_xor_b64 s[18:19], exec, vcc
; %bb.5781:                             ;   in Loop: Header=BB6_5236 Depth=2
	v_min_i32_e32 v3, 15, v29
	v_lshl_or_b32 v3, v3, 3, v28
	v_and_or_b32 v30, v2, 7, v3
                                        ; implicit-def: $vgpr28
; %bb.5782:                             ;   in Loop: Header=BB6_5236 Depth=2
	s_andn2_saveexec_b64 s[18:19], s[18:19]
; %bb.5783:                             ;   in Loop: Header=BB6_5236 Depth=2
	v_mov_b32_e32 v30, v28
; %bb.5784:                             ;   in Loop: Header=BB6_5236 Depth=2
	s_or_b64 exec, exec, s[18:19]
.LBB6_5785:                             ;   in Loop: Header=BB6_5236 Depth=2
	s_or_b64 exec, exec, s[58:59]
.LBB6_5786:                             ;   in Loop: Header=BB6_5236 Depth=2
	s_andn2_saveexec_b64 s[18:19], s[56:57]
	s_or_b64 exec, exec, s[18:19]
                                        ; implicit-def: $vgpr2
.LBB6_5787:                             ;   in Loop: Header=BB6_5236 Depth=2
	s_andn2_saveexec_b64 s[18:19], s[54:55]
; %bb.5788:                             ;   in Loop: Header=BB6_5236 Depth=2
	v_or_b32_sdwa v2, v2, s69 dst_sel:DWORD dst_unused:UNUSED_PAD src0_sel:BYTE_3 src1_sel:DWORD
	v_cmp_eq_u64_e32 vcc, 0, v[36:37]
	v_cndmask_b32_e32 v30, v2, v30, vcc
; %bb.5789:                             ;   in Loop: Header=BB6_5236 Depth=2
	s_or_b64 exec, exec, s[18:19]
	v_and_b32_e32 v2, 0xff, v27
	v_cmp_ne_u16_e32 vcc, 0, v2
	v_mov_b32_e32 v3, 0
	v_mov_b32_e32 v28, 0
	s_and_saveexec_b64 s[18:19], vcc
	s_cbranch_execz .LBB6_5795
; %bb.5790:                             ;   in Loop: Header=BB6_5236 Depth=2
	v_cmp_ne_u16_e32 vcc, s71, v2
	v_bfrev_b32_e32 v28, 1
	s_and_saveexec_b64 s[54:55], vcc
	s_cbranch_execz .LBB6_5794
; %bb.5791:                             ;   in Loop: Header=BB6_5236 Depth=2
	v_and_b32_e32 v29, 0x7f, v27
	v_cmp_ne_u32_e32 vcc, s69, v29
	v_mov_b32_e32 v28, 0x7f800001
	s_and_saveexec_b64 s[56:57], vcc
	s_cbranch_execz .LBB6_5793
; %bb.5792:                             ;   in Loop: Header=BB6_5236 Depth=2
	v_and_b32_e32 v28, 7, v2
	v_ffbh_u32_e32 v38, v28
	v_min_u32_e32 v38, 32, v38
	v_subrev_u32_e32 v50, 28, v38
	v_lshlrev_b64 v[50:51], v50, v[2:3]
	v_lshrrev_b32_e32 v36, 3, v29
	v_sub_u32_e32 v2, 29, v38
	v_and_b32_e32 v38, 7, v50
	v_cmp_gt_u32_e32 vcc, 8, v29
	v_cndmask_b32_e32 v2, v36, v2, vcc
	v_cndmask_b32_e32 v28, v28, v38, vcc
	v_lshlrev_b32_e32 v27, 24, v27
	v_lshlrev_b32_e32 v28, 20, v28
	v_and_b32_e32 v27, 0x80000000, v27
	v_lshl_add_u32 v2, v2, 23, v21
	v_or3_b32 v28, v27, v2, v28
.LBB6_5793:                             ;   in Loop: Header=BB6_5236 Depth=2
	s_or_b64 exec, exec, s[56:57]
.LBB6_5794:                             ;   in Loop: Header=BB6_5236 Depth=2
	s_or_b64 exec, exec, s[54:55]
.LBB6_5795:                             ;   in Loop: Header=BB6_5236 Depth=2
	s_or_b64 exec, exec, s[18:19]
	v_and_b32_e32 v2, 0xff, v54
	v_cmp_ne_u16_e32 vcc, 0, v2
	s_and_saveexec_b64 s[18:19], vcc
	s_cbranch_execz .LBB6_5801
; %bb.5796:                             ;   in Loop: Header=BB6_5236 Depth=2
	v_cmp_ne_u16_e32 vcc, s71, v2
	v_bfrev_b32_e32 v3, 1
	s_and_saveexec_b64 s[54:55], vcc
	s_cbranch_execz .LBB6_5800
; %bb.5797:                             ;   in Loop: Header=BB6_5236 Depth=2
	v_and_b32_e32 v27, 0x7f, v54
	v_cmp_ne_u32_e32 vcc, s69, v27
	v_mov_b32_e32 v3, 0x7f800001
	s_and_saveexec_b64 s[56:57], vcc
	s_cbranch_execz .LBB6_5799
; %bb.5798:                             ;   in Loop: Header=BB6_5236 Depth=2
	v_and_b32_e32 v29, 7, v2
	v_ffbh_u32_e32 v3, v29
	v_min_u32_e32 v38, 32, v3
	v_subrev_u32_e32 v3, 28, v38
	v_lshlrev_b64 v[2:3], v3, v[2:3]
	v_lshrrev_b32_e32 v36, 3, v27
	v_sub_u32_e32 v3, 29, v38
	v_and_b32_e32 v2, 7, v2
	v_cmp_gt_u32_e32 vcc, 8, v27
	v_cndmask_b32_e32 v3, v36, v3, vcc
	v_cndmask_b32_e32 v2, v29, v2, vcc
	v_lshlrev_b32_e32 v27, 24, v54
	v_lshlrev_b32_e32 v2, 20, v2
	v_and_b32_e32 v27, 0x80000000, v27
	v_lshl_add_u32 v3, v3, 23, v21
	v_or3_b32 v3, v27, v3, v2
.LBB6_5799:                             ;   in Loop: Header=BB6_5236 Depth=2
	s_or_b64 exec, exec, s[56:57]
.LBB6_5800:                             ;   in Loop: Header=BB6_5236 Depth=2
	s_or_b64 exec, exec, s[54:55]
.LBB6_5801:                             ;   in Loop: Header=BB6_5236 Depth=2
	s_or_b64 exec, exec, s[18:19]
	v_add_f32_e32 v2, v28, v3
	v_and_b32_sdwa v28, v2, s71 dst_sel:DWORD dst_unused:UNUSED_PAD src0_sel:BYTE_3 src1_sel:DWORD
	v_and_b32_e32 v50, 0x7f800000, v2
	v_mov_b32_e32 v51, v37
	v_and_b32_e32 v36, 0x7fffff, v2
	v_or_b32_e32 v27, 0x7e, v28
	v_cmp_ne_u64_e32 vcc, s[38:39], v[50:51]
	s_and_saveexec_b64 s[18:19], vcc
	s_xor_b64 s[54:55], exec, s[18:19]
	s_cbranch_execz .LBB6_5815
; %bb.5802:                             ;   in Loop: Header=BB6_5236 Depth=2
	v_and_b32_e32 v50, 0x7fffffff, v2
	v_mov_b32_e32 v51, v37
	v_cmp_gt_u64_e32 vcc, s[40:41], v[50:51]
	s_and_saveexec_b64 s[18:19], vcc
	s_xor_b64 s[56:57], exec, s[18:19]
	s_cbranch_execz .LBB6_5814
; %bb.5803:                             ;   in Loop: Header=BB6_5236 Depth=2
	v_cmp_ne_u32_e32 vcc, 0, v2
	v_mov_b32_e32 v27, 0
	s_and_saveexec_b64 s[58:59], vcc
	s_cbranch_execz .LBB6_5813
; %bb.5804:                             ;   in Loop: Header=BB6_5236 Depth=2
	v_bfe_u32 v2, v2, 23, 8
	v_sub_u32_e32 v27, 0x79, v2
	v_cmp_gt_u32_e32 vcc, s72, v2
	v_add_u32_e32 v3, 0xffffff81, v2
	v_cndmask_b32_e32 v27, 0, v27, vcc
	v_cmp_eq_u32_e32 vcc, 0, v2
	v_mov_b32_e32 v2, 0xffffff82
	v_cndmask_b32_e32 v38, v3, v2, vcc
	v_mov_b32_e32 v2, 0x78
	v_or_b32_e32 v29, 0x800000, v36
	v_cndmask_b32_e32 v27, v27, v2, vcc
	v_cndmask_b32_e32 v36, v29, v36, vcc
	v_add_u32_e32 v2, 20, v27
	v_lshlrev_b64 v[2:3], v2, -1
	v_add_u32_e32 v29, 19, v27
	v_lshrrev_b64 v[54:55], v27, v[36:37]
	v_not_b32_e32 v3, v3
	v_not_b32_e32 v2, v2
	v_lshlrev_b64 v[50:51], v29, 1
	v_lshrrev_b32_e32 v29, 23, v54
	v_and_b32_e32 v3, 0, v3
	v_and_b32_e32 v2, v36, v2
	v_add3_u32 v36, v27, v38, v29
	v_bfe_u32 v29, v54, 20, 1
	v_add_u32_e32 v29, -1, v29
	v_cmp_eq_u64_e32 vcc, v[2:3], v[50:51]
	v_cndmask_b32_e32 v2, 0, v29, vcc
	v_add_u32_e32 v2, v2, v54
	v_and_b32_e32 v2, 0xfffff, v2
	v_add_co_u32_e32 v2, vcc, v2, v54
	v_add_u32_e32 v27, 6, v36
	v_addc_co_u32_e32 v3, vcc, 0, v55, vcc
	v_cmp_ne_u32_e32 vcc, 0, v27
                                        ; implicit-def: $vgpr29
	s_and_saveexec_b64 s[18:19], vcc
	s_xor_b64 s[18:19], exec, s[18:19]
; %bb.5805:                             ;   in Loop: Header=BB6_5236 Depth=2
	v_add_u32_e32 v29, 7, v36
	v_cmp_lt_u64_e32 vcc, s[44:45], v[2:3]
	v_cndmask_b32_e32 v29, v27, v29, vcc
	v_cndmask_b32_e64 v27, 0, 1, vcc
	v_lshrrev_b64 v[2:3], v27, v[2:3]
; %bb.5806:                             ;   in Loop: Header=BB6_5236 Depth=2
	s_andn2_saveexec_b64 s[18:19], s[18:19]
; %bb.5807:                             ;   in Loop: Header=BB6_5236 Depth=2
	v_bfe_u32 v29, v2, 23, 1
; %bb.5808:                             ;   in Loop: Header=BB6_5236 Depth=2
	s_or_b64 exec, exec, s[18:19]
	v_lshrrev_b64 v[2:3], 20, v[2:3]
	v_cmp_gt_i32_e32 vcc, 16, v29
	v_cndmask_b32_e32 v3, 0, v3, vcc
	v_cndmask_b32_e32 v2, 7, v2, vcc
	v_cmp_ne_u32_e32 vcc, 0, v29
	v_cmp_ne_u64_e64 s[18:19], 0, v[2:3]
	s_or_b64 s[18:19], vcc, s[18:19]
                                        ; implicit-def: $vgpr27
	s_and_saveexec_b64 vcc, s[18:19]
	s_xor_b64 s[18:19], exec, vcc
; %bb.5809:                             ;   in Loop: Header=BB6_5236 Depth=2
	v_min_i32_e32 v3, 15, v29
	v_lshl_or_b32 v3, v3, 3, v28
	v_and_or_b32 v27, v2, 7, v3
                                        ; implicit-def: $vgpr28
; %bb.5810:                             ;   in Loop: Header=BB6_5236 Depth=2
	s_andn2_saveexec_b64 s[18:19], s[18:19]
; %bb.5811:                             ;   in Loop: Header=BB6_5236 Depth=2
	v_mov_b32_e32 v27, v28
; %bb.5812:                             ;   in Loop: Header=BB6_5236 Depth=2
	s_or_b64 exec, exec, s[18:19]
.LBB6_5813:                             ;   in Loop: Header=BB6_5236 Depth=2
	s_or_b64 exec, exec, s[58:59]
.LBB6_5814:                             ;   in Loop: Header=BB6_5236 Depth=2
	s_andn2_saveexec_b64 s[18:19], s[56:57]
	s_or_b64 exec, exec, s[18:19]
                                        ; implicit-def: $vgpr2
.LBB6_5815:                             ;   in Loop: Header=BB6_5236 Depth=2
	s_andn2_saveexec_b64 s[18:19], s[54:55]
; %bb.5816:                             ;   in Loop: Header=BB6_5236 Depth=2
	v_or_b32_sdwa v2, v2, s69 dst_sel:DWORD dst_unused:UNUSED_PAD src0_sel:BYTE_3 src1_sel:DWORD
	v_cmp_eq_u64_e32 vcc, 0, v[36:37]
	v_cndmask_b32_e32 v27, v2, v27, vcc
; %bb.5817:                             ;   in Loop: Header=BB6_5236 Depth=2
	s_or_b64 exec, exec, s[18:19]
	v_and_b32_e32 v2, 0xff, v26
	v_cmp_ne_u16_e32 vcc, 0, v2
	v_mov_b32_e32 v3, 0
	v_mov_b32_e32 v28, 0
	s_and_saveexec_b64 s[18:19], vcc
	s_cbranch_execz .LBB6_5823
; %bb.5818:                             ;   in Loop: Header=BB6_5236 Depth=2
	v_cmp_ne_u16_e32 vcc, s71, v2
	v_bfrev_b32_e32 v28, 1
	s_and_saveexec_b64 s[54:55], vcc
	s_cbranch_execz .LBB6_5822
; %bb.5819:                             ;   in Loop: Header=BB6_5236 Depth=2
	v_and_b32_e32 v29, 0x7f, v26
	v_cmp_ne_u32_e32 vcc, s69, v29
	v_mov_b32_e32 v28, 0x7f800001
	s_and_saveexec_b64 s[56:57], vcc
	s_cbranch_execz .LBB6_5821
; %bb.5820:                             ;   in Loop: Header=BB6_5236 Depth=2
	v_and_b32_e32 v28, 7, v2
	v_ffbh_u32_e32 v38, v28
	v_min_u32_e32 v38, 32, v38
	v_subrev_u32_e32 v50, 28, v38
	v_lshlrev_b64 v[50:51], v50, v[2:3]
	v_lshrrev_b32_e32 v36, 3, v29
	v_sub_u32_e32 v2, 29, v38
	v_and_b32_e32 v38, 7, v50
	v_cmp_gt_u32_e32 vcc, 8, v29
	v_cndmask_b32_e32 v2, v36, v2, vcc
	v_cndmask_b32_e32 v28, v28, v38, vcc
	v_lshlrev_b32_e32 v26, 24, v26
	v_lshlrev_b32_e32 v28, 20, v28
	v_and_b32_e32 v26, 0x80000000, v26
	v_lshl_add_u32 v2, v2, 23, v21
	v_or3_b32 v28, v26, v2, v28
.LBB6_5821:                             ;   in Loop: Header=BB6_5236 Depth=2
	s_or_b64 exec, exec, s[56:57]
.LBB6_5822:                             ;   in Loop: Header=BB6_5236 Depth=2
	s_or_b64 exec, exec, s[54:55]
.LBB6_5823:                             ;   in Loop: Header=BB6_5236 Depth=2
	s_or_b64 exec, exec, s[18:19]
	v_and_b32_e32 v2, 0xff, v53
	v_cmp_ne_u16_e32 vcc, 0, v2
	s_and_saveexec_b64 s[18:19], vcc
	s_cbranch_execz .LBB6_5829
; %bb.5824:                             ;   in Loop: Header=BB6_5236 Depth=2
	v_cmp_ne_u16_e32 vcc, s71, v2
	v_bfrev_b32_e32 v3, 1
	s_and_saveexec_b64 s[54:55], vcc
	s_cbranch_execz .LBB6_5828
; %bb.5825:                             ;   in Loop: Header=BB6_5236 Depth=2
	v_and_b32_e32 v26, 0x7f, v53
	v_cmp_ne_u32_e32 vcc, s69, v26
	v_mov_b32_e32 v3, 0x7f800001
	s_and_saveexec_b64 s[56:57], vcc
	s_cbranch_execz .LBB6_5827
; %bb.5826:                             ;   in Loop: Header=BB6_5236 Depth=2
	v_and_b32_e32 v29, 7, v2
	v_ffbh_u32_e32 v3, v29
	v_min_u32_e32 v38, 32, v3
	v_subrev_u32_e32 v3, 28, v38
	v_lshlrev_b64 v[2:3], v3, v[2:3]
	v_lshrrev_b32_e32 v36, 3, v26
	v_sub_u32_e32 v3, 29, v38
	v_and_b32_e32 v2, 7, v2
	v_cmp_gt_u32_e32 vcc, 8, v26
	v_cndmask_b32_e32 v3, v36, v3, vcc
	v_cndmask_b32_e32 v2, v29, v2, vcc
	v_lshlrev_b32_e32 v26, 24, v53
	v_lshlrev_b32_e32 v2, 20, v2
	v_and_b32_e32 v26, 0x80000000, v26
	v_lshl_add_u32 v3, v3, 23, v21
	v_or3_b32 v3, v26, v3, v2
.LBB6_5827:                             ;   in Loop: Header=BB6_5236 Depth=2
	s_or_b64 exec, exec, s[56:57]
.LBB6_5828:                             ;   in Loop: Header=BB6_5236 Depth=2
	s_or_b64 exec, exec, s[54:55]
.LBB6_5829:                             ;   in Loop: Header=BB6_5236 Depth=2
	s_or_b64 exec, exec, s[18:19]
	v_add_f32_e32 v2, v28, v3
	v_and_b32_sdwa v28, v2, s71 dst_sel:DWORD dst_unused:UNUSED_PAD src0_sel:BYTE_3 src1_sel:DWORD
	v_and_b32_e32 v50, 0x7f800000, v2
	v_mov_b32_e32 v51, v37
	v_and_b32_e32 v36, 0x7fffff, v2
	v_or_b32_e32 v26, 0x7e, v28
	v_cmp_ne_u64_e32 vcc, s[38:39], v[50:51]
	s_and_saveexec_b64 s[18:19], vcc
	s_xor_b64 s[54:55], exec, s[18:19]
	s_cbranch_execz .LBB6_5843
; %bb.5830:                             ;   in Loop: Header=BB6_5236 Depth=2
	v_and_b32_e32 v50, 0x7fffffff, v2
	v_mov_b32_e32 v51, v37
	v_cmp_gt_u64_e32 vcc, s[40:41], v[50:51]
	s_and_saveexec_b64 s[18:19], vcc
	s_xor_b64 s[56:57], exec, s[18:19]
	s_cbranch_execz .LBB6_5842
; %bb.5831:                             ;   in Loop: Header=BB6_5236 Depth=2
	v_cmp_ne_u32_e32 vcc, 0, v2
	v_mov_b32_e32 v26, 0
	s_and_saveexec_b64 s[58:59], vcc
	s_cbranch_execz .LBB6_5841
; %bb.5832:                             ;   in Loop: Header=BB6_5236 Depth=2
	v_bfe_u32 v2, v2, 23, 8
	v_sub_u32_e32 v26, 0x79, v2
	v_cmp_gt_u32_e32 vcc, s72, v2
	v_add_u32_e32 v3, 0xffffff81, v2
	v_cndmask_b32_e32 v26, 0, v26, vcc
	v_cmp_eq_u32_e32 vcc, 0, v2
	v_mov_b32_e32 v2, 0xffffff82
	v_cndmask_b32_e32 v38, v3, v2, vcc
	v_mov_b32_e32 v2, 0x78
	v_or_b32_e32 v29, 0x800000, v36
	v_cndmask_b32_e32 v26, v26, v2, vcc
	v_cndmask_b32_e32 v36, v29, v36, vcc
	v_add_u32_e32 v2, 20, v26
	v_lshlrev_b64 v[2:3], v2, -1
	v_add_u32_e32 v29, 19, v26
	v_lshrrev_b64 v[54:55], v26, v[36:37]
	v_not_b32_e32 v3, v3
	v_not_b32_e32 v2, v2
	v_lshlrev_b64 v[50:51], v29, 1
	v_lshrrev_b32_e32 v29, 23, v54
	v_and_b32_e32 v3, 0, v3
	v_and_b32_e32 v2, v36, v2
	v_add3_u32 v36, v26, v38, v29
	v_bfe_u32 v29, v54, 20, 1
	v_add_u32_e32 v29, -1, v29
	v_cmp_eq_u64_e32 vcc, v[2:3], v[50:51]
	v_cndmask_b32_e32 v2, 0, v29, vcc
	v_add_u32_e32 v2, v2, v54
	v_and_b32_e32 v2, 0xfffff, v2
	v_add_co_u32_e32 v2, vcc, v2, v54
	v_add_u32_e32 v26, 6, v36
	v_addc_co_u32_e32 v3, vcc, 0, v55, vcc
	v_cmp_ne_u32_e32 vcc, 0, v26
                                        ; implicit-def: $vgpr29
	s_and_saveexec_b64 s[18:19], vcc
	s_xor_b64 s[18:19], exec, s[18:19]
; %bb.5833:                             ;   in Loop: Header=BB6_5236 Depth=2
	v_add_u32_e32 v29, 7, v36
	v_cmp_lt_u64_e32 vcc, s[44:45], v[2:3]
	v_cndmask_b32_e32 v29, v26, v29, vcc
	v_cndmask_b32_e64 v26, 0, 1, vcc
	v_lshrrev_b64 v[2:3], v26, v[2:3]
; %bb.5834:                             ;   in Loop: Header=BB6_5236 Depth=2
	s_andn2_saveexec_b64 s[18:19], s[18:19]
; %bb.5835:                             ;   in Loop: Header=BB6_5236 Depth=2
	v_bfe_u32 v29, v2, 23, 1
; %bb.5836:                             ;   in Loop: Header=BB6_5236 Depth=2
	s_or_b64 exec, exec, s[18:19]
	v_lshrrev_b64 v[2:3], 20, v[2:3]
	v_cmp_gt_i32_e32 vcc, 16, v29
	v_cndmask_b32_e32 v3, 0, v3, vcc
	v_cndmask_b32_e32 v2, 7, v2, vcc
	v_cmp_ne_u32_e32 vcc, 0, v29
	v_cmp_ne_u64_e64 s[18:19], 0, v[2:3]
	s_or_b64 s[18:19], vcc, s[18:19]
                                        ; implicit-def: $vgpr26
	s_and_saveexec_b64 vcc, s[18:19]
	s_xor_b64 s[18:19], exec, vcc
; %bb.5837:                             ;   in Loop: Header=BB6_5236 Depth=2
	v_min_i32_e32 v3, 15, v29
	v_lshl_or_b32 v3, v3, 3, v28
	v_and_or_b32 v26, v2, 7, v3
                                        ; implicit-def: $vgpr28
; %bb.5838:                             ;   in Loop: Header=BB6_5236 Depth=2
	s_andn2_saveexec_b64 s[18:19], s[18:19]
; %bb.5839:                             ;   in Loop: Header=BB6_5236 Depth=2
	v_mov_b32_e32 v26, v28
; %bb.5840:                             ;   in Loop: Header=BB6_5236 Depth=2
	s_or_b64 exec, exec, s[18:19]
.LBB6_5841:                             ;   in Loop: Header=BB6_5236 Depth=2
	s_or_b64 exec, exec, s[58:59]
.LBB6_5842:                             ;   in Loop: Header=BB6_5236 Depth=2
	s_andn2_saveexec_b64 s[18:19], s[56:57]
	s_or_b64 exec, exec, s[18:19]
                                        ; implicit-def: $vgpr2
.LBB6_5843:                             ;   in Loop: Header=BB6_5236 Depth=2
	s_andn2_saveexec_b64 s[18:19], s[54:55]
; %bb.5844:                             ;   in Loop: Header=BB6_5236 Depth=2
	v_or_b32_sdwa v2, v2, s69 dst_sel:DWORD dst_unused:UNUSED_PAD src0_sel:BYTE_3 src1_sel:DWORD
	v_cmp_eq_u64_e32 vcc, 0, v[36:37]
	v_cndmask_b32_e32 v26, v2, v26, vcc
; %bb.5845:                             ;   in Loop: Header=BB6_5236 Depth=2
	s_or_b64 exec, exec, s[18:19]
	v_and_b32_e32 v2, 0xff, v23
	v_cmp_ne_u16_e32 vcc, 0, v2
	v_mov_b32_e32 v3, 0
	v_mov_b32_e32 v28, 0
	s_and_saveexec_b64 s[18:19], vcc
	s_cbranch_execz .LBB6_5851
; %bb.5846:                             ;   in Loop: Header=BB6_5236 Depth=2
	v_cmp_ne_u16_e32 vcc, s71, v2
	v_bfrev_b32_e32 v28, 1
	s_and_saveexec_b64 s[54:55], vcc
	s_cbranch_execz .LBB6_5850
; %bb.5847:                             ;   in Loop: Header=BB6_5236 Depth=2
	v_and_b32_e32 v29, 0x7f, v23
	v_cmp_ne_u32_e32 vcc, s69, v29
	v_mov_b32_e32 v28, 0x7f800001
	s_and_saveexec_b64 s[56:57], vcc
	s_cbranch_execz .LBB6_5849
; %bb.5848:                             ;   in Loop: Header=BB6_5236 Depth=2
	v_and_b32_e32 v28, 7, v2
	v_ffbh_u32_e32 v38, v28
	v_min_u32_e32 v38, 32, v38
	v_subrev_u32_e32 v50, 28, v38
	v_lshlrev_b64 v[50:51], v50, v[2:3]
	v_lshrrev_b32_e32 v36, 3, v29
	v_sub_u32_e32 v2, 29, v38
	v_and_b32_e32 v38, 7, v50
	v_cmp_gt_u32_e32 vcc, 8, v29
	v_cndmask_b32_e32 v2, v36, v2, vcc
	v_cndmask_b32_e32 v28, v28, v38, vcc
	v_lshlrev_b32_e32 v23, 24, v23
	v_lshlrev_b32_e32 v28, 20, v28
	v_and_b32_e32 v23, 0x80000000, v23
	v_lshl_add_u32 v2, v2, 23, v21
	v_or3_b32 v28, v23, v2, v28
.LBB6_5849:                             ;   in Loop: Header=BB6_5236 Depth=2
	s_or_b64 exec, exec, s[56:57]
.LBB6_5850:                             ;   in Loop: Header=BB6_5236 Depth=2
	s_or_b64 exec, exec, s[54:55]
.LBB6_5851:                             ;   in Loop: Header=BB6_5236 Depth=2
	s_or_b64 exec, exec, s[18:19]
	v_and_b32_e32 v2, 0xff, v52
	v_cmp_ne_u16_e32 vcc, 0, v2
	s_and_saveexec_b64 s[18:19], vcc
	s_cbranch_execz .LBB6_5857
; %bb.5852:                             ;   in Loop: Header=BB6_5236 Depth=2
	v_cmp_ne_u16_e32 vcc, s71, v2
	v_bfrev_b32_e32 v3, 1
	s_and_saveexec_b64 s[54:55], vcc
	s_cbranch_execz .LBB6_5856
; %bb.5853:                             ;   in Loop: Header=BB6_5236 Depth=2
	v_and_b32_e32 v23, 0x7f, v52
	v_cmp_ne_u32_e32 vcc, s69, v23
	v_mov_b32_e32 v3, 0x7f800001
	s_and_saveexec_b64 s[56:57], vcc
	s_cbranch_execz .LBB6_5855
; %bb.5854:                             ;   in Loop: Header=BB6_5236 Depth=2
	v_and_b32_e32 v29, 7, v2
	v_ffbh_u32_e32 v3, v29
	v_min_u32_e32 v38, 32, v3
	v_subrev_u32_e32 v3, 28, v38
	v_lshlrev_b64 v[2:3], v3, v[2:3]
	v_lshrrev_b32_e32 v36, 3, v23
	v_sub_u32_e32 v3, 29, v38
	v_and_b32_e32 v2, 7, v2
	v_cmp_gt_u32_e32 vcc, 8, v23
	v_cndmask_b32_e32 v3, v36, v3, vcc
	v_cndmask_b32_e32 v2, v29, v2, vcc
	v_lshlrev_b32_e32 v23, 24, v52
	v_lshlrev_b32_e32 v2, 20, v2
	v_and_b32_e32 v23, 0x80000000, v23
	v_lshl_add_u32 v3, v3, 23, v21
	v_or3_b32 v3, v23, v3, v2
.LBB6_5855:                             ;   in Loop: Header=BB6_5236 Depth=2
	s_or_b64 exec, exec, s[56:57]
.LBB6_5856:                             ;   in Loop: Header=BB6_5236 Depth=2
	s_or_b64 exec, exec, s[54:55]
.LBB6_5857:                             ;   in Loop: Header=BB6_5236 Depth=2
	s_or_b64 exec, exec, s[18:19]
	v_add_f32_e32 v2, v28, v3
	v_and_b32_sdwa v28, v2, s71 dst_sel:DWORD dst_unused:UNUSED_PAD src0_sel:BYTE_3 src1_sel:DWORD
	v_and_b32_e32 v50, 0x7f800000, v2
	v_mov_b32_e32 v51, v37
	v_and_b32_e32 v36, 0x7fffff, v2
	v_or_b32_e32 v23, 0x7e, v28
	v_cmp_ne_u64_e32 vcc, s[38:39], v[50:51]
	s_and_saveexec_b64 s[18:19], vcc
	s_xor_b64 s[54:55], exec, s[18:19]
	s_cbranch_execz .LBB6_5871
; %bb.5858:                             ;   in Loop: Header=BB6_5236 Depth=2
	v_and_b32_e32 v50, 0x7fffffff, v2
	v_mov_b32_e32 v51, v37
	v_cmp_gt_u64_e32 vcc, s[40:41], v[50:51]
	s_and_saveexec_b64 s[18:19], vcc
	s_xor_b64 s[56:57], exec, s[18:19]
	s_cbranch_execz .LBB6_5870
; %bb.5859:                             ;   in Loop: Header=BB6_5236 Depth=2
	v_cmp_ne_u32_e32 vcc, 0, v2
	v_mov_b32_e32 v23, 0
	s_and_saveexec_b64 s[58:59], vcc
	s_cbranch_execz .LBB6_5869
; %bb.5860:                             ;   in Loop: Header=BB6_5236 Depth=2
	v_bfe_u32 v2, v2, 23, 8
	v_sub_u32_e32 v23, 0x79, v2
	v_cmp_gt_u32_e32 vcc, s72, v2
	v_add_u32_e32 v3, 0xffffff81, v2
	v_cndmask_b32_e32 v23, 0, v23, vcc
	v_cmp_eq_u32_e32 vcc, 0, v2
	v_mov_b32_e32 v2, 0xffffff82
	v_cndmask_b32_e32 v38, v3, v2, vcc
	v_mov_b32_e32 v2, 0x78
	v_or_b32_e32 v29, 0x800000, v36
	v_cndmask_b32_e32 v23, v23, v2, vcc
	v_cndmask_b32_e32 v36, v29, v36, vcc
	v_add_u32_e32 v2, 20, v23
	v_lshlrev_b64 v[2:3], v2, -1
	v_add_u32_e32 v29, 19, v23
	v_lshrrev_b64 v[52:53], v23, v[36:37]
	v_not_b32_e32 v3, v3
	v_not_b32_e32 v2, v2
	v_lshlrev_b64 v[50:51], v29, 1
	v_lshrrev_b32_e32 v29, 23, v52
	v_and_b32_e32 v3, 0, v3
	v_and_b32_e32 v2, v36, v2
	v_add3_u32 v36, v23, v38, v29
	v_bfe_u32 v29, v52, 20, 1
	v_add_u32_e32 v29, -1, v29
	v_cmp_eq_u64_e32 vcc, v[2:3], v[50:51]
	v_cndmask_b32_e32 v2, 0, v29, vcc
	v_add_u32_e32 v2, v2, v52
	v_and_b32_e32 v2, 0xfffff, v2
	v_add_co_u32_e32 v2, vcc, v2, v52
	v_add_u32_e32 v23, 6, v36
	v_addc_co_u32_e32 v3, vcc, 0, v53, vcc
	v_cmp_ne_u32_e32 vcc, 0, v23
                                        ; implicit-def: $vgpr29
	s_and_saveexec_b64 s[18:19], vcc
	s_xor_b64 s[18:19], exec, s[18:19]
; %bb.5861:                             ;   in Loop: Header=BB6_5236 Depth=2
	v_add_u32_e32 v29, 7, v36
	v_cmp_lt_u64_e32 vcc, s[44:45], v[2:3]
	v_cndmask_b32_e32 v29, v23, v29, vcc
	v_cndmask_b32_e64 v23, 0, 1, vcc
	v_lshrrev_b64 v[2:3], v23, v[2:3]
; %bb.5862:                             ;   in Loop: Header=BB6_5236 Depth=2
	s_andn2_saveexec_b64 s[18:19], s[18:19]
; %bb.5863:                             ;   in Loop: Header=BB6_5236 Depth=2
	v_bfe_u32 v29, v2, 23, 1
; %bb.5864:                             ;   in Loop: Header=BB6_5236 Depth=2
	s_or_b64 exec, exec, s[18:19]
	v_lshrrev_b64 v[2:3], 20, v[2:3]
	v_cmp_gt_i32_e32 vcc, 16, v29
	v_cndmask_b32_e32 v3, 0, v3, vcc
	v_cndmask_b32_e32 v2, 7, v2, vcc
	v_cmp_ne_u32_e32 vcc, 0, v29
	v_cmp_ne_u64_e64 s[18:19], 0, v[2:3]
	s_or_b64 s[18:19], vcc, s[18:19]
                                        ; implicit-def: $vgpr23
	s_and_saveexec_b64 vcc, s[18:19]
	s_xor_b64 s[18:19], exec, vcc
; %bb.5865:                             ;   in Loop: Header=BB6_5236 Depth=2
	v_min_i32_e32 v3, 15, v29
	v_lshl_or_b32 v3, v3, 3, v28
	v_and_or_b32 v23, v2, 7, v3
                                        ; implicit-def: $vgpr28
; %bb.5866:                             ;   in Loop: Header=BB6_5236 Depth=2
	s_andn2_saveexec_b64 s[18:19], s[18:19]
; %bb.5867:                             ;   in Loop: Header=BB6_5236 Depth=2
	v_mov_b32_e32 v23, v28
; %bb.5868:                             ;   in Loop: Header=BB6_5236 Depth=2
	s_or_b64 exec, exec, s[18:19]
.LBB6_5869:                             ;   in Loop: Header=BB6_5236 Depth=2
	s_or_b64 exec, exec, s[58:59]
.LBB6_5870:                             ;   in Loop: Header=BB6_5236 Depth=2
	s_andn2_saveexec_b64 s[18:19], s[56:57]
	s_or_b64 exec, exec, s[18:19]
                                        ; implicit-def: $vgpr2
.LBB6_5871:                             ;   in Loop: Header=BB6_5236 Depth=2
	s_andn2_saveexec_b64 s[18:19], s[54:55]
; %bb.5872:                             ;   in Loop: Header=BB6_5236 Depth=2
	v_or_b32_sdwa v2, v2, s69 dst_sel:DWORD dst_unused:UNUSED_PAD src0_sel:BYTE_3 src1_sel:DWORD
	v_cmp_eq_u64_e32 vcc, 0, v[36:37]
	v_cndmask_b32_e32 v23, v2, v23, vcc
; %bb.5873:                             ;   in Loop: Header=BB6_5236 Depth=2
	s_or_b64 exec, exec, s[18:19]
	v_and_b32_e32 v2, 0xff, v22
	v_cmp_ne_u16_e32 vcc, 0, v2
	v_mov_b32_e32 v3, 0
	v_mov_b32_e32 v28, 0
	s_and_saveexec_b64 s[18:19], vcc
	s_cbranch_execz .LBB6_5879
; %bb.5874:                             ;   in Loop: Header=BB6_5236 Depth=2
	v_cmp_ne_u16_e32 vcc, s71, v2
	v_bfrev_b32_e32 v28, 1
	s_and_saveexec_b64 s[54:55], vcc
	s_cbranch_execz .LBB6_5878
; %bb.5875:                             ;   in Loop: Header=BB6_5236 Depth=2
	v_and_b32_e32 v29, 0x7f, v22
	v_cmp_ne_u32_e32 vcc, s69, v29
	v_mov_b32_e32 v28, 0x7f800001
	s_and_saveexec_b64 s[56:57], vcc
	s_cbranch_execz .LBB6_5877
; %bb.5876:                             ;   in Loop: Header=BB6_5236 Depth=2
	v_and_b32_e32 v28, 7, v2
	v_ffbh_u32_e32 v38, v28
	v_min_u32_e32 v38, 32, v38
	v_subrev_u32_e32 v50, 28, v38
	v_lshlrev_b64 v[50:51], v50, v[2:3]
	v_lshrrev_b32_e32 v36, 3, v29
	v_sub_u32_e32 v2, 29, v38
	v_and_b32_e32 v38, 7, v50
	v_cmp_gt_u32_e32 vcc, 8, v29
	v_cndmask_b32_e32 v2, v36, v2, vcc
	v_cndmask_b32_e32 v28, v28, v38, vcc
	v_lshlrev_b32_e32 v22, 24, v22
	v_lshlrev_b32_e32 v28, 20, v28
	v_and_b32_e32 v22, 0x80000000, v22
	v_lshl_add_u32 v2, v2, 23, v21
	v_or3_b32 v28, v22, v2, v28
.LBB6_5877:                             ;   in Loop: Header=BB6_5236 Depth=2
	s_or_b64 exec, exec, s[56:57]
.LBB6_5878:                             ;   in Loop: Header=BB6_5236 Depth=2
	s_or_b64 exec, exec, s[54:55]
.LBB6_5879:                             ;   in Loop: Header=BB6_5236 Depth=2
	s_or_b64 exec, exec, s[18:19]
	v_and_b32_e32 v2, 0xff, v49
	v_cmp_ne_u16_e32 vcc, 0, v2
	s_and_saveexec_b64 s[18:19], vcc
	s_cbranch_execz .LBB6_5885
; %bb.5880:                             ;   in Loop: Header=BB6_5236 Depth=2
	v_cmp_ne_u16_e32 vcc, s71, v2
	v_bfrev_b32_e32 v3, 1
	s_and_saveexec_b64 s[54:55], vcc
	s_cbranch_execz .LBB6_5884
; %bb.5881:                             ;   in Loop: Header=BB6_5236 Depth=2
	v_and_b32_e32 v22, 0x7f, v49
	v_cmp_ne_u32_e32 vcc, s69, v22
	v_mov_b32_e32 v3, 0x7f800001
	s_and_saveexec_b64 s[56:57], vcc
	s_cbranch_execz .LBB6_5883
; %bb.5882:                             ;   in Loop: Header=BB6_5236 Depth=2
	v_and_b32_e32 v29, 7, v2
	v_ffbh_u32_e32 v3, v29
	v_min_u32_e32 v38, 32, v3
	v_subrev_u32_e32 v3, 28, v38
	v_lshlrev_b64 v[2:3], v3, v[2:3]
	v_lshrrev_b32_e32 v36, 3, v22
	v_sub_u32_e32 v3, 29, v38
	v_and_b32_e32 v2, 7, v2
	v_cmp_gt_u32_e32 vcc, 8, v22
	v_cndmask_b32_e32 v3, v36, v3, vcc
	v_cndmask_b32_e32 v2, v29, v2, vcc
	v_lshlrev_b32_e32 v22, 24, v49
	v_lshlrev_b32_e32 v2, 20, v2
	v_and_b32_e32 v22, 0x80000000, v22
	v_lshl_add_u32 v3, v3, 23, v21
	v_or3_b32 v3, v22, v3, v2
.LBB6_5883:                             ;   in Loop: Header=BB6_5236 Depth=2
	s_or_b64 exec, exec, s[56:57]
.LBB6_5884:                             ;   in Loop: Header=BB6_5236 Depth=2
	s_or_b64 exec, exec, s[54:55]
.LBB6_5885:                             ;   in Loop: Header=BB6_5236 Depth=2
	s_or_b64 exec, exec, s[18:19]
	v_add_f32_e32 v2, v28, v3
	v_and_b32_sdwa v28, v2, s71 dst_sel:DWORD dst_unused:UNUSED_PAD src0_sel:BYTE_3 src1_sel:DWORD
	v_and_b32_e32 v50, 0x7f800000, v2
	v_mov_b32_e32 v51, v37
	v_and_b32_e32 v36, 0x7fffff, v2
	v_or_b32_e32 v22, 0x7e, v28
	v_cmp_ne_u64_e32 vcc, s[38:39], v[50:51]
	s_and_saveexec_b64 s[18:19], vcc
	s_xor_b64 s[54:55], exec, s[18:19]
	s_cbranch_execz .LBB6_5899
; %bb.5886:                             ;   in Loop: Header=BB6_5236 Depth=2
	v_and_b32_e32 v50, 0x7fffffff, v2
	v_mov_b32_e32 v51, v37
	v_cmp_gt_u64_e32 vcc, s[40:41], v[50:51]
	s_and_saveexec_b64 s[18:19], vcc
	s_xor_b64 s[56:57], exec, s[18:19]
	s_cbranch_execz .LBB6_5898
; %bb.5887:                             ;   in Loop: Header=BB6_5236 Depth=2
	v_cmp_ne_u32_e32 vcc, 0, v2
	v_mov_b32_e32 v22, 0
	s_and_saveexec_b64 s[58:59], vcc
	s_cbranch_execz .LBB6_5897
; %bb.5888:                             ;   in Loop: Header=BB6_5236 Depth=2
	v_bfe_u32 v2, v2, 23, 8
	v_sub_u32_e32 v22, 0x79, v2
	v_cmp_gt_u32_e32 vcc, s72, v2
	v_add_u32_e32 v3, 0xffffff81, v2
	v_cndmask_b32_e32 v22, 0, v22, vcc
	v_cmp_eq_u32_e32 vcc, 0, v2
	v_mov_b32_e32 v2, 0xffffff82
	v_cndmask_b32_e32 v38, v3, v2, vcc
	v_mov_b32_e32 v2, 0x78
	v_or_b32_e32 v29, 0x800000, v36
	v_cndmask_b32_e32 v22, v22, v2, vcc
	v_cndmask_b32_e32 v36, v29, v36, vcc
	v_add_u32_e32 v2, 20, v22
	v_lshlrev_b64 v[2:3], v2, -1
	v_add_u32_e32 v29, 19, v22
	v_lshrrev_b64 v[52:53], v22, v[36:37]
	v_not_b32_e32 v3, v3
	v_not_b32_e32 v2, v2
	v_lshlrev_b64 v[50:51], v29, 1
	v_lshrrev_b32_e32 v29, 23, v52
	v_and_b32_e32 v3, 0, v3
	v_and_b32_e32 v2, v36, v2
	v_add3_u32 v36, v22, v38, v29
	v_bfe_u32 v29, v52, 20, 1
	v_add_u32_e32 v29, -1, v29
	v_cmp_eq_u64_e32 vcc, v[2:3], v[50:51]
	v_cndmask_b32_e32 v2, 0, v29, vcc
	v_add_u32_e32 v2, v2, v52
	v_and_b32_e32 v2, 0xfffff, v2
	v_add_co_u32_e32 v2, vcc, v2, v52
	v_add_u32_e32 v22, 6, v36
	v_addc_co_u32_e32 v3, vcc, 0, v53, vcc
	v_cmp_ne_u32_e32 vcc, 0, v22
                                        ; implicit-def: $vgpr29
	s_and_saveexec_b64 s[18:19], vcc
	s_xor_b64 s[18:19], exec, s[18:19]
; %bb.5889:                             ;   in Loop: Header=BB6_5236 Depth=2
	v_add_u32_e32 v29, 7, v36
	v_cmp_lt_u64_e32 vcc, s[44:45], v[2:3]
	v_cndmask_b32_e32 v29, v22, v29, vcc
	v_cndmask_b32_e64 v22, 0, 1, vcc
	v_lshrrev_b64 v[2:3], v22, v[2:3]
; %bb.5890:                             ;   in Loop: Header=BB6_5236 Depth=2
	s_andn2_saveexec_b64 s[18:19], s[18:19]
; %bb.5891:                             ;   in Loop: Header=BB6_5236 Depth=2
	v_bfe_u32 v29, v2, 23, 1
; %bb.5892:                             ;   in Loop: Header=BB6_5236 Depth=2
	s_or_b64 exec, exec, s[18:19]
	v_lshrrev_b64 v[2:3], 20, v[2:3]
	v_cmp_gt_i32_e32 vcc, 16, v29
	v_cndmask_b32_e32 v3, 0, v3, vcc
	v_cndmask_b32_e32 v2, 7, v2, vcc
	v_cmp_ne_u32_e32 vcc, 0, v29
	v_cmp_ne_u64_e64 s[18:19], 0, v[2:3]
	s_or_b64 s[18:19], vcc, s[18:19]
                                        ; implicit-def: $vgpr22
	s_and_saveexec_b64 vcc, s[18:19]
	s_xor_b64 s[18:19], exec, vcc
; %bb.5893:                             ;   in Loop: Header=BB6_5236 Depth=2
	v_min_i32_e32 v3, 15, v29
	v_lshl_or_b32 v3, v3, 3, v28
	v_and_or_b32 v22, v2, 7, v3
                                        ; implicit-def: $vgpr28
; %bb.5894:                             ;   in Loop: Header=BB6_5236 Depth=2
	s_andn2_saveexec_b64 s[18:19], s[18:19]
; %bb.5895:                             ;   in Loop: Header=BB6_5236 Depth=2
	v_mov_b32_e32 v22, v28
; %bb.5896:                             ;   in Loop: Header=BB6_5236 Depth=2
	s_or_b64 exec, exec, s[18:19]
.LBB6_5897:                             ;   in Loop: Header=BB6_5236 Depth=2
	s_or_b64 exec, exec, s[58:59]
.LBB6_5898:                             ;   in Loop: Header=BB6_5236 Depth=2
	s_andn2_saveexec_b64 s[18:19], s[56:57]
	s_or_b64 exec, exec, s[18:19]
                                        ; implicit-def: $vgpr2
.LBB6_5899:                             ;   in Loop: Header=BB6_5236 Depth=2
	s_andn2_saveexec_b64 s[18:19], s[54:55]
; %bb.5900:                             ;   in Loop: Header=BB6_5236 Depth=2
	v_or_b32_sdwa v2, v2, s69 dst_sel:DWORD dst_unused:UNUSED_PAD src0_sel:BYTE_3 src1_sel:DWORD
	v_cmp_eq_u64_e32 vcc, 0, v[36:37]
	v_cndmask_b32_e32 v22, v2, v22, vcc
; %bb.5901:                             ;   in Loop: Header=BB6_5236 Depth=2
	s_or_b64 exec, exec, s[18:19]
	v_and_b32_e32 v2, 0xff, v20
	v_cmp_ne_u16_e32 vcc, 0, v2
	v_mov_b32_e32 v3, 0
	v_mov_b32_e32 v28, 0
	s_and_saveexec_b64 s[18:19], vcc
	s_cbranch_execz .LBB6_5907
; %bb.5902:                             ;   in Loop: Header=BB6_5236 Depth=2
	v_cmp_ne_u16_e32 vcc, s71, v2
	v_bfrev_b32_e32 v28, 1
	s_and_saveexec_b64 s[54:55], vcc
	s_cbranch_execz .LBB6_5906
; %bb.5903:                             ;   in Loop: Header=BB6_5236 Depth=2
	v_and_b32_e32 v29, 0x7f, v20
	v_cmp_ne_u32_e32 vcc, s69, v29
	v_mov_b32_e32 v28, 0x7f800001
	s_and_saveexec_b64 s[56:57], vcc
	s_cbranch_execz .LBB6_5905
; %bb.5904:                             ;   in Loop: Header=BB6_5236 Depth=2
	v_and_b32_e32 v28, 7, v2
	v_ffbh_u32_e32 v38, v28
	v_min_u32_e32 v38, 32, v38
	v_subrev_u32_e32 v49, 28, v38
	v_lshlrev_b64 v[50:51], v49, v[2:3]
	v_lshrrev_b32_e32 v36, 3, v29
	v_sub_u32_e32 v2, 29, v38
	v_and_b32_e32 v38, 7, v50
	v_cmp_gt_u32_e32 vcc, 8, v29
	v_cndmask_b32_e32 v2, v36, v2, vcc
	v_cndmask_b32_e32 v28, v28, v38, vcc
	v_lshlrev_b32_e32 v20, 24, v20
	v_lshlrev_b32_e32 v28, 20, v28
	v_and_b32_e32 v20, 0x80000000, v20
	v_lshl_add_u32 v2, v2, 23, v21
	v_or3_b32 v28, v20, v2, v28
.LBB6_5905:                             ;   in Loop: Header=BB6_5236 Depth=2
	s_or_b64 exec, exec, s[56:57]
.LBB6_5906:                             ;   in Loop: Header=BB6_5236 Depth=2
	s_or_b64 exec, exec, s[54:55]
.LBB6_5907:                             ;   in Loop: Header=BB6_5236 Depth=2
	s_or_b64 exec, exec, s[18:19]
	v_and_b32_e32 v2, 0xff, v48
	v_cmp_ne_u16_e32 vcc, 0, v2
	s_and_saveexec_b64 s[18:19], vcc
	s_cbranch_execz .LBB6_5913
; %bb.5908:                             ;   in Loop: Header=BB6_5236 Depth=2
	v_cmp_ne_u16_e32 vcc, s71, v2
	v_bfrev_b32_e32 v3, 1
	s_and_saveexec_b64 s[54:55], vcc
	s_cbranch_execz .LBB6_5912
; %bb.5909:                             ;   in Loop: Header=BB6_5236 Depth=2
	v_and_b32_e32 v20, 0x7f, v48
	v_cmp_ne_u32_e32 vcc, s69, v20
	v_mov_b32_e32 v3, 0x7f800001
	s_and_saveexec_b64 s[56:57], vcc
	s_cbranch_execz .LBB6_5911
; %bb.5910:                             ;   in Loop: Header=BB6_5236 Depth=2
	v_and_b32_e32 v29, 7, v2
	v_ffbh_u32_e32 v3, v29
	v_min_u32_e32 v38, 32, v3
	v_subrev_u32_e32 v3, 28, v38
	v_lshlrev_b64 v[2:3], v3, v[2:3]
	v_lshrrev_b32_e32 v36, 3, v20
	v_sub_u32_e32 v3, 29, v38
	v_and_b32_e32 v2, 7, v2
	v_cmp_gt_u32_e32 vcc, 8, v20
	v_cndmask_b32_e32 v3, v36, v3, vcc
	v_cndmask_b32_e32 v2, v29, v2, vcc
	v_lshlrev_b32_e32 v20, 24, v48
	v_lshlrev_b32_e32 v2, 20, v2
	v_and_b32_e32 v20, 0x80000000, v20
	v_lshl_add_u32 v3, v3, 23, v21
	v_or3_b32 v3, v20, v3, v2
.LBB6_5911:                             ;   in Loop: Header=BB6_5236 Depth=2
	s_or_b64 exec, exec, s[56:57]
.LBB6_5912:                             ;   in Loop: Header=BB6_5236 Depth=2
	s_or_b64 exec, exec, s[54:55]
.LBB6_5913:                             ;   in Loop: Header=BB6_5236 Depth=2
	s_or_b64 exec, exec, s[18:19]
	v_add_f32_e32 v2, v28, v3
	v_and_b32_sdwa v28, v2, s71 dst_sel:DWORD dst_unused:UNUSED_PAD src0_sel:BYTE_3 src1_sel:DWORD
	v_and_b32_e32 v48, 0x7f800000, v2
	v_mov_b32_e32 v49, v37
	v_and_b32_e32 v36, 0x7fffff, v2
	v_or_b32_e32 v20, 0x7e, v28
	v_cmp_ne_u64_e32 vcc, s[38:39], v[48:49]
	s_and_saveexec_b64 s[18:19], vcc
	s_xor_b64 s[54:55], exec, s[18:19]
	s_cbranch_execz .LBB6_5927
; %bb.5914:                             ;   in Loop: Header=BB6_5236 Depth=2
	v_and_b32_e32 v48, 0x7fffffff, v2
	v_mov_b32_e32 v49, v37
	v_cmp_gt_u64_e32 vcc, s[40:41], v[48:49]
	s_and_saveexec_b64 s[18:19], vcc
	s_xor_b64 s[56:57], exec, s[18:19]
	s_cbranch_execz .LBB6_5926
; %bb.5915:                             ;   in Loop: Header=BB6_5236 Depth=2
	v_cmp_ne_u32_e32 vcc, 0, v2
	v_mov_b32_e32 v20, 0
	s_and_saveexec_b64 s[58:59], vcc
	s_cbranch_execz .LBB6_5925
; %bb.5916:                             ;   in Loop: Header=BB6_5236 Depth=2
	v_bfe_u32 v2, v2, 23, 8
	v_sub_u32_e32 v20, 0x79, v2
	v_cmp_gt_u32_e32 vcc, s72, v2
	v_add_u32_e32 v3, 0xffffff81, v2
	v_cndmask_b32_e32 v20, 0, v20, vcc
	v_cmp_eq_u32_e32 vcc, 0, v2
	v_mov_b32_e32 v2, 0xffffff82
	v_cndmask_b32_e32 v38, v3, v2, vcc
	v_mov_b32_e32 v2, 0x78
	v_or_b32_e32 v29, 0x800000, v36
	v_cndmask_b32_e32 v20, v20, v2, vcc
	v_cndmask_b32_e32 v36, v29, v36, vcc
	v_add_u32_e32 v2, 20, v20
	v_lshlrev_b64 v[2:3], v2, -1
	v_add_u32_e32 v29, 19, v20
	v_lshrrev_b64 v[50:51], v20, v[36:37]
	v_not_b32_e32 v3, v3
	v_not_b32_e32 v2, v2
	v_lshlrev_b64 v[48:49], v29, 1
	v_lshrrev_b32_e32 v29, 23, v50
	v_and_b32_e32 v3, 0, v3
	v_and_b32_e32 v2, v36, v2
	v_add3_u32 v36, v20, v38, v29
	v_bfe_u32 v29, v50, 20, 1
	v_add_u32_e32 v29, -1, v29
	v_cmp_eq_u64_e32 vcc, v[2:3], v[48:49]
	v_cndmask_b32_e32 v2, 0, v29, vcc
	v_add_u32_e32 v2, v2, v50
	v_and_b32_e32 v2, 0xfffff, v2
	v_add_co_u32_e32 v2, vcc, v2, v50
	v_add_u32_e32 v20, 6, v36
	v_addc_co_u32_e32 v3, vcc, 0, v51, vcc
	v_cmp_ne_u32_e32 vcc, 0, v20
                                        ; implicit-def: $vgpr29
	s_and_saveexec_b64 s[18:19], vcc
	s_xor_b64 s[18:19], exec, s[18:19]
; %bb.5917:                             ;   in Loop: Header=BB6_5236 Depth=2
	v_add_u32_e32 v29, 7, v36
	v_cmp_lt_u64_e32 vcc, s[44:45], v[2:3]
	v_cndmask_b32_e32 v29, v20, v29, vcc
	v_cndmask_b32_e64 v20, 0, 1, vcc
	v_lshrrev_b64 v[2:3], v20, v[2:3]
; %bb.5918:                             ;   in Loop: Header=BB6_5236 Depth=2
	s_andn2_saveexec_b64 s[18:19], s[18:19]
; %bb.5919:                             ;   in Loop: Header=BB6_5236 Depth=2
	v_bfe_u32 v29, v2, 23, 1
; %bb.5920:                             ;   in Loop: Header=BB6_5236 Depth=2
	s_or_b64 exec, exec, s[18:19]
	v_lshrrev_b64 v[2:3], 20, v[2:3]
	v_cmp_gt_i32_e32 vcc, 16, v29
	v_cndmask_b32_e32 v3, 0, v3, vcc
	v_cndmask_b32_e32 v2, 7, v2, vcc
	v_cmp_ne_u32_e32 vcc, 0, v29
	v_cmp_ne_u64_e64 s[18:19], 0, v[2:3]
	s_or_b64 s[18:19], vcc, s[18:19]
                                        ; implicit-def: $vgpr20
	s_and_saveexec_b64 vcc, s[18:19]
	s_xor_b64 s[18:19], exec, vcc
; %bb.5921:                             ;   in Loop: Header=BB6_5236 Depth=2
	v_min_i32_e32 v3, 15, v29
	v_lshl_or_b32 v3, v3, 3, v28
	v_and_or_b32 v20, v2, 7, v3
                                        ; implicit-def: $vgpr28
; %bb.5922:                             ;   in Loop: Header=BB6_5236 Depth=2
	s_andn2_saveexec_b64 s[18:19], s[18:19]
; %bb.5923:                             ;   in Loop: Header=BB6_5236 Depth=2
	v_mov_b32_e32 v20, v28
; %bb.5924:                             ;   in Loop: Header=BB6_5236 Depth=2
	s_or_b64 exec, exec, s[18:19]
.LBB6_5925:                             ;   in Loop: Header=BB6_5236 Depth=2
	s_or_b64 exec, exec, s[58:59]
.LBB6_5926:                             ;   in Loop: Header=BB6_5236 Depth=2
	s_andn2_saveexec_b64 s[18:19], s[56:57]
	s_or_b64 exec, exec, s[18:19]
                                        ; implicit-def: $vgpr2
.LBB6_5927:                             ;   in Loop: Header=BB6_5236 Depth=2
	s_andn2_saveexec_b64 s[18:19], s[54:55]
; %bb.5928:                             ;   in Loop: Header=BB6_5236 Depth=2
	v_or_b32_sdwa v2, v2, s69 dst_sel:DWORD dst_unused:UNUSED_PAD src0_sel:BYTE_3 src1_sel:DWORD
	v_cmp_eq_u64_e32 vcc, 0, v[36:37]
	v_cndmask_b32_e32 v20, v2, v20, vcc
; %bb.5929:                             ;   in Loop: Header=BB6_5236 Depth=2
	s_or_b64 exec, exec, s[18:19]
	v_and_b32_e32 v2, 0xff, v19
	v_cmp_ne_u16_e32 vcc, 0, v2
	v_mov_b32_e32 v3, 0
	v_mov_b32_e32 v28, 0
	s_and_saveexec_b64 s[18:19], vcc
	s_cbranch_execz .LBB6_5935
; %bb.5930:                             ;   in Loop: Header=BB6_5236 Depth=2
	v_cmp_ne_u16_e32 vcc, s71, v2
	v_bfrev_b32_e32 v28, 1
	s_and_saveexec_b64 s[54:55], vcc
	s_cbranch_execz .LBB6_5934
; %bb.5931:                             ;   in Loop: Header=BB6_5236 Depth=2
	v_and_b32_e32 v29, 0x7f, v19
	v_cmp_ne_u32_e32 vcc, s69, v29
	v_mov_b32_e32 v28, 0x7f800001
	s_and_saveexec_b64 s[56:57], vcc
	s_cbranch_execz .LBB6_5933
; %bb.5932:                             ;   in Loop: Header=BB6_5236 Depth=2
	v_and_b32_e32 v28, 7, v2
	v_ffbh_u32_e32 v38, v28
	v_min_u32_e32 v38, 32, v38
	v_subrev_u32_e32 v48, 28, v38
	v_lshlrev_b64 v[48:49], v48, v[2:3]
	v_lshrrev_b32_e32 v36, 3, v29
	v_sub_u32_e32 v2, 29, v38
	v_and_b32_e32 v38, 7, v48
	v_cmp_gt_u32_e32 vcc, 8, v29
	v_cndmask_b32_e32 v2, v36, v2, vcc
	v_cndmask_b32_e32 v28, v28, v38, vcc
	v_lshlrev_b32_e32 v19, 24, v19
	v_lshlrev_b32_e32 v28, 20, v28
	v_and_b32_e32 v19, 0x80000000, v19
	v_lshl_add_u32 v2, v2, 23, v21
	v_or3_b32 v28, v19, v2, v28
.LBB6_5933:                             ;   in Loop: Header=BB6_5236 Depth=2
	s_or_b64 exec, exec, s[56:57]
.LBB6_5934:                             ;   in Loop: Header=BB6_5236 Depth=2
	s_or_b64 exec, exec, s[54:55]
.LBB6_5935:                             ;   in Loop: Header=BB6_5236 Depth=2
	s_or_b64 exec, exec, s[18:19]
	v_and_b32_e32 v2, 0xff, v39
	v_cmp_ne_u16_e32 vcc, 0, v2
	s_and_saveexec_b64 s[18:19], vcc
	s_cbranch_execz .LBB6_5941
; %bb.5936:                             ;   in Loop: Header=BB6_5236 Depth=2
	v_cmp_ne_u16_e32 vcc, s71, v2
	v_bfrev_b32_e32 v3, 1
	s_and_saveexec_b64 s[54:55], vcc
	s_cbranch_execz .LBB6_5940
; %bb.5937:                             ;   in Loop: Header=BB6_5236 Depth=2
	v_and_b32_e32 v19, 0x7f, v39
	v_cmp_ne_u32_e32 vcc, s69, v19
	v_mov_b32_e32 v3, 0x7f800001
	s_and_saveexec_b64 s[56:57], vcc
	s_cbranch_execz .LBB6_5939
; %bb.5938:                             ;   in Loop: Header=BB6_5236 Depth=2
	v_and_b32_e32 v29, 7, v2
	v_ffbh_u32_e32 v3, v29
	v_min_u32_e32 v38, 32, v3
	v_subrev_u32_e32 v3, 28, v38
	v_lshlrev_b64 v[2:3], v3, v[2:3]
	v_lshrrev_b32_e32 v36, 3, v19
	v_sub_u32_e32 v3, 29, v38
	v_and_b32_e32 v2, 7, v2
	v_cmp_gt_u32_e32 vcc, 8, v19
	v_cndmask_b32_e32 v3, v36, v3, vcc
	v_cndmask_b32_e32 v2, v29, v2, vcc
	v_lshlrev_b32_e32 v19, 24, v39
	v_lshlrev_b32_e32 v2, 20, v2
	v_and_b32_e32 v19, 0x80000000, v19
	v_lshl_add_u32 v3, v3, 23, v21
	v_or3_b32 v3, v19, v3, v2
.LBB6_5939:                             ;   in Loop: Header=BB6_5236 Depth=2
	s_or_b64 exec, exec, s[56:57]
.LBB6_5940:                             ;   in Loop: Header=BB6_5236 Depth=2
	s_or_b64 exec, exec, s[54:55]
.LBB6_5941:                             ;   in Loop: Header=BB6_5236 Depth=2
	s_or_b64 exec, exec, s[18:19]
	v_add_f32_e32 v2, v28, v3
	v_and_b32_sdwa v28, v2, s71 dst_sel:DWORD dst_unused:UNUSED_PAD src0_sel:BYTE_3 src1_sel:DWORD
	v_and_b32_e32 v38, 0x7f800000, v2
	v_mov_b32_e32 v39, v37
	v_and_b32_e32 v36, 0x7fffff, v2
	v_or_b32_e32 v19, 0x7e, v28
	v_cmp_ne_u64_e32 vcc, s[38:39], v[38:39]
	s_and_saveexec_b64 s[18:19], vcc
	s_xor_b64 s[54:55], exec, s[18:19]
	s_cbranch_execz .LBB6_5955
; %bb.5942:                             ;   in Loop: Header=BB6_5236 Depth=2
	v_and_b32_e32 v38, 0x7fffffff, v2
	v_mov_b32_e32 v39, v37
	v_cmp_gt_u64_e32 vcc, s[40:41], v[38:39]
	s_and_saveexec_b64 s[18:19], vcc
	s_xor_b64 s[56:57], exec, s[18:19]
	s_cbranch_execz .LBB6_5954
; %bb.5943:                             ;   in Loop: Header=BB6_5236 Depth=2
	v_cmp_ne_u32_e32 vcc, 0, v2
	v_mov_b32_e32 v19, 0
	s_and_saveexec_b64 s[58:59], vcc
	s_cbranch_execz .LBB6_5953
; %bb.5944:                             ;   in Loop: Header=BB6_5236 Depth=2
	v_bfe_u32 v2, v2, 23, 8
	v_sub_u32_e32 v19, 0x79, v2
	v_cmp_gt_u32_e32 vcc, s72, v2
	v_add_u32_e32 v3, 0xffffff81, v2
	v_cndmask_b32_e32 v19, 0, v19, vcc
	v_cmp_eq_u32_e32 vcc, 0, v2
	v_mov_b32_e32 v2, 0xffffff82
	v_cndmask_b32_e32 v50, v3, v2, vcc
	v_mov_b32_e32 v2, 0x78
	v_or_b32_e32 v29, 0x800000, v36
	v_cndmask_b32_e32 v19, v19, v2, vcc
	v_cndmask_b32_e32 v36, v29, v36, vcc
	v_add_u32_e32 v2, 20, v19
	v_lshlrev_b64 v[2:3], v2, -1
	v_add_u32_e32 v29, 19, v19
	v_lshrrev_b64 v[48:49], v19, v[36:37]
	v_not_b32_e32 v3, v3
	v_not_b32_e32 v2, v2
	v_lshlrev_b64 v[38:39], v29, 1
	v_lshrrev_b32_e32 v29, 23, v48
	v_and_b32_e32 v3, 0, v3
	v_and_b32_e32 v2, v36, v2
	v_add3_u32 v36, v19, v50, v29
	v_bfe_u32 v29, v48, 20, 1
	v_add_u32_e32 v29, -1, v29
	v_cmp_eq_u64_e32 vcc, v[2:3], v[38:39]
	v_cndmask_b32_e32 v2, 0, v29, vcc
	v_add_u32_e32 v2, v2, v48
	v_and_b32_e32 v2, 0xfffff, v2
	v_add_co_u32_e32 v2, vcc, v2, v48
	v_add_u32_e32 v19, 6, v36
	v_addc_co_u32_e32 v3, vcc, 0, v49, vcc
	v_cmp_ne_u32_e32 vcc, 0, v19
                                        ; implicit-def: $vgpr29
	s_and_saveexec_b64 s[18:19], vcc
	s_xor_b64 s[18:19], exec, s[18:19]
; %bb.5945:                             ;   in Loop: Header=BB6_5236 Depth=2
	v_add_u32_e32 v29, 7, v36
	v_cmp_lt_u64_e32 vcc, s[44:45], v[2:3]
	v_cndmask_b32_e32 v29, v19, v29, vcc
	v_cndmask_b32_e64 v19, 0, 1, vcc
	v_lshrrev_b64 v[2:3], v19, v[2:3]
; %bb.5946:                             ;   in Loop: Header=BB6_5236 Depth=2
	s_andn2_saveexec_b64 s[18:19], s[18:19]
; %bb.5947:                             ;   in Loop: Header=BB6_5236 Depth=2
	v_bfe_u32 v29, v2, 23, 1
; %bb.5948:                             ;   in Loop: Header=BB6_5236 Depth=2
	s_or_b64 exec, exec, s[18:19]
	v_lshrrev_b64 v[2:3], 20, v[2:3]
	v_cmp_gt_i32_e32 vcc, 16, v29
	v_cndmask_b32_e32 v3, 0, v3, vcc
	v_cndmask_b32_e32 v2, 7, v2, vcc
	v_cmp_ne_u32_e32 vcc, 0, v29
	v_cmp_ne_u64_e64 s[18:19], 0, v[2:3]
	s_or_b64 s[18:19], vcc, s[18:19]
                                        ; implicit-def: $vgpr19
	s_and_saveexec_b64 vcc, s[18:19]
	s_xor_b64 s[18:19], exec, vcc
; %bb.5949:                             ;   in Loop: Header=BB6_5236 Depth=2
	v_min_i32_e32 v3, 15, v29
	v_lshl_or_b32 v3, v3, 3, v28
	v_and_or_b32 v19, v2, 7, v3
                                        ; implicit-def: $vgpr28
; %bb.5950:                             ;   in Loop: Header=BB6_5236 Depth=2
	s_andn2_saveexec_b64 s[18:19], s[18:19]
; %bb.5951:                             ;   in Loop: Header=BB6_5236 Depth=2
	v_mov_b32_e32 v19, v28
; %bb.5952:                             ;   in Loop: Header=BB6_5236 Depth=2
	s_or_b64 exec, exec, s[18:19]
.LBB6_5953:                             ;   in Loop: Header=BB6_5236 Depth=2
	s_or_b64 exec, exec, s[58:59]
.LBB6_5954:                             ;   in Loop: Header=BB6_5236 Depth=2
	s_andn2_saveexec_b64 s[18:19], s[56:57]
	s_or_b64 exec, exec, s[18:19]
                                        ; implicit-def: $vgpr2
.LBB6_5955:                             ;   in Loop: Header=BB6_5236 Depth=2
	s_andn2_saveexec_b64 s[18:19], s[54:55]
; %bb.5956:                             ;   in Loop: Header=BB6_5236 Depth=2
	v_or_b32_sdwa v2, v2, s69 dst_sel:DWORD dst_unused:UNUSED_PAD src0_sel:BYTE_3 src1_sel:DWORD
	v_cmp_eq_u64_e32 vcc, 0, v[36:37]
	v_cndmask_b32_e32 v19, v2, v19, vcc
; %bb.5957:                             ;   in Loop: Header=BB6_5236 Depth=2
	s_or_b64 exec, exec, s[18:19]
	v_and_b32_e32 v2, 0xff, v18
	v_cmp_ne_u16_e32 vcc, 0, v2
	v_mov_b32_e32 v3, 0
	v_mov_b32_e32 v28, 0
	s_and_saveexec_b64 s[18:19], vcc
	s_cbranch_execz .LBB6_5963
; %bb.5958:                             ;   in Loop: Header=BB6_5236 Depth=2
	v_cmp_ne_u16_e32 vcc, s71, v2
	v_bfrev_b32_e32 v28, 1
	s_and_saveexec_b64 s[54:55], vcc
	s_cbranch_execz .LBB6_5962
; %bb.5959:                             ;   in Loop: Header=BB6_5236 Depth=2
	v_and_b32_e32 v29, 0x7f, v18
	v_cmp_ne_u32_e32 vcc, s69, v29
	v_mov_b32_e32 v28, 0x7f800001
	s_and_saveexec_b64 s[56:57], vcc
	s_cbranch_execz .LBB6_5961
; %bb.5960:                             ;   in Loop: Header=BB6_5236 Depth=2
	v_and_b32_e32 v28, 7, v2
	v_ffbh_u32_e32 v38, v28
	v_min_u32_e32 v48, 32, v38
	v_subrev_u32_e32 v38, 28, v48
	v_lshlrev_b64 v[38:39], v38, v[2:3]
	v_lshrrev_b32_e32 v36, 3, v29
	v_sub_u32_e32 v2, 29, v48
	v_and_b32_e32 v38, 7, v38
	v_cmp_gt_u32_e32 vcc, 8, v29
	v_cndmask_b32_e32 v2, v36, v2, vcc
	v_cndmask_b32_e32 v28, v28, v38, vcc
	v_lshlrev_b32_e32 v18, 24, v18
	v_lshlrev_b32_e32 v28, 20, v28
	v_and_b32_e32 v18, 0x80000000, v18
	v_lshl_add_u32 v2, v2, 23, v21
	v_or3_b32 v28, v18, v2, v28
.LBB6_5961:                             ;   in Loop: Header=BB6_5236 Depth=2
	s_or_b64 exec, exec, s[56:57]
.LBB6_5962:                             ;   in Loop: Header=BB6_5236 Depth=2
	s_or_b64 exec, exec, s[54:55]
.LBB6_5963:                             ;   in Loop: Header=BB6_5236 Depth=2
	s_or_b64 exec, exec, s[18:19]
	v_and_b32_e32 v2, 0xff, v35
	v_cmp_ne_u16_e32 vcc, 0, v2
	s_and_saveexec_b64 s[18:19], vcc
	s_cbranch_execz .LBB6_5969
; %bb.5964:                             ;   in Loop: Header=BB6_5236 Depth=2
	v_cmp_ne_u16_e32 vcc, s71, v2
	v_bfrev_b32_e32 v3, 1
	s_and_saveexec_b64 s[54:55], vcc
	s_cbranch_execz .LBB6_5968
; %bb.5965:                             ;   in Loop: Header=BB6_5236 Depth=2
	v_and_b32_e32 v18, 0x7f, v35
	v_cmp_ne_u32_e32 vcc, s69, v18
	v_mov_b32_e32 v3, 0x7f800001
	s_and_saveexec_b64 s[56:57], vcc
	s_cbranch_execz .LBB6_5967
; %bb.5966:                             ;   in Loop: Header=BB6_5236 Depth=2
	v_and_b32_e32 v29, 7, v2
	v_ffbh_u32_e32 v3, v29
	v_min_u32_e32 v38, 32, v3
	v_subrev_u32_e32 v3, 28, v38
	v_lshlrev_b64 v[2:3], v3, v[2:3]
	v_lshrrev_b32_e32 v36, 3, v18
	v_sub_u32_e32 v3, 29, v38
	v_and_b32_e32 v2, 7, v2
	v_cmp_gt_u32_e32 vcc, 8, v18
	v_cndmask_b32_e32 v3, v36, v3, vcc
	v_cndmask_b32_e32 v2, v29, v2, vcc
	v_lshlrev_b32_e32 v18, 24, v35
	v_lshlrev_b32_e32 v2, 20, v2
	v_and_b32_e32 v18, 0x80000000, v18
	v_lshl_add_u32 v3, v3, 23, v21
	v_or3_b32 v3, v18, v3, v2
.LBB6_5967:                             ;   in Loop: Header=BB6_5236 Depth=2
	s_or_b64 exec, exec, s[56:57]
.LBB6_5968:                             ;   in Loop: Header=BB6_5236 Depth=2
	s_or_b64 exec, exec, s[54:55]
.LBB6_5969:                             ;   in Loop: Header=BB6_5236 Depth=2
	s_or_b64 exec, exec, s[18:19]
	v_add_f32_e32 v2, v28, v3
	v_and_b32_sdwa v28, v2, s71 dst_sel:DWORD dst_unused:UNUSED_PAD src0_sel:BYTE_3 src1_sel:DWORD
	v_and_b32_e32 v38, 0x7f800000, v2
	v_mov_b32_e32 v39, v37
	v_and_b32_e32 v36, 0x7fffff, v2
	v_or_b32_e32 v18, 0x7e, v28
	v_cmp_ne_u64_e32 vcc, s[38:39], v[38:39]
	s_and_saveexec_b64 s[18:19], vcc
	s_xor_b64 s[54:55], exec, s[18:19]
	s_cbranch_execz .LBB6_5983
; %bb.5970:                             ;   in Loop: Header=BB6_5236 Depth=2
	v_and_b32_e32 v38, 0x7fffffff, v2
	v_mov_b32_e32 v39, v37
	v_cmp_gt_u64_e32 vcc, s[40:41], v[38:39]
	s_and_saveexec_b64 s[18:19], vcc
	s_xor_b64 s[56:57], exec, s[18:19]
	s_cbranch_execz .LBB6_5982
; %bb.5971:                             ;   in Loop: Header=BB6_5236 Depth=2
	v_cmp_ne_u32_e32 vcc, 0, v2
	v_mov_b32_e32 v18, 0
	s_and_saveexec_b64 s[58:59], vcc
	s_cbranch_execz .LBB6_5981
; %bb.5972:                             ;   in Loop: Header=BB6_5236 Depth=2
	v_bfe_u32 v2, v2, 23, 8
	v_sub_u32_e32 v18, 0x79, v2
	v_cmp_gt_u32_e32 vcc, s72, v2
	v_add_u32_e32 v3, 0xffffff81, v2
	v_cndmask_b32_e32 v18, 0, v18, vcc
	v_cmp_eq_u32_e32 vcc, 0, v2
	v_mov_b32_e32 v2, 0xffffff82
	v_cndmask_b32_e32 v35, v3, v2, vcc
	v_mov_b32_e32 v2, 0x78
	v_or_b32_e32 v29, 0x800000, v36
	v_cndmask_b32_e32 v18, v18, v2, vcc
	v_cndmask_b32_e32 v36, v29, v36, vcc
	v_add_u32_e32 v2, 20, v18
	v_lshlrev_b64 v[2:3], v2, -1
	v_add_u32_e32 v29, 19, v18
	v_lshrrev_b64 v[48:49], v18, v[36:37]
	v_not_b32_e32 v3, v3
	v_not_b32_e32 v2, v2
	v_lshlrev_b64 v[38:39], v29, 1
	v_lshrrev_b32_e32 v29, 23, v48
	v_and_b32_e32 v3, 0, v3
	v_and_b32_e32 v2, v36, v2
	v_add3_u32 v35, v18, v35, v29
	v_bfe_u32 v29, v48, 20, 1
	v_add_u32_e32 v29, -1, v29
	v_cmp_eq_u64_e32 vcc, v[2:3], v[38:39]
	v_cndmask_b32_e32 v2, 0, v29, vcc
	v_add_u32_e32 v2, v2, v48
	v_and_b32_e32 v2, 0xfffff, v2
	v_add_co_u32_e32 v2, vcc, v2, v48
	v_add_u32_e32 v18, 6, v35
	v_addc_co_u32_e32 v3, vcc, 0, v49, vcc
	v_cmp_ne_u32_e32 vcc, 0, v18
                                        ; implicit-def: $vgpr29
	s_and_saveexec_b64 s[18:19], vcc
	s_xor_b64 s[18:19], exec, s[18:19]
; %bb.5973:                             ;   in Loop: Header=BB6_5236 Depth=2
	v_add_u32_e32 v29, 7, v35
	v_cmp_lt_u64_e32 vcc, s[44:45], v[2:3]
	v_cndmask_b32_e32 v29, v18, v29, vcc
	v_cndmask_b32_e64 v18, 0, 1, vcc
	v_lshrrev_b64 v[2:3], v18, v[2:3]
; %bb.5974:                             ;   in Loop: Header=BB6_5236 Depth=2
	s_andn2_saveexec_b64 s[18:19], s[18:19]
; %bb.5975:                             ;   in Loop: Header=BB6_5236 Depth=2
	v_bfe_u32 v29, v2, 23, 1
; %bb.5976:                             ;   in Loop: Header=BB6_5236 Depth=2
	s_or_b64 exec, exec, s[18:19]
	v_lshrrev_b64 v[2:3], 20, v[2:3]
	v_cmp_gt_i32_e32 vcc, 16, v29
	v_cndmask_b32_e32 v3, 0, v3, vcc
	v_cndmask_b32_e32 v2, 7, v2, vcc
	v_cmp_ne_u32_e32 vcc, 0, v29
	v_cmp_ne_u64_e64 s[18:19], 0, v[2:3]
	s_or_b64 s[18:19], vcc, s[18:19]
                                        ; implicit-def: $vgpr18
	s_and_saveexec_b64 vcc, s[18:19]
	s_xor_b64 s[18:19], exec, vcc
; %bb.5977:                             ;   in Loop: Header=BB6_5236 Depth=2
	v_min_i32_e32 v3, 15, v29
	v_lshl_or_b32 v3, v3, 3, v28
	v_and_or_b32 v18, v2, 7, v3
                                        ; implicit-def: $vgpr28
; %bb.5978:                             ;   in Loop: Header=BB6_5236 Depth=2
	s_andn2_saveexec_b64 s[18:19], s[18:19]
; %bb.5979:                             ;   in Loop: Header=BB6_5236 Depth=2
	v_mov_b32_e32 v18, v28
; %bb.5980:                             ;   in Loop: Header=BB6_5236 Depth=2
	s_or_b64 exec, exec, s[18:19]
.LBB6_5981:                             ;   in Loop: Header=BB6_5236 Depth=2
	s_or_b64 exec, exec, s[58:59]
.LBB6_5982:                             ;   in Loop: Header=BB6_5236 Depth=2
	s_andn2_saveexec_b64 s[18:19], s[56:57]
	s_or_b64 exec, exec, s[18:19]
                                        ; implicit-def: $vgpr2
.LBB6_5983:                             ;   in Loop: Header=BB6_5236 Depth=2
	s_andn2_saveexec_b64 s[18:19], s[54:55]
; %bb.5984:                             ;   in Loop: Header=BB6_5236 Depth=2
	v_or_b32_sdwa v2, v2, s69 dst_sel:DWORD dst_unused:UNUSED_PAD src0_sel:BYTE_3 src1_sel:DWORD
	v_cmp_eq_u64_e32 vcc, 0, v[36:37]
	v_cndmask_b32_e32 v18, v2, v18, vcc
; %bb.5985:                             ;   in Loop: Header=BB6_5236 Depth=2
	s_or_b64 exec, exec, s[18:19]
	v_and_b32_e32 v2, 0xff, v8
	v_cmp_ne_u16_e32 vcc, 0, v2
	v_mov_b32_e32 v3, 0
	v_mov_b32_e32 v28, 0
	s_and_saveexec_b64 s[18:19], vcc
	s_cbranch_execz .LBB6_5991
; %bb.5986:                             ;   in Loop: Header=BB6_5236 Depth=2
	v_cmp_ne_u16_e32 vcc, s71, v2
	v_bfrev_b32_e32 v28, 1
	s_and_saveexec_b64 s[54:55], vcc
	s_cbranch_execz .LBB6_5990
; %bb.5987:                             ;   in Loop: Header=BB6_5236 Depth=2
	v_and_b32_e32 v29, 0x7f, v8
	v_cmp_ne_u32_e32 vcc, s69, v29
	v_mov_b32_e32 v28, 0x7f800001
	s_and_saveexec_b64 s[56:57], vcc
	s_cbranch_execz .LBB6_5989
; %bb.5988:                             ;   in Loop: Header=BB6_5236 Depth=2
	v_and_b32_e32 v28, 7, v2
	v_ffbh_u32_e32 v36, v28
	v_min_u32_e32 v36, 32, v36
	v_subrev_u32_e32 v38, 28, v36
	v_lshlrev_b64 v[38:39], v38, v[2:3]
	v_lshrrev_b32_e32 v35, 3, v29
	v_sub_u32_e32 v2, 29, v36
	v_and_b32_e32 v36, 7, v38
	v_cmp_gt_u32_e32 vcc, 8, v29
	v_cndmask_b32_e32 v2, v35, v2, vcc
	v_cndmask_b32_e32 v28, v28, v36, vcc
	v_lshlrev_b32_e32 v8, 24, v8
	v_lshlrev_b32_e32 v28, 20, v28
	v_and_b32_e32 v8, 0x80000000, v8
	v_lshl_add_u32 v2, v2, 23, v21
	v_or3_b32 v28, v8, v2, v28
.LBB6_5989:                             ;   in Loop: Header=BB6_5236 Depth=2
	s_or_b64 exec, exec, s[56:57]
.LBB6_5990:                             ;   in Loop: Header=BB6_5236 Depth=2
	s_or_b64 exec, exec, s[54:55]
.LBB6_5991:                             ;   in Loop: Header=BB6_5236 Depth=2
	s_or_b64 exec, exec, s[18:19]
	v_and_b32_e32 v2, 0xff, v25
	v_cmp_ne_u16_e32 vcc, 0, v2
	s_and_saveexec_b64 s[18:19], vcc
	s_cbranch_execz .LBB6_5997
; %bb.5992:                             ;   in Loop: Header=BB6_5236 Depth=2
	v_cmp_ne_u16_e32 vcc, s71, v2
	v_bfrev_b32_e32 v3, 1
	s_and_saveexec_b64 s[54:55], vcc
	s_cbranch_execz .LBB6_5996
; %bb.5993:                             ;   in Loop: Header=BB6_5236 Depth=2
	v_and_b32_e32 v8, 0x7f, v25
	v_cmp_ne_u32_e32 vcc, s69, v8
	v_mov_b32_e32 v3, 0x7f800001
	s_and_saveexec_b64 s[56:57], vcc
	s_cbranch_execz .LBB6_5995
; %bb.5994:                             ;   in Loop: Header=BB6_5236 Depth=2
	v_and_b32_e32 v29, 7, v2
	v_ffbh_u32_e32 v3, v29
	v_min_u32_e32 v36, 32, v3
	v_subrev_u32_e32 v3, 28, v36
	v_lshlrev_b64 v[2:3], v3, v[2:3]
	v_lshrrev_b32_e32 v35, 3, v8
	v_sub_u32_e32 v3, 29, v36
	v_and_b32_e32 v2, 7, v2
	v_cmp_gt_u32_e32 vcc, 8, v8
	v_cndmask_b32_e32 v3, v35, v3, vcc
	v_cndmask_b32_e32 v2, v29, v2, vcc
	v_lshlrev_b32_e32 v8, 24, v25
	v_lshlrev_b32_e32 v2, 20, v2
	v_and_b32_e32 v8, 0x80000000, v8
	v_lshl_add_u32 v3, v3, 23, v21
	v_or3_b32 v3, v8, v3, v2
.LBB6_5995:                             ;   in Loop: Header=BB6_5236 Depth=2
	s_or_b64 exec, exec, s[56:57]
.LBB6_5996:                             ;   in Loop: Header=BB6_5236 Depth=2
	s_or_b64 exec, exec, s[54:55]
.LBB6_5997:                             ;   in Loop: Header=BB6_5236 Depth=2
	s_or_b64 exec, exec, s[18:19]
	v_add_f32_e32 v2, v28, v3
	v_and_b32_sdwa v25, v2, s71 dst_sel:DWORD dst_unused:UNUSED_PAD src0_sel:BYTE_3 src1_sel:DWORD
	v_and_b32_e32 v28, 0x7f800000, v2
	v_mov_b32_e32 v29, v37
	v_and_b32_e32 v36, 0x7fffff, v2
	v_or_b32_e32 v8, 0x7e, v25
	v_cmp_ne_u64_e32 vcc, s[38:39], v[28:29]
	s_and_saveexec_b64 s[18:19], vcc
	s_xor_b64 s[54:55], exec, s[18:19]
	s_cbranch_execz .LBB6_6011
; %bb.5998:                             ;   in Loop: Header=BB6_5236 Depth=2
	v_and_b32_e32 v28, 0x7fffffff, v2
	v_mov_b32_e32 v29, v37
	v_cmp_gt_u64_e32 vcc, s[40:41], v[28:29]
	s_and_saveexec_b64 s[18:19], vcc
	s_xor_b64 s[56:57], exec, s[18:19]
	s_cbranch_execz .LBB6_6010
; %bb.5999:                             ;   in Loop: Header=BB6_5236 Depth=2
	v_cmp_ne_u32_e32 vcc, 0, v2
	v_mov_b32_e32 v8, 0
	s_and_saveexec_b64 s[58:59], vcc
	s_cbranch_execz .LBB6_6009
; %bb.6000:                             ;   in Loop: Header=BB6_5236 Depth=2
	v_bfe_u32 v2, v2, 23, 8
	v_sub_u32_e32 v8, 0x79, v2
	v_cmp_gt_u32_e32 vcc, s72, v2
	v_add_u32_e32 v3, 0xffffff81, v2
	v_cndmask_b32_e32 v8, 0, v8, vcc
	v_cmp_eq_u32_e32 vcc, 0, v2
	v_mov_b32_e32 v2, 0xffffff82
	v_cndmask_b32_e32 v29, v3, v2, vcc
	v_mov_b32_e32 v2, 0x78
	v_or_b32_e32 v28, 0x800000, v36
	v_cndmask_b32_e32 v8, v8, v2, vcc
	v_cndmask_b32_e32 v36, v28, v36, vcc
	v_add_u32_e32 v2, 20, v8
	v_lshlrev_b64 v[2:3], v2, -1
	v_add_u32_e32 v28, 19, v8
	v_lshrrev_b64 v[48:49], v8, v[36:37]
	v_not_b32_e32 v3, v3
	v_not_b32_e32 v2, v2
	v_lshlrev_b64 v[38:39], v28, 1
	v_lshrrev_b32_e32 v28, 23, v48
	v_and_b32_e32 v3, 0, v3
	v_and_b32_e32 v2, v36, v2
	v_add3_u32 v29, v8, v29, v28
	v_bfe_u32 v28, v48, 20, 1
	v_add_u32_e32 v28, -1, v28
	v_cmp_eq_u64_e32 vcc, v[2:3], v[38:39]
	v_cndmask_b32_e32 v2, 0, v28, vcc
	v_add_u32_e32 v2, v2, v48
	v_and_b32_e32 v2, 0xfffff, v2
	v_add_co_u32_e32 v2, vcc, v2, v48
	v_add_u32_e32 v8, 6, v29
	v_addc_co_u32_e32 v3, vcc, 0, v49, vcc
	v_cmp_ne_u32_e32 vcc, 0, v8
                                        ; implicit-def: $vgpr28
	s_and_saveexec_b64 s[18:19], vcc
	s_xor_b64 s[18:19], exec, s[18:19]
; %bb.6001:                             ;   in Loop: Header=BB6_5236 Depth=2
	v_add_u32_e32 v28, 7, v29
	v_cmp_lt_u64_e32 vcc, s[44:45], v[2:3]
	v_cndmask_b32_e32 v28, v8, v28, vcc
	v_cndmask_b32_e64 v8, 0, 1, vcc
	v_lshrrev_b64 v[2:3], v8, v[2:3]
; %bb.6002:                             ;   in Loop: Header=BB6_5236 Depth=2
	s_andn2_saveexec_b64 s[18:19], s[18:19]
; %bb.6003:                             ;   in Loop: Header=BB6_5236 Depth=2
	v_bfe_u32 v28, v2, 23, 1
; %bb.6004:                             ;   in Loop: Header=BB6_5236 Depth=2
	s_or_b64 exec, exec, s[18:19]
	v_lshrrev_b64 v[2:3], 20, v[2:3]
	v_cmp_gt_i32_e32 vcc, 16, v28
	v_cndmask_b32_e32 v3, 0, v3, vcc
	v_cndmask_b32_e32 v2, 7, v2, vcc
	v_cmp_ne_u32_e32 vcc, 0, v28
	v_cmp_ne_u64_e64 s[18:19], 0, v[2:3]
	s_or_b64 s[18:19], vcc, s[18:19]
                                        ; implicit-def: $vgpr8
	s_and_saveexec_b64 vcc, s[18:19]
	s_xor_b64 s[18:19], exec, vcc
; %bb.6005:                             ;   in Loop: Header=BB6_5236 Depth=2
	v_min_i32_e32 v3, 15, v28
	v_lshl_or_b32 v3, v3, 3, v25
	v_and_or_b32 v8, v2, 7, v3
                                        ; implicit-def: $vgpr25
; %bb.6006:                             ;   in Loop: Header=BB6_5236 Depth=2
	s_andn2_saveexec_b64 s[18:19], s[18:19]
; %bb.6007:                             ;   in Loop: Header=BB6_5236 Depth=2
	v_mov_b32_e32 v8, v25
; %bb.6008:                             ;   in Loop: Header=BB6_5236 Depth=2
	s_or_b64 exec, exec, s[18:19]
.LBB6_6009:                             ;   in Loop: Header=BB6_5236 Depth=2
	s_or_b64 exec, exec, s[58:59]
.LBB6_6010:                             ;   in Loop: Header=BB6_5236 Depth=2
	s_andn2_saveexec_b64 s[18:19], s[56:57]
	s_or_b64 exec, exec, s[18:19]
                                        ; implicit-def: $vgpr2
.LBB6_6011:                             ;   in Loop: Header=BB6_5236 Depth=2
	s_andn2_saveexec_b64 s[18:19], s[54:55]
; %bb.6012:                             ;   in Loop: Header=BB6_5236 Depth=2
	v_or_b32_sdwa v2, v2, s69 dst_sel:DWORD dst_unused:UNUSED_PAD src0_sel:BYTE_3 src1_sel:DWORD
	v_cmp_eq_u64_e32 vcc, 0, v[36:37]
	v_cndmask_b32_e32 v8, v2, v8, vcc
; %bb.6013:                             ;   in Loop: Header=BB6_5236 Depth=2
	s_or_b64 exec, exec, s[18:19]
	v_and_b32_e32 v2, 0xff, v6
	v_cmp_ne_u16_e32 vcc, 0, v2
	v_mov_b32_e32 v3, 0
	v_mov_b32_e32 v25, 0
	s_and_saveexec_b64 s[18:19], vcc
	s_cbranch_execz .LBB6_6019
; %bb.6014:                             ;   in Loop: Header=BB6_5236 Depth=2
	v_cmp_ne_u16_e32 vcc, s71, v2
	v_bfrev_b32_e32 v25, 1
	s_and_saveexec_b64 s[54:55], vcc
	s_cbranch_execz .LBB6_6018
; %bb.6015:                             ;   in Loop: Header=BB6_5236 Depth=2
	v_and_b32_e32 v28, 0x7f, v6
	v_cmp_ne_u32_e32 vcc, s69, v28
	v_mov_b32_e32 v25, 0x7f800001
	s_and_saveexec_b64 s[56:57], vcc
	s_cbranch_execz .LBB6_6017
; %bb.6016:                             ;   in Loop: Header=BB6_5236 Depth=2
	v_and_b32_e32 v25, 7, v2
	v_ffbh_u32_e32 v35, v25
	v_min_u32_e32 v35, 32, v35
	v_subrev_u32_e32 v36, 28, v35
	v_lshlrev_b64 v[38:39], v36, v[2:3]
	v_lshrrev_b32_e32 v29, 3, v28
	v_sub_u32_e32 v2, 29, v35
	v_and_b32_e32 v35, 7, v38
	v_cmp_gt_u32_e32 vcc, 8, v28
	v_cndmask_b32_e32 v2, v29, v2, vcc
	v_cndmask_b32_e32 v25, v25, v35, vcc
	v_lshlrev_b32_e32 v6, 24, v6
	v_lshlrev_b32_e32 v25, 20, v25
	v_and_b32_e32 v6, 0x80000000, v6
	v_lshl_add_u32 v2, v2, 23, v21
	v_or3_b32 v25, v6, v2, v25
.LBB6_6017:                             ;   in Loop: Header=BB6_5236 Depth=2
	s_or_b64 exec, exec, s[56:57]
.LBB6_6018:                             ;   in Loop: Header=BB6_5236 Depth=2
	s_or_b64 exec, exec, s[54:55]
.LBB6_6019:                             ;   in Loop: Header=BB6_5236 Depth=2
	s_or_b64 exec, exec, s[18:19]
	v_and_b32_e32 v2, 0xff, v9
	v_cmp_ne_u16_e32 vcc, 0, v2
	s_and_saveexec_b64 s[18:19], vcc
	s_cbranch_execz .LBB6_6025
; %bb.6020:                             ;   in Loop: Header=BB6_5236 Depth=2
	v_cmp_ne_u16_e32 vcc, s71, v2
	v_bfrev_b32_e32 v3, 1
	s_and_saveexec_b64 s[54:55], vcc
	s_cbranch_execz .LBB6_6024
; %bb.6021:                             ;   in Loop: Header=BB6_5236 Depth=2
	v_and_b32_e32 v6, 0x7f, v9
	v_cmp_ne_u32_e32 vcc, s69, v6
	v_mov_b32_e32 v3, 0x7f800001
	s_and_saveexec_b64 s[56:57], vcc
	s_cbranch_execz .LBB6_6023
; %bb.6022:                             ;   in Loop: Header=BB6_5236 Depth=2
	v_and_b32_e32 v28, 7, v2
	v_ffbh_u32_e32 v3, v28
	v_min_u32_e32 v35, 32, v3
	v_subrev_u32_e32 v3, 28, v35
	v_lshlrev_b64 v[2:3], v3, v[2:3]
	v_lshrrev_b32_e32 v29, 3, v6
	v_sub_u32_e32 v3, 29, v35
	v_and_b32_e32 v2, 7, v2
	v_cmp_gt_u32_e32 vcc, 8, v6
	v_cndmask_b32_e32 v3, v29, v3, vcc
	v_cndmask_b32_e32 v2, v28, v2, vcc
	v_lshlrev_b32_e32 v6, 24, v9
	v_lshlrev_b32_e32 v2, 20, v2
	v_and_b32_e32 v6, 0x80000000, v6
	v_lshl_add_u32 v3, v3, 23, v21
	v_or3_b32 v3, v6, v3, v2
.LBB6_6023:                             ;   in Loop: Header=BB6_5236 Depth=2
	s_or_b64 exec, exec, s[56:57]
.LBB6_6024:                             ;   in Loop: Header=BB6_5236 Depth=2
	s_or_b64 exec, exec, s[54:55]
.LBB6_6025:                             ;   in Loop: Header=BB6_5236 Depth=2
	s_or_b64 exec, exec, s[18:19]
	v_add_f32_e32 v2, v25, v3
	v_and_b32_sdwa v6, v2, s71 dst_sel:DWORD dst_unused:UNUSED_PAD src0_sel:BYTE_3 src1_sel:DWORD
	v_and_b32_e32 v28, 0x7f800000, v2
	v_mov_b32_e32 v29, v37
	v_and_b32_e32 v36, 0x7fffff, v2
	v_or_b32_e32 v3, 0x7e, v6
	v_cmp_ne_u64_e32 vcc, s[38:39], v[28:29]
	s_and_saveexec_b64 s[18:19], vcc
	s_xor_b64 s[54:55], exec, s[18:19]
	s_cbranch_execz .LBB6_6039
; %bb.6026:                             ;   in Loop: Header=BB6_5236 Depth=2
	v_and_b32_e32 v28, 0x7fffffff, v2
	v_mov_b32_e32 v29, v37
	v_cmp_gt_u64_e32 vcc, s[40:41], v[28:29]
	s_and_saveexec_b64 s[18:19], vcc
	s_xor_b64 s[56:57], exec, s[18:19]
	s_cbranch_execz .LBB6_6038
; %bb.6027:                             ;   in Loop: Header=BB6_5236 Depth=2
	v_cmp_ne_u32_e32 vcc, 0, v2
	v_mov_b32_e32 v3, 0
	s_and_saveexec_b64 s[58:59], vcc
	s_cbranch_execz .LBB6_6037
; %bb.6028:                             ;   in Loop: Header=BB6_5236 Depth=2
	v_bfe_u32 v2, v2, 23, 8
	v_sub_u32_e32 v9, 0x79, v2
	v_cmp_gt_u32_e32 vcc, s72, v2
	v_add_u32_e32 v3, 0xffffff81, v2
	v_cndmask_b32_e32 v9, 0, v9, vcc
	v_cmp_eq_u32_e32 vcc, 0, v2
	v_mov_b32_e32 v2, 0xffffff82
	v_cndmask_b32_e32 v28, v3, v2, vcc
	v_mov_b32_e32 v2, 0x78
	v_or_b32_e32 v25, 0x800000, v36
	v_cndmask_b32_e32 v9, v9, v2, vcc
	v_cndmask_b32_e32 v36, v25, v36, vcc
	v_add_u32_e32 v2, 20, v9
	v_lshlrev_b64 v[2:3], v2, -1
	v_add_u32_e32 v25, 19, v9
	v_lshrrev_b64 v[48:49], v9, v[36:37]
	v_not_b32_e32 v3, v3
	v_not_b32_e32 v2, v2
	v_lshlrev_b64 v[38:39], v25, 1
	v_lshrrev_b32_e32 v25, 23, v48
	v_and_b32_e32 v3, 0, v3
	v_and_b32_e32 v2, v36, v2
	v_add3_u32 v28, v9, v28, v25
	v_bfe_u32 v9, v48, 20, 1
	v_add_u32_e32 v9, -1, v9
	v_cmp_eq_u64_e32 vcc, v[2:3], v[38:39]
	v_cndmask_b32_e32 v2, 0, v9, vcc
	v_add_u32_e32 v2, v2, v48
	v_and_b32_e32 v2, 0xfffff, v2
	v_add_co_u32_e32 v2, vcc, v2, v48
	v_add_u32_e32 v25, 6, v28
	v_addc_co_u32_e32 v3, vcc, 0, v49, vcc
	v_cmp_ne_u32_e32 vcc, 0, v25
                                        ; implicit-def: $vgpr9
	s_and_saveexec_b64 s[18:19], vcc
	s_xor_b64 s[18:19], exec, s[18:19]
; %bb.6029:                             ;   in Loop: Header=BB6_5236 Depth=2
	v_add_u32_e32 v9, 7, v28
	v_cmp_lt_u64_e32 vcc, s[44:45], v[2:3]
	v_cndmask_b32_e32 v9, v25, v9, vcc
	v_cndmask_b32_e64 v25, 0, 1, vcc
	v_lshrrev_b64 v[2:3], v25, v[2:3]
; %bb.6030:                             ;   in Loop: Header=BB6_5236 Depth=2
	s_andn2_saveexec_b64 s[18:19], s[18:19]
; %bb.6031:                             ;   in Loop: Header=BB6_5236 Depth=2
	v_bfe_u32 v9, v2, 23, 1
; %bb.6032:                             ;   in Loop: Header=BB6_5236 Depth=2
	s_or_b64 exec, exec, s[18:19]
	v_lshrrev_b64 v[2:3], 20, v[2:3]
	v_cmp_gt_i32_e32 vcc, 16, v9
	v_cndmask_b32_e32 v3, 0, v3, vcc
	v_cndmask_b32_e32 v2, 7, v2, vcc
	v_cmp_ne_u32_e32 vcc, 0, v9
	v_cmp_ne_u64_e64 s[18:19], 0, v[2:3]
	s_or_b64 s[18:19], vcc, s[18:19]
                                        ; implicit-def: $vgpr3
	s_and_saveexec_b64 vcc, s[18:19]
	s_xor_b64 s[18:19], exec, vcc
; %bb.6033:                             ;   in Loop: Header=BB6_5236 Depth=2
	v_min_i32_e32 v3, 15, v9
	v_lshl_or_b32 v3, v3, 3, v6
	v_and_or_b32 v3, v2, 7, v3
                                        ; implicit-def: $vgpr6
; %bb.6034:                             ;   in Loop: Header=BB6_5236 Depth=2
	s_andn2_saveexec_b64 s[18:19], s[18:19]
; %bb.6035:                             ;   in Loop: Header=BB6_5236 Depth=2
	v_mov_b32_e32 v3, v6
; %bb.6036:                             ;   in Loop: Header=BB6_5236 Depth=2
	s_or_b64 exec, exec, s[18:19]
.LBB6_6037:                             ;   in Loop: Header=BB6_5236 Depth=2
	s_or_b64 exec, exec, s[58:59]
.LBB6_6038:                             ;   in Loop: Header=BB6_5236 Depth=2
	s_andn2_saveexec_b64 s[18:19], s[56:57]
	s_or_b64 exec, exec, s[18:19]
                                        ; implicit-def: $vgpr2
.LBB6_6039:                             ;   in Loop: Header=BB6_5236 Depth=2
	s_andn2_saveexec_b64 s[18:19], s[54:55]
	s_cbranch_execz .LBB6_5235
; %bb.6040:                             ;   in Loop: Header=BB6_5236 Depth=2
	v_or_b32_sdwa v2, v2, s69 dst_sel:DWORD dst_unused:UNUSED_PAD src0_sel:BYTE_3 src1_sel:DWORD
	v_cmp_eq_u64_e32 vcc, 0, v[36:37]
	v_cndmask_b32_e32 v3, v2, v3, vcc
	s_branch .LBB6_5235
.LBB6_6041:                             ;   in Loop: Header=BB6_3118 Depth=1
	s_or_b64 exec, exec, s[52:53]
.LBB6_6042:                             ;   in Loop: Header=BB6_3118 Depth=1
	s_or_b64 exec, exec, s[50:51]
	v_lshlrev_b32_e32 v2, 10, v17
	v_cmp_ne_u32_e32 vcc, v1, v2
	s_and_b64 exec, exec, vcc
	s_cbranch_execz .LBB6_6101
; %bb.6043:                             ;   in Loop: Header=BB6_3118 Depth=1
	v_add_u32_e32 v3, v16, v5
	v_and_b32_e32 v3, 0xffffffc0, v3
	v_sub_u32_e32 v3, v16, v3
	v_lshlrev_b32_e32 v4, 6, v4
	v_sub_u32_e32 v3, v3, v4
	v_add_u32_e32 v2, v2, v3
	v_sub_u32_e32 v1, v1, v2
	v_cmp_lt_i32_e32 vcc, 0, v1
	s_and_b64 exec, exec, vcc
	s_cbranch_execz .LBB6_6101
; %bb.6044:                             ;   in Loop: Header=BB6_3118 Depth=1
	s_trap 2
	ds_read_b128 v[4:7], v0
	v_add_u32_e32 v0, v2, v0
	ds_read_b64 v[8:9], v0
	v_ashrrev_i32_e32 v13, 31, v0
	s_mov_b64 s[50:51], 0
	s_waitcnt lgkmcnt(0)
	v_add_co_u32_e32 v2, vcc, v4, v0
	v_addc_co_u32_e32 v3, vcc, v5, v13, vcc
	v_add_co_u32_e32 v10, vcc, v6, v0
	v_addc_co_u32_e32 v11, vcc, v7, v13, vcc
	;; [unrolled: 2-line block ×3, first 2 shown]
	s_branch .LBB6_6046
.LBB6_6045:                             ;   in Loop: Header=BB6_6046 Depth=2
	s_or_b64 exec, exec, s[18:19]
	v_accvgpr_read_b32 v0, a38
	v_add_co_u32_e32 v2, vcc, v2, v0
	v_accvgpr_read_b32 v5, a39
	v_addc_co_u32_e32 v3, vcc, v3, v5, vcc
	v_add_co_u32_e32 v10, vcc, v10, v0
	v_addc_co_u32_e32 v11, vcc, v11, v5, vcc
	v_sub_u32_e32 v1, v1, v0
	v_cmp_gt_i32_e32 vcc, 1, v1
	flat_store_byte v[12:13], v4 glc slc
	s_or_b64 s[50:51], vcc, s[50:51]
	v_add_co_u32_e32 v12, vcc, v12, v0
	v_addc_co_u32_e32 v13, vcc, v13, v5, vcc
	s_andn2_b64 exec, exec, s[50:51]
	s_cbranch_execz .LBB6_6101
.LBB6_6046:                             ;   Parent Loop BB6_3118 Depth=1
                                        ; =>  This Inner Loop Header: Depth=2
	s_trap 2
	ds_read_b64 v[14:15], v0
	s_waitcnt lgkmcnt(0)
	v_cmp_eq_u16_sdwa vcc, v14, v37 src0_sel:BYTE_0 src1_sel:DWORD
	v_readfirstlane_b32 s18, v14
	v_readfirstlane_b32 s19, v15
	s_and_b64 vcc, exec, vcc
	s_cbranch_vccnz .LBB6_6050
; %bb.6047:                             ;   in Loop: Header=BB6_6046 Depth=2
	v_cmp_eq_u32_sdwa vcc, v14, s71 src0_sel:BYTE_0 src1_sel:DWORD
	s_and_b64 vcc, exec, vcc
	s_brev_b32 s56, 1
	s_cbranch_vccnz .LBB6_6051
; %bb.6048:                             ;   in Loop: Header=BB6_6046 Depth=2
	s_and_b32 vcc_lo, s18, 0x7f
	s_cmpk_eq_i32 vcc_lo, 0x7f
	s_mov_b32 s56, 0x7f800001
	s_cbranch_scc1 .LBB6_6051
; %bb.6049:                             ;   in Loop: Header=BB6_6046 Depth=2
	s_and_b32 vcc_hi, s18, 7
	s_flbit_i32_b32 vcc_hi, vcc_hi
	s_min_u32 vcc_hi, vcc_hi, 32
	s_lshr_b32 s52, vcc_lo, 3
	s_sub_i32 s53, vcc_hi, 28
	s_sub_i32 vcc_hi, 29, vcc_hi
	s_cmp_lt_u32 vcc_lo, 8
	s_cselect_b32 vcc_lo, s53, 0
	s_cselect_b32 s52, vcc_hi, s52
	s_lshl_b64 vcc, s[18:19], vcc_lo
	s_lshl_b32 s19, vcc_lo, 20
	s_lshl_b32 s18, s18, 24
	s_lshl_b32 vcc_lo, s52, 23
	s_and_b32 s18, s18, 0x80000000
	s_add_i32 vcc_lo, vcc_lo, 0x3c000000
	s_and_b32 s19, s19, 0x700000
	s_or_b32 s18, s18, vcc_lo
	s_or_b32 s56, s18, s19
	s_branch .LBB6_6051
.LBB6_6050:                             ;   in Loop: Header=BB6_6046 Depth=2
	s_mov_b32 s56, 0
.LBB6_6051:                             ;   in Loop: Header=BB6_6046 Depth=2
	flat_load_ubyte v0, v[2:3] glc slc
	v_mov_b32_e32 v4, 0
	s_waitcnt vmcnt(0) lgkmcnt(0)
	v_cmp_ne_u16_e32 vcc, 0, v0
	s_and_saveexec_b64 s[18:19], vcc
	s_cbranch_execz .LBB6_6057
; %bb.6052:                             ;   in Loop: Header=BB6_6046 Depth=2
	v_cmp_ne_u16_e32 vcc, s71, v0
	v_bfrev_b32_e32 v4, 1
	s_and_saveexec_b64 s[52:53], vcc
	s_cbranch_execz .LBB6_6056
; %bb.6053:                             ;   in Loop: Header=BB6_6046 Depth=2
	v_and_b32_e32 v14, 0xffff, v0
	v_and_b32_e32 v5, 0x7f, v14
	v_cmp_ne_u32_e32 vcc, s69, v5
	v_mov_b32_e32 v4, 0x7f800001
	s_and_saveexec_b64 s[54:55], vcc
	s_cbranch_execz .LBB6_6055
; %bb.6054:                             ;   in Loop: Header=BB6_6046 Depth=2
	v_and_b32_e32 v4, 7, v14
	v_ffbh_u32_e32 v6, v4
	v_min_u32_e32 v9, 32, v6
	v_subrev_u32_e32 v6, 28, v9
	v_lshlrev_b64 v[6:7], v6, v[14:15]
	v_lshrrev_b32_e32 v8, 3, v5
	v_sub_u32_e32 v7, 29, v9
	v_and_b32_e32 v6, 7, v6
	v_cmp_gt_u32_e32 vcc, 8, v5
	v_cndmask_b32_e32 v5, v8, v7, vcc
	v_cndmask_b32_e32 v4, v4, v6, vcc
	v_lshlrev_b32_e32 v0, 24, v0
	v_lshlrev_b32_e32 v4, 20, v4
	v_and_b32_e32 v0, 0x80000000, v0
	v_lshl_add_u32 v5, v5, 23, v21
	v_or3_b32 v4, v0, v5, v4
.LBB6_6055:                             ;   in Loop: Header=BB6_6046 Depth=2
	s_or_b64 exec, exec, s[54:55]
.LBB6_6056:                             ;   in Loop: Header=BB6_6046 Depth=2
	s_or_b64 exec, exec, s[52:53]
.LBB6_6057:                             ;   in Loop: Header=BB6_6046 Depth=2
	s_or_b64 exec, exec, s[18:19]
	v_mul_f32_e32 v5, s56, v4
	v_and_b32_sdwa v4, v5, s71 dst_sel:DWORD dst_unused:UNUSED_PAD src0_sel:BYTE_3 src1_sel:DWORD
	v_and_b32_e32 v6, 0x7f800000, v5
	v_mov_b32_e32 v7, v37
	v_and_b32_e32 v36, 0x7fffff, v5
	v_or_b32_e32 v0, 0x7e, v4
	v_cmp_ne_u64_e32 vcc, s[38:39], v[6:7]
	s_and_saveexec_b64 s[18:19], vcc
	s_xor_b64 s[52:53], exec, s[18:19]
	s_cbranch_execz .LBB6_6071
; %bb.6058:                             ;   in Loop: Header=BB6_6046 Depth=2
	v_and_b32_e32 v6, 0x7fffffff, v5
	v_mov_b32_e32 v7, v37
	v_cmp_gt_u64_e32 vcc, s[40:41], v[6:7]
	s_and_saveexec_b64 s[18:19], vcc
	s_xor_b64 s[54:55], exec, s[18:19]
	s_cbranch_execz .LBB6_6070
; %bb.6059:                             ;   in Loop: Header=BB6_6046 Depth=2
	v_cmp_ne_u32_e32 vcc, 0, v5
	v_mov_b32_e32 v0, 0
	s_and_saveexec_b64 s[56:57], vcc
	s_cbranch_execz .LBB6_6069
; %bb.6060:                             ;   in Loop: Header=BB6_6046 Depth=2
	v_bfe_u32 v0, v5, 23, 8
	v_sub_u32_e32 v6, 0x79, v0
	v_cmp_gt_u32_e32 vcc, s72, v0
	v_add_u32_e32 v5, 0xffffff81, v0
	v_cndmask_b32_e32 v6, 0, v6, vcc
	v_cmp_eq_u32_e32 vcc, 0, v0
	v_mov_b32_e32 v0, 0xffffff82
	v_cndmask_b32_e32 v0, v5, v0, vcc
	v_mov_b32_e32 v5, 0x78
	v_cndmask_b32_e32 v5, v6, v5, vcc
	v_or_b32_e32 v7, 0x800000, v36
	v_add_u32_e32 v6, 20, v5
	v_cndmask_b32_e32 v36, v7, v36, vcc
	v_lshlrev_b64 v[6:7], v6, -1
	v_not_b32_e32 v6, v6
	v_and_b32_e32 v8, v36, v6
	v_add_u32_e32 v6, 19, v5
	v_lshrrev_b64 v[16:17], v5, v[36:37]
	v_not_b32_e32 v7, v7
	v_lshlrev_b64 v[14:15], v6, 1
	v_lshrrev_b32_e32 v6, 23, v16
	v_and_b32_e32 v9, 0, v7
	v_add3_u32 v6, v5, v0, v6
	v_bfe_u32 v5, v16, 20, 1
	v_add_u32_e32 v5, -1, v5
	v_cmp_eq_u64_e32 vcc, v[8:9], v[14:15]
	v_cndmask_b32_e32 v5, 0, v5, vcc
	v_add_u32_e32 v5, v5, v16
	v_and_b32_e32 v5, 0xfffff, v5
	v_add_co_u32_e32 v14, vcc, v5, v16
	v_add_u32_e32 v0, 6, v6
	v_addc_co_u32_e32 v15, vcc, 0, v17, vcc
	v_cmp_ne_u32_e32 vcc, 0, v0
                                        ; implicit-def: $vgpr5
	s_and_saveexec_b64 s[18:19], vcc
	s_xor_b64 s[18:19], exec, s[18:19]
; %bb.6061:                             ;   in Loop: Header=BB6_6046 Depth=2
	v_add_u32_e32 v5, 7, v6
	v_cmp_lt_u64_e32 vcc, s[44:45], v[14:15]
	v_cndmask_b32_e32 v5, v0, v5, vcc
	v_cndmask_b32_e64 v0, 0, 1, vcc
	v_lshrrev_b64 v[14:15], v0, v[14:15]
; %bb.6062:                             ;   in Loop: Header=BB6_6046 Depth=2
	s_andn2_saveexec_b64 s[18:19], s[18:19]
; %bb.6063:                             ;   in Loop: Header=BB6_6046 Depth=2
	v_bfe_u32 v5, v14, 23, 1
; %bb.6064:                             ;   in Loop: Header=BB6_6046 Depth=2
	s_or_b64 exec, exec, s[18:19]
	v_lshrrev_b64 v[6:7], 20, v[14:15]
	v_cmp_gt_i32_e32 vcc, 16, v5
	v_cndmask_b32_e32 v15, 0, v7, vcc
	v_cndmask_b32_e32 v14, 7, v6, vcc
	v_cmp_ne_u32_e32 vcc, 0, v5
	v_cmp_ne_u64_e64 s[18:19], 0, v[14:15]
	s_or_b64 s[18:19], vcc, s[18:19]
                                        ; implicit-def: $vgpr0
	s_and_saveexec_b64 vcc, s[18:19]
	s_xor_b64 s[18:19], exec, vcc
; %bb.6065:                             ;   in Loop: Header=BB6_6046 Depth=2
	v_min_i32_e32 v0, 15, v5
	v_lshl_or_b32 v0, v0, 3, v4
	v_and_or_b32 v0, v14, 7, v0
                                        ; implicit-def: $vgpr4
; %bb.6066:                             ;   in Loop: Header=BB6_6046 Depth=2
	s_andn2_saveexec_b64 s[18:19], s[18:19]
; %bb.6067:                             ;   in Loop: Header=BB6_6046 Depth=2
	v_mov_b32_e32 v0, v4
; %bb.6068:                             ;   in Loop: Header=BB6_6046 Depth=2
	s_or_b64 exec, exec, s[18:19]
.LBB6_6069:                             ;   in Loop: Header=BB6_6046 Depth=2
	s_or_b64 exec, exec, s[56:57]
.LBB6_6070:                             ;   in Loop: Header=BB6_6046 Depth=2
	s_andn2_saveexec_b64 s[18:19], s[54:55]
	s_or_b64 exec, exec, s[18:19]
                                        ; implicit-def: $vgpr5
.LBB6_6071:                             ;   in Loop: Header=BB6_6046 Depth=2
	s_andn2_saveexec_b64 s[18:19], s[52:53]
; %bb.6072:                             ;   in Loop: Header=BB6_6046 Depth=2
	v_or_b32_sdwa v4, v5, s69 dst_sel:DWORD dst_unused:UNUSED_PAD src0_sel:BYTE_3 src1_sel:DWORD
	v_cmp_eq_u64_e32 vcc, 0, v[36:37]
	v_cndmask_b32_e32 v0, v4, v0, vcc
; %bb.6073:                             ;   in Loop: Header=BB6_6046 Depth=2
	s_or_b64 exec, exec, s[18:19]
	flat_load_ubyte v5, v[10:11] glc slc
	v_and_b32_e32 v14, 0xff, v0
	v_cmp_ne_u16_e32 vcc, 0, v14
	v_mov_b32_e32 v4, 0
	v_mov_b32_e32 v6, 0
	s_and_saveexec_b64 s[18:19], vcc
	s_cbranch_execz .LBB6_6079
; %bb.6074:                             ;   in Loop: Header=BB6_6046 Depth=2
	v_cmp_ne_u16_e32 vcc, s71, v14
	v_bfrev_b32_e32 v6, 1
	s_and_saveexec_b64 s[52:53], vcc
	s_cbranch_execz .LBB6_6078
; %bb.6075:                             ;   in Loop: Header=BB6_6046 Depth=2
	v_and_b32_e32 v7, 0x7f, v0
	v_cmp_ne_u32_e32 vcc, s69, v7
	v_mov_b32_e32 v6, 0x7f800001
	s_and_saveexec_b64 s[54:55], vcc
	s_cbranch_execz .LBB6_6077
; %bb.6076:                             ;   in Loop: Header=BB6_6046 Depth=2
	v_and_b32_e32 v6, 7, v14
	v_ffbh_u32_e32 v8, v6
	v_min_u32_e32 v16, 32, v8
	v_lshrrev_b32_e32 v15, 3, v7
	v_subrev_u32_e32 v8, 28, v16
	v_lshlrev_b64 v[8:9], v8, v[14:15]
	v_sub_u32_e32 v9, 29, v16
	v_and_b32_e32 v8, 7, v8
	v_cmp_gt_u32_e32 vcc, 8, v7
	v_cndmask_b32_e32 v7, v15, v9, vcc
	v_cndmask_b32_e32 v6, v6, v8, vcc
	v_lshlrev_b32_e32 v0, 24, v0
	v_lshlrev_b32_e32 v6, 20, v6
	v_and_b32_e32 v0, 0x80000000, v0
	v_lshl_add_u32 v7, v7, 23, v21
	v_or3_b32 v6, v0, v7, v6
.LBB6_6077:                             ;   in Loop: Header=BB6_6046 Depth=2
	s_or_b64 exec, exec, s[54:55]
.LBB6_6078:                             ;   in Loop: Header=BB6_6046 Depth=2
	s_or_b64 exec, exec, s[52:53]
.LBB6_6079:                             ;   in Loop: Header=BB6_6046 Depth=2
	s_or_b64 exec, exec, s[18:19]
	s_waitcnt vmcnt(0) lgkmcnt(0)
	v_and_b32_e32 v14, 0xff, v5
	v_cmp_ne_u16_e32 vcc, 0, v14
	s_and_saveexec_b64 s[18:19], vcc
	s_cbranch_execz .LBB6_6085
; %bb.6080:                             ;   in Loop: Header=BB6_6046 Depth=2
	v_cmp_ne_u16_e32 vcc, s71, v14
	v_bfrev_b32_e32 v4, 1
	s_and_saveexec_b64 s[52:53], vcc
	s_cbranch_execz .LBB6_6084
; %bb.6081:                             ;   in Loop: Header=BB6_6046 Depth=2
	v_and_b32_e32 v0, 0x7f, v5
	v_cmp_ne_u32_e32 vcc, s69, v0
	v_mov_b32_e32 v4, 0x7f800001
	s_and_saveexec_b64 s[54:55], vcc
	s_cbranch_execz .LBB6_6083
; %bb.6082:                             ;   in Loop: Header=BB6_6046 Depth=2
	v_and_b32_e32 v7, 7, v14
	v_lshlrev_b32_e32 v4, 24, v5
	v_and_b32_e32 v9, 0x80000000, v4
	v_ffbh_u32_e32 v4, v7
	v_min_u32_e32 v15, 32, v4
	v_subrev_u32_e32 v4, 28, v15
	v_lshlrev_b64 v[4:5], v4, v[14:15]
	v_lshrrev_b32_e32 v8, 3, v0
	v_sub_u32_e32 v5, 29, v15
	v_and_b32_e32 v4, 7, v4
	v_cmp_gt_u32_e32 vcc, 8, v0
	v_cndmask_b32_e32 v0, v8, v5, vcc
	v_cndmask_b32_e32 v4, v7, v4, vcc
	v_lshlrev_b32_e32 v4, 20, v4
	v_lshl_add_u32 v0, v0, 23, v21
	v_or3_b32 v4, v9, v0, v4
.LBB6_6083:                             ;   in Loop: Header=BB6_6046 Depth=2
	s_or_b64 exec, exec, s[54:55]
.LBB6_6084:                             ;   in Loop: Header=BB6_6046 Depth=2
	s_or_b64 exec, exec, s[52:53]
.LBB6_6085:                             ;   in Loop: Header=BB6_6046 Depth=2
	s_or_b64 exec, exec, s[18:19]
	v_add_f32_e32 v5, v6, v4
	v_and_b32_sdwa v0, v5, s71 dst_sel:DWORD dst_unused:UNUSED_PAD src0_sel:BYTE_3 src1_sel:DWORD
	v_and_b32_e32 v6, 0x7f800000, v5
	v_mov_b32_e32 v7, v37
	v_and_b32_e32 v36, 0x7fffff, v5
	v_or_b32_e32 v4, 0x7e, v0
	v_cmp_ne_u64_e32 vcc, s[38:39], v[6:7]
	s_and_saveexec_b64 s[18:19], vcc
	s_xor_b64 s[52:53], exec, s[18:19]
	s_cbranch_execz .LBB6_6099
; %bb.6086:                             ;   in Loop: Header=BB6_6046 Depth=2
	v_and_b32_e32 v6, 0x7fffffff, v5
	v_mov_b32_e32 v7, v37
	v_cmp_gt_u64_e32 vcc, s[40:41], v[6:7]
	s_and_saveexec_b64 s[18:19], vcc
	s_xor_b64 s[54:55], exec, s[18:19]
	s_cbranch_execz .LBB6_6098
; %bb.6087:                             ;   in Loop: Header=BB6_6046 Depth=2
	v_cmp_ne_u32_e32 vcc, 0, v5
	v_mov_b32_e32 v4, 0
	s_and_saveexec_b64 s[56:57], vcc
	s_cbranch_execz .LBB6_6097
; %bb.6088:                             ;   in Loop: Header=BB6_6046 Depth=2
	v_bfe_u32 v4, v5, 23, 8
	v_sub_u32_e32 v6, 0x79, v4
	v_cmp_gt_u32_e32 vcc, s72, v4
	v_add_u32_e32 v5, 0xffffff81, v4
	v_cndmask_b32_e32 v6, 0, v6, vcc
	v_cmp_eq_u32_e32 vcc, 0, v4
	v_mov_b32_e32 v4, 0xffffff82
	v_cndmask_b32_e32 v18, v5, v4, vcc
	v_mov_b32_e32 v4, 0x78
	v_cndmask_b32_e32 v6, v6, v4, vcc
	v_add_u32_e32 v4, 20, v6
	v_or_b32_e32 v7, 0x800000, v36
	v_lshlrev_b64 v[4:5], v4, -1
	v_cndmask_b32_e32 v36, v7, v36, vcc
	v_not_b32_e32 v4, v4
	v_not_b32_e32 v5, v5
	v_and_b32_e32 v8, v36, v4
	v_add_u32_e32 v4, 19, v6
	v_lshrrev_b64 v[16:17], v6, v[36:37]
	v_and_b32_e32 v9, 0, v5
	v_lshlrev_b64 v[14:15], v4, 1
	v_bfe_u32 v5, v16, 20, 1
	v_add_u32_e32 v5, -1, v5
	v_cmp_eq_u64_e32 vcc, v[8:9], v[14:15]
	v_cndmask_b32_e32 v5, 0, v5, vcc
	v_add_u32_e32 v5, v5, v16
	v_lshrrev_b32_e32 v4, 23, v16
	v_and_b32_e32 v5, 0xfffff, v5
	v_add3_u32 v6, v6, v18, v4
	v_add_co_u32_e32 v14, vcc, v5, v16
	v_add_u32_e32 v4, 6, v6
	v_addc_co_u32_e32 v15, vcc, 0, v17, vcc
	v_cmp_ne_u32_e32 vcc, 0, v4
                                        ; implicit-def: $vgpr5
	s_and_saveexec_b64 s[18:19], vcc
	s_xor_b64 s[18:19], exec, s[18:19]
; %bb.6089:                             ;   in Loop: Header=BB6_6046 Depth=2
	v_add_u32_e32 v5, 7, v6
	v_cmp_lt_u64_e32 vcc, s[44:45], v[14:15]
	v_cndmask_b32_e32 v5, v4, v5, vcc
	v_cndmask_b32_e64 v4, 0, 1, vcc
	v_lshrrev_b64 v[14:15], v4, v[14:15]
; %bb.6090:                             ;   in Loop: Header=BB6_6046 Depth=2
	s_andn2_saveexec_b64 s[18:19], s[18:19]
; %bb.6091:                             ;   in Loop: Header=BB6_6046 Depth=2
	v_bfe_u32 v5, v14, 23, 1
; %bb.6092:                             ;   in Loop: Header=BB6_6046 Depth=2
	s_or_b64 exec, exec, s[18:19]
	v_lshrrev_b64 v[6:7], 20, v[14:15]
	v_cmp_gt_i32_e32 vcc, 16, v5
	v_cndmask_b32_e32 v15, 0, v7, vcc
	v_cndmask_b32_e32 v14, 7, v6, vcc
	v_cmp_ne_u32_e32 vcc, 0, v5
	v_cmp_ne_u64_e64 s[18:19], 0, v[14:15]
	s_or_b64 s[18:19], vcc, s[18:19]
                                        ; implicit-def: $vgpr4
	s_and_saveexec_b64 vcc, s[18:19]
	s_xor_b64 s[18:19], exec, vcc
; %bb.6093:                             ;   in Loop: Header=BB6_6046 Depth=2
	v_min_i32_e32 v4, 15, v5
	v_lshl_or_b32 v0, v4, 3, v0
	v_and_or_b32 v4, v14, 7, v0
                                        ; implicit-def: $vgpr0
; %bb.6094:                             ;   in Loop: Header=BB6_6046 Depth=2
	s_andn2_saveexec_b64 s[18:19], s[18:19]
; %bb.6095:                             ;   in Loop: Header=BB6_6046 Depth=2
	v_mov_b32_e32 v4, v0
; %bb.6096:                             ;   in Loop: Header=BB6_6046 Depth=2
	s_or_b64 exec, exec, s[18:19]
.LBB6_6097:                             ;   in Loop: Header=BB6_6046 Depth=2
	s_or_b64 exec, exec, s[56:57]
.LBB6_6098:                             ;   in Loop: Header=BB6_6046 Depth=2
	s_andn2_saveexec_b64 s[18:19], s[54:55]
	s_or_b64 exec, exec, s[18:19]
                                        ; implicit-def: $vgpr5
.LBB6_6099:                             ;   in Loop: Header=BB6_6046 Depth=2
	s_andn2_saveexec_b64 s[18:19], s[52:53]
	s_cbranch_execz .LBB6_6045
; %bb.6100:                             ;   in Loop: Header=BB6_6046 Depth=2
	v_or_b32_sdwa v0, v5, s69 dst_sel:DWORD dst_unused:UNUSED_PAD src0_sel:BYTE_3 src1_sel:DWORD
	v_cmp_eq_u64_e32 vcc, 0, v[36:37]
	v_cndmask_b32_e32 v4, v0, v4, vcc
	s_branch .LBB6_6045
.LBB6_6101:                             ;   in Loop: Header=BB6_3118 Depth=1
	s_or_b64 exec, exec, s[20:21]
	v_accvgpr_read_b32 v0, a44
	v_cmp_ne_u32_e64 s[18:19], 0, v0
	v_accvgpr_read_b32 v8, a43
.LBB6_6102:                             ;   in Loop: Header=BB6_3118 Depth=1
	s_and_saveexec_b64 s[20:21], s[10:11]
	s_cbranch_execz .LBB6_6121
; %bb.6103:                             ;   in Loop: Header=BB6_3118 Depth=1
	s_and_saveexec_b64 vcc, s[30:31]
	s_xor_b64 s[50:51], exec, vcc
	s_cbranch_execz .LBB6_6118
; %bb.6104:                             ;   in Loop: Header=BB6_3118 Depth=1
	s_and_saveexec_b64 s[52:53], s[12:13]
	s_cbranch_execz .LBB6_6117
; %bb.6105:                             ;   in Loop: Header=BB6_3118 Depth=1
	s_mov_b64 s[56:57], exec
	v_mbcnt_lo_u32_b32 v0, s56, 0
	v_mbcnt_hi_u32_b32 v0, s57, v0
	v_cmp_eq_u32_e32 vcc, 0, v0
	s_waitcnt vmcnt(0) lgkmcnt(0)
	buffer_wbinvl1_vol
	s_and_saveexec_b64 s[54:55], vcc
	s_cbranch_execz .LBB6_6107
; %bb.6106:                             ;   in Loop: Header=BB6_3118 Depth=1
	s_bcnt1_i32_b64 vcc_lo, s[56:57]
	v_mov_b32_e32 v36, vcc_lo
	ds_add_u64 v0, v[36:37]
	s_trap 2
.LBB6_6107:                             ;   in Loop: Header=BB6_3118 Depth=1
	s_or_b64 exec, exec, s[54:55]
	s_trap 2
	ds_read_b64 v[0:1], v0
	v_accvgpr_read_b32 v2, a26
	v_accvgpr_read_b32 v4, a30
	;; [unrolled: 1-line block ×3, first 2 shown]
	v_add_co_u32_e32 v2, vcc, v2, v4
	v_addc_co_u32_e32 v3, vcc, 0, v3, vcc
	v_accvgpr_write_b32 a27, v3
	v_accvgpr_write_b32 a26, v2
	s_waitcnt lgkmcnt(0)
	v_cmp_lt_u64_e32 vcc, v[0:1], v[2:3]
	s_and_saveexec_b64 s[54:55], vcc
	s_cbranch_execz .LBB6_6116
; %bb.6108:                             ;   in Loop: Header=BB6_3118 Depth=1
	s_mov_b32 s76, 0
	s_mov_b64 s[56:57], 0
                                        ; implicit-def: $sgpr58_sgpr59
                                        ; implicit-def: $sgpr60_sgpr61
	s_branch .LBB6_6110
.LBB6_6109:                             ;   in Loop: Header=BB6_6110 Depth=2
	s_or_b64 exec, exec, s[64:65]
	s_and_b64 vcc, exec, vcc
	s_or_b64 s[56:57], vcc, s[56:57]
	s_andn2_b64 vcc, s[58:59], exec
	s_and_b64 s[58:59], s[60:61], exec
	s_or_b64 s[58:59], vcc, s[58:59]
	s_andn2_b64 exec, exec, s[56:57]
	s_cbranch_execz .LBB6_6114
.LBB6_6110:                             ;   Parent Loop BB6_3118 Depth=1
                                        ; =>  This Inner Loop Header: Depth=2
	s_add_i32 s76, s76, 1
	s_cmpk_lg_i32 s76, 0x2710
	s_cselect_b64 s[62:63], -1, 0
	s_and_b64 vcc, exec, s[62:63]
                                        ; implicit-def: $sgpr64_sgpr65
	s_cbranch_vccnz .LBB6_6112
; %bb.6111:                             ;   in Loop: Header=BB6_6110 Depth=2
	s_trap 2
	ds_read_b64 v[0:1], v0
	s_andn2_b64 s[62:63], s[62:63], exec
	s_mov_b32 s76, 0
	s_mov_b64 s[64:65], -1
	s_waitcnt lgkmcnt(0)
	flat_load_dword v0, v[0:1] glc
	s_waitcnt vmcnt(0) lgkmcnt(0)
	buffer_invl2
	buffer_wbinvl1_vol
	v_cmp_eq_u32_e32 vcc, 0, v0
	s_and_b64 vcc, vcc, exec
	s_or_b64 s[62:63], s[62:63], vcc
.LBB6_6112:                             ;   in Loop: Header=BB6_6110 Depth=2
	s_andn2_b64 s[60:61], s[60:61], exec
	s_and_b64 s[64:65], s[64:65], exec
	s_mov_b64 vcc, -1
	s_or_b64 s[60:61], s[60:61], s[64:65]
	s_and_saveexec_b64 s[64:65], s[62:63]
	s_cbranch_execz .LBB6_6109
; %bb.6113:                             ;   in Loop: Header=BB6_6110 Depth=2
	s_sleep 1
	s_trap 2
	ds_read_b64 v[0:1], v0
	v_accvgpr_read_b32 v2, a26
	v_accvgpr_read_b32 v3, a27
	s_andn2_b64 s[60:61], s[60:61], exec
	s_waitcnt lgkmcnt(0)
	v_cmp_ge_u64_e32 vcc, v[0:1], v[2:3]
	s_orn2_b64 vcc, vcc, exec
	s_branch .LBB6_6109
.LBB6_6114:                             ;   in Loop: Header=BB6_3118 Depth=1
	s_or_b64 exec, exec, s[56:57]
	s_and_saveexec_b64 vcc, s[58:59]
	s_xor_b64 vcc, exec, vcc
	s_cbranch_execz .LBB6_6116
; %bb.6115:                             ;   in Loop: Header=BB6_3118 Depth=1
	v_mov_b32_e32 v0, 1
	ds_write_b32 v0, v0
	s_trap 2
.LBB6_6116:                             ;   in Loop: Header=BB6_3118 Depth=1
	s_or_b64 exec, exec, s[54:55]
	;;#ASMSTART
	s_wakeup
	;;#ASMEND
.LBB6_6117:                             ;   in Loop: Header=BB6_3118 Depth=1
	s_or_b64 exec, exec, s[52:53]
.LBB6_6118:                             ;   in Loop: Header=BB6_3118 Depth=1
	s_andn2_saveexec_b64 vcc, s[50:51]
	s_cbranch_execz .LBB6_6120
; %bb.6119:                             ;   in Loop: Header=BB6_3118 Depth=1
	s_waitcnt vmcnt(0) lgkmcnt(0)
	buffer_wbinvl1_vol
	s_barrier
.LBB6_6120:                             ;   in Loop: Header=BB6_3118 Depth=1
	s_or_b64 exec, exec, vcc
.LBB6_6121:                             ;   in Loop: Header=BB6_3118 Depth=1
	s_or_b64 exec, exec, s[20:21]
	v_accvgpr_read_b32 v0, a4
	v_and_b32_e32 v0, 16, v0
	v_cmp_ne_u32_e32 vcc, 0, v0
	s_and_b64 s[20:21], vcc, s[18:19]
	s_and_saveexec_b64 s[18:19], s[20:21]
	s_cbranch_execz .LBB6_6123
; %bb.6122:                             ;   in Loop: Header=BB6_3118 Depth=1
	s_waitcnt vmcnt(0) lgkmcnt(0)
	buffer_wbinvl1_vol
.LBB6_6123:                             ;   in Loop: Header=BB6_3118 Depth=1
	s_or_b64 exec, exec, s[18:19]
	v_accvgpr_read_b32 v0, a4
	v_and_b32_e32 v0, 32, v0
	v_cmp_ne_u32_e32 vcc, 0, v0
	s_and_saveexec_b64 s[18:19], vcc
	s_cbranch_execz .LBB6_6125
; %bb.6124:                             ;   in Loop: Header=BB6_3118 Depth=1
	v_accvgpr_read_b32 v0, a14
	v_accvgpr_read_b32 v2, a16
	;; [unrolled: 1-line block ×3, first 2 shown]
	v_add_co_u32_e32 v2, vcc, 1, v2
	v_addc_co_u32_e32 v3, vcc, 0, v3, vcc
	v_accvgpr_read_b32 v1, a15
	v_accvgpr_write_b32 a17, v3
	v_accvgpr_write_b32 a16, v2
	;; [unrolled: 1-line block ×4, first 2 shown]
	v_accvgpr_read_b32 v0, a18
	v_accvgpr_read_b32 v1, a19
	flat_store_dwordx2 v[0:1], v[2:3]
.LBB6_6125:                             ;   in Loop: Header=BB6_3118 Depth=1
	s_or_b64 exec, exec, s[18:19]
	v_mov_b32_e32 v0, v8
.LBB6_6126:                             ;   in Loop: Header=BB6_3118 Depth=1
	s_or_b64 exec, exec, s[48:49]
	s_and_saveexec_b64 s[20:21], s[46:47]
	s_cbranch_execz .LBB6_3117
; %bb.6127:                             ;   in Loop: Header=BB6_3118 Depth=1
	v_accvgpr_read_b32 v1, a4
	v_and_b32_e32 v1, 4, v1
	v_cmp_ne_u32_e32 vcc, 0, v1
	s_mov_b64 s[46:47], -1
	s_and_saveexec_b64 s[18:19], vcc
	s_cbranch_execnz .LBB6_6130
; %bb.6128:                             ;   in Loop: Header=BB6_3118 Depth=1
	s_or_b64 exec, exec, s[18:19]
	s_xor_b64 s[18:19], s[46:47], -1
	s_and_saveexec_b64 s[46:47], s[18:19]
	s_cbranch_execnz .LBB6_6141
.LBB6_6129:                             ;   in Loop: Header=BB6_3118 Depth=1
	s_or_b64 exec, exec, s[46:47]
	s_and_saveexec_b64 s[18:19], s[10:11]
	s_cbranch_execnz .LBB6_6150
	s_branch .LBB6_6168
.LBB6_6130:                             ;   in Loop: Header=BB6_3118 Depth=1
	v_accvgpr_read_b32 v2, a14
	v_accvgpr_read_b32 v4, a16
	;; [unrolled: 1-line block ×4, first 2 shown]
	v_add_co_u32_e32 v2, vcc, 1, v4
	v_addc_co_u32_e32 v3, vcc, 0, v5, vcc
	v_accvgpr_read_b32 v4, a24
	v_accvgpr_read_b32 v5, a25
	v_cmp_lt_u64_e32 vcc, v[4:5], v[2:3]
	v_mov_b32_e32 v1, 1
	s_and_saveexec_b64 s[46:47], vcc
	s_cbranch_execz .LBB6_6140
; %bb.6131:                             ;   in Loop: Header=BB6_3118 Depth=1
	s_mov_b64 s[48:49], 0
	v_mov_b32_e32 v1, 0
                                        ; implicit-def: $sgpr50_sgpr51
	s_branch .LBB6_6135
.LBB6_6132:                             ;   in Loop: Header=BB6_6135 Depth=2
	s_or_b64 exec, exec, s[58:59]
	v_mov_b32_e32 v4, 0
	s_orn2_b64 s[56:57], s[56:57], exec
.LBB6_6133:                             ;   in Loop: Header=BB6_6135 Depth=2
	s_or_b64 exec, exec, s[54:55]
	s_andn2_b64 vcc, s[50:51], exec
	s_and_b64 s[50:51], s[56:57], exec
	s_or_b64 s[50:51], vcc, s[50:51]
	v_mov_b32_e32 v1, v4
.LBB6_6134:                             ;   in Loop: Header=BB6_6135 Depth=2
	s_or_b64 exec, exec, s[52:53]
	s_waitcnt vmcnt(0) lgkmcnt(0)
	v_accvgpr_read_b32 v4, a24
	v_accvgpr_read_b32 v5, a25
	v_cmp_ge_u64_e32 vcc, v[4:5], v[2:3]
	s_xor_b64 s[52:53], s[50:51], -1
	s_or_b64 vcc, s[52:53], vcc
	s_and_b64 vcc, exec, vcc
	s_or_b64 s[48:49], vcc, s[48:49]
	s_andn2_b64 exec, exec, s[48:49]
	s_cbranch_execz .LBB6_6139
.LBB6_6135:                             ;   Parent Loop BB6_3118 Depth=1
                                        ; =>  This Inner Loop Header: Depth=2
	v_accvgpr_read_b32 v4, a18
	v_accvgpr_read_b32 v5, a19
	s_sleep 1
	flat_load_dwordx2 a[24:25], v[4:5] glc
	v_accvgpr_read_b32 v4, a4
	v_and_b32_e32 v4, 64, v4
	v_cmp_eq_u32_e32 vcc, 0, v4
	s_andn2_b64 s[50:51], s[50:51], exec
	s_and_saveexec_b64 s[52:53], vcc
	s_cbranch_execz .LBB6_6134
; %bb.6136:                             ;   in Loop: Header=BB6_6135 Depth=2
	v_add_u32_e32 v4, 1, v1
	v_cmp_lt_i32_e32 vcc, s68, v1
	s_mov_b64 s[56:57], -1
	s_and_saveexec_b64 s[54:55], vcc
	s_cbranch_execz .LBB6_6133
; %bb.6137:                             ;   in Loop: Header=BB6_6135 Depth=2
	s_trap 2
	ds_read_b64 v[4:5], v0
	s_waitcnt vmcnt(0) lgkmcnt(0)
	flat_load_dword v1, v[4:5] glc
	s_waitcnt vmcnt(0) lgkmcnt(0)
	buffer_invl2
	buffer_wbinvl1_vol
	v_cmp_ne_u32_e32 vcc, 0, v1
	s_and_saveexec_b64 s[58:59], vcc
	s_cbranch_execz .LBB6_6132
; %bb.6138:                             ;   in Loop: Header=BB6_6135 Depth=2
	v_accvgpr_read_b32 v4, a4
	v_or_b32_e32 v4, 64, v4
	v_accvgpr_write_b32 a4, v4
	s_xor_b64 s[56:57], exec, -1
	ds_write_b32 v0, v1
	s_trap 2
	s_branch .LBB6_6132
.LBB6_6139:                             ;   in Loop: Header=BB6_3118 Depth=1
	s_or_b64 exec, exec, s[48:49]
	v_accvgpr_read_b32 v1, a4
	v_and_b32_e32 v1, 4, v1
.LBB6_6140:                             ;   in Loop: Header=BB6_3118 Depth=1
	s_or_b64 exec, exec, s[46:47]
	v_cmp_eq_u32_e32 vcc, 0, v1
	s_orn2_b64 s[46:47], vcc, exec
	;;#ASMSTART
	s_wakeup
	;;#ASMEND
	s_or_b64 exec, exec, s[18:19]
	s_xor_b64 s[18:19], s[46:47], -1
	s_and_saveexec_b64 s[46:47], s[18:19]
	s_cbranch_execz .LBB6_6129
.LBB6_6141:                             ;   in Loop: Header=BB6_3118 Depth=1
	v_accvgpr_read_b32 v1, a4
	v_accvgpr_read_b32 v2, a14
	v_and_b32_e32 v1, 0x100, v1
	v_accvgpr_read_b32 v4, a16
	v_cmp_ne_u32_e32 vcc, 0, v1
	v_accvgpr_read_b32 v3, a15
	v_and_b32_e32 v1, 7, v4
	s_mov_b64 s[18:19], -1
	v_accvgpr_read_b32 v5, a17
                                        ; implicit-def: $vgpr2_vgpr3
	s_and_saveexec_b64 s[48:49], vcc
	s_cbranch_execz .LBB6_6145
; %bb.6142:                             ;   in Loop: Header=BB6_3118 Depth=1
	v_accvgpr_read_b32 v2, a14
	v_accvgpr_read_b32 v3, a15
	v_mad_u64_u32 v[10:11], s[18:19], v1, 24, v[2:3]
	flat_load_dword v2, v[10:11]
	v_accvgpr_read_b32 v4, a16
	v_accvgpr_read_b32 v5, a17
	s_waitcnt vmcnt(0) lgkmcnt(0)
	v_cmp_ne_u32_e32 vcc, 1, v2
	v_cmp_eq_u32_e64 s[18:19], 1, v2
                                        ; implicit-def: $vgpr2_vgpr3
	s_and_saveexec_b64 s[50:51], s[18:19]
	s_cbranch_execz .LBB6_6144
; %bb.6143:                             ;   in Loop: Header=BB6_3118 Depth=1
	flat_load_dword v2, v[10:11] offset:4 glc
	s_waitcnt vmcnt(0) lgkmcnt(0)
	v_ashrrev_i32_e32 v3, 31, v2
.LBB6_6144:                             ;   in Loop: Header=BB6_3118 Depth=1
	s_or_b64 exec, exec, s[50:51]
	s_orn2_b64 s[18:19], vcc, exec
.LBB6_6145:                             ;   in Loop: Header=BB6_3118 Depth=1
	s_or_b64 exec, exec, s[48:49]
	s_and_saveexec_b64 vcc, s[18:19]
; %bb.6146:                             ;   in Loop: Header=BB6_3118 Depth=1
	v_accvgpr_read_b32 v2, a20
	v_mad_i64_i32 v[2:3], s[18:19], v1, v2, 0
; %bb.6147:                             ;   in Loop: Header=BB6_3118 Depth=1
	s_or_b64 exec, exec, vcc
	v_accvgpr_read_b32 v4, a22
	v_accvgpr_read_b32 v5, a23
	v_add_co_u32_e32 v2, vcc, v4, v2
	v_accvgpr_read_b32 v1, a4
	v_addc_co_u32_e32 v3, vcc, v5, v3, vcc
	v_and_b32_e32 v1, 0x2000, v1
	v_cmp_ne_u32_e32 vcc, 0, v1
	ds_write_b64 v0, v[2:3] offset:728
	s_and_saveexec_b64 s[18:19], vcc
	s_cbranch_execz .LBB6_6149
; %bb.6148:                             ;   in Loop: Header=BB6_3118 Depth=1
	ds_read_b64 v[2:3], v0 offset:584
	s_waitcnt lgkmcnt(0)
	v_add_co_u32_e32 v2, vcc, 1, v2
	v_addc_co_u32_e32 v3, vcc, 0, v3, vcc
	ds_write_b64 v0, v[2:3] offset:584
.LBB6_6149:                             ;   in Loop: Header=BB6_3118 Depth=1
	s_or_b64 exec, exec, s[18:19]
	v_accvgpr_read_b32 v2, a14
	v_accvgpr_read_b32 v4, a16
	;; [unrolled: 1-line block ×3, first 2 shown]
	v_add_co_u32_e32 v4, vcc, 1, v4
	v_addc_co_u32_e32 v5, vcc, 0, v5, vcc
	v_accvgpr_read_b32 v3, a15
	v_accvgpr_write_b32 a17, v5
	v_accvgpr_write_b32 a16, v4
	;; [unrolled: 1-line block ×4, first 2 shown]
	s_or_b64 exec, exec, s[46:47]
	s_and_saveexec_b64 s[18:19], s[10:11]
	s_cbranch_execz .LBB6_6168
.LBB6_6150:                             ;   in Loop: Header=BB6_3118 Depth=1
	s_and_saveexec_b64 vcc, s[30:31]
	s_xor_b64 s[46:47], exec, vcc
	s_cbranch_execz .LBB6_6165
; %bb.6151:                             ;   in Loop: Header=BB6_3118 Depth=1
	s_and_saveexec_b64 s[48:49], s[12:13]
	s_cbranch_execz .LBB6_6164
; %bb.6152:                             ;   in Loop: Header=BB6_3118 Depth=1
	s_mov_b64 s[52:53], exec
	v_mbcnt_lo_u32_b32 v1, s52, 0
	v_mbcnt_hi_u32_b32 v1, s53, v1
	v_cmp_eq_u32_e32 vcc, 0, v1
	s_waitcnt vmcnt(0) lgkmcnt(0)
	buffer_wbinvl1_vol
	s_and_saveexec_b64 s[50:51], vcc
	s_cbranch_execz .LBB6_6154
; %bb.6153:                             ;   in Loop: Header=BB6_3118 Depth=1
	s_bcnt1_i32_b64 vcc_lo, s[52:53]
	v_mov_b32_e32 v36, vcc_lo
	ds_add_u64 v0, v[36:37]
	s_trap 2
.LBB6_6154:                             ;   in Loop: Header=BB6_3118 Depth=1
	s_or_b64 exec, exec, s[50:51]
	s_trap 2
	ds_read_b64 v[2:3], v0
	v_accvgpr_read_b32 v4, a26
	v_accvgpr_read_b32 v6, a30
	;; [unrolled: 1-line block ×3, first 2 shown]
	v_add_co_u32_e32 v4, vcc, v4, v6
	v_addc_co_u32_e32 v5, vcc, 0, v5, vcc
	v_accvgpr_write_b32 a27, v5
	v_accvgpr_write_b32 a26, v4
	s_waitcnt lgkmcnt(0)
	v_cmp_lt_u64_e32 vcc, v[2:3], v[4:5]
	s_and_saveexec_b64 s[50:51], vcc
	s_cbranch_execz .LBB6_6163
; %bb.6155:                             ;   in Loop: Header=BB6_3118 Depth=1
	s_mov_b32 s62, 0
	s_mov_b64 s[52:53], 0
                                        ; implicit-def: $sgpr54_sgpr55
                                        ; implicit-def: $sgpr56_sgpr57
	s_branch .LBB6_6157
.LBB6_6156:                             ;   in Loop: Header=BB6_6157 Depth=2
	s_or_b64 exec, exec, s[60:61]
	s_and_b64 vcc, exec, vcc
	s_or_b64 s[52:53], vcc, s[52:53]
	s_andn2_b64 vcc, s[54:55], exec
	s_and_b64 s[54:55], s[56:57], exec
	s_or_b64 s[54:55], vcc, s[54:55]
	s_andn2_b64 exec, exec, s[52:53]
	s_cbranch_execz .LBB6_6161
.LBB6_6157:                             ;   Parent Loop BB6_3118 Depth=1
                                        ; =>  This Inner Loop Header: Depth=2
	s_add_i32 s62, s62, 1
	s_cmpk_lg_i32 s62, 0x2710
	s_cselect_b64 s[58:59], -1, 0
	s_and_b64 vcc, exec, s[58:59]
                                        ; implicit-def: $sgpr60_sgpr61
	s_cbranch_vccnz .LBB6_6159
; %bb.6158:                             ;   in Loop: Header=BB6_6157 Depth=2
	s_trap 2
	ds_read_b64 v[2:3], v0
	s_andn2_b64 s[58:59], s[58:59], exec
	s_mov_b32 s62, 0
	s_mov_b64 s[60:61], -1
	s_waitcnt lgkmcnt(0)
	flat_load_dword v1, v[2:3] glc
	s_waitcnt vmcnt(0) lgkmcnt(0)
	buffer_invl2
	buffer_wbinvl1_vol
	v_cmp_eq_u32_e32 vcc, 0, v1
	s_and_b64 vcc, vcc, exec
	s_or_b64 s[58:59], s[58:59], vcc
.LBB6_6159:                             ;   in Loop: Header=BB6_6157 Depth=2
	s_andn2_b64 s[56:57], s[56:57], exec
	s_and_b64 s[60:61], s[60:61], exec
	s_mov_b64 vcc, -1
	s_or_b64 s[56:57], s[56:57], s[60:61]
	s_and_saveexec_b64 s[60:61], s[58:59]
	s_cbranch_execz .LBB6_6156
; %bb.6160:                             ;   in Loop: Header=BB6_6157 Depth=2
	s_sleep 1
	s_trap 2
	ds_read_b64 v[2:3], v0
	v_accvgpr_read_b32 v4, a26
	v_accvgpr_read_b32 v5, a27
	s_andn2_b64 s[56:57], s[56:57], exec
	s_waitcnt lgkmcnt(0)
	v_cmp_ge_u64_e32 vcc, v[2:3], v[4:5]
	s_orn2_b64 vcc, vcc, exec
	s_branch .LBB6_6156
.LBB6_6161:                             ;   in Loop: Header=BB6_3118 Depth=1
	s_or_b64 exec, exec, s[52:53]
	s_and_saveexec_b64 vcc, s[54:55]
	s_xor_b64 vcc, exec, vcc
	s_cbranch_execz .LBB6_6163
; %bb.6162:                             ;   in Loop: Header=BB6_3118 Depth=1
	v_mov_b32_e32 v1, 1
	ds_write_b32 v0, v1
	s_trap 2
.LBB6_6163:                             ;   in Loop: Header=BB6_3118 Depth=1
	s_or_b64 exec, exec, s[50:51]
	;;#ASMSTART
	s_wakeup
	;;#ASMEND
.LBB6_6164:                             ;   in Loop: Header=BB6_3118 Depth=1
	s_or_b64 exec, exec, s[48:49]
.LBB6_6165:                             ;   in Loop: Header=BB6_3118 Depth=1
	s_andn2_saveexec_b64 vcc, s[46:47]
	s_cbranch_execz .LBB6_6167
; %bb.6166:                             ;   in Loop: Header=BB6_3118 Depth=1
	s_waitcnt vmcnt(0) lgkmcnt(0)
	buffer_wbinvl1_vol
	s_barrier
.LBB6_6167:                             ;   in Loop: Header=BB6_3118 Depth=1
	s_or_b64 exec, exec, vcc
.LBB6_6168:                             ;   in Loop: Header=BB6_3118 Depth=1
	s_or_b64 exec, exec, s[18:19]
	s_trap 2
	ds_read_b32 v1, v0
	v_accvgpr_read_b32 v2, a42
	v_sub_u32_e32 v0, v2, v0
	v_min_i32_e32 v0, v8, v0
	v_cmp_lt_i32_e32 vcc, 0, v0
	s_waitcnt lgkmcnt(0)
	v_readfirstlane_b32 s18, v1
	s_cmp_eq_u32 s18, 0
	v_accvgpr_read_b32 v0, a4
	s_cselect_b64 s[18:19], -1, 0
	v_and_b32_e32 v0, 16, v0
	s_and_b64 s[18:19], vcc, s[18:19]
	v_cmp_ne_u32_e32 vcc, 0, v0
	s_and_b64 vcc, vcc, s[18:19]
	s_and_saveexec_b64 s[18:19], vcc
	s_cbranch_execz .LBB6_6170
; %bb.6169:                             ;   in Loop: Header=BB6_3118 Depth=1
	s_waitcnt vmcnt(0)
	buffer_wbinvl1_vol
.LBB6_6170:                             ;   in Loop: Header=BB6_3118 Depth=1
	s_or_b64 exec, exec, s[18:19]
	v_accvgpr_read_b32 v0, a4
	v_and_b32_e32 v0, 32, v0
	v_cmp_ne_u32_e32 vcc, 0, v0
	s_and_saveexec_b64 s[18:19], vcc
	s_cbranch_execz .LBB6_3116
; %bb.6171:                             ;   in Loop: Header=BB6_3118 Depth=1
	v_accvgpr_read_b32 v0, a14
	v_accvgpr_read_b32 v2, a16
	;; [unrolled: 1-line block ×3, first 2 shown]
	v_add_co_u32_e32 v2, vcc, 1, v2
	v_addc_co_u32_e32 v3, vcc, 0, v3, vcc
	v_accvgpr_read_b32 v1, a15
	v_accvgpr_write_b32 a17, v3
	v_accvgpr_write_b32 a16, v2
	;; [unrolled: 1-line block ×4, first 2 shown]
	v_accvgpr_read_b32 v0, a18
	v_accvgpr_read_b32 v1, a19
	flat_store_dwordx2 v[0:1], v[2:3]
	s_branch .LBB6_3116
.LBB6_6172:
	s_or_b64 exec, exec, s[34:35]
	v_accvgpr_read_b32 v23, a17
	v_accvgpr_read_b32 v22, a16
	v_accvgpr_read_b32 v21, a15
	v_accvgpr_read_b32 v20, a14
.LBB6_6173:
	s_or_b64 exec, exec, s[24:25]
.LBB6_6174:
	s_or_b64 exec, exec, s[22:23]
                                        ; implicit-def: $agpr8_agpr9
                                        ; implicit-def: $vgpr18_vgpr19
                                        ; implicit-def: $agpr30_agpr31
                                        ; implicit-def: $agpr20
                                        ; implicit-def: $agpr24_agpr25
                                        ; implicit-def: $agpr22_agpr23
                                        ; implicit-def: $agpr18_agpr19
                                        ; implicit-def: $agpr3
                                        ; implicit-def: $vgpr0
                                        ; implicit-def: $agpr28_agpr29
.LBB6_6175:
	s_andn2_saveexec_b64 s[24:25], s[28:29]
	s_cbranch_execz .LBB6_8540
; %bb.6176:
	v_pk_mov_b32 v[2:3], 0, 0
	v_accvgpr_write_b32 a27, v3
	s_mov_b64 s[30:31], 0
	v_cmp_ne_u64_e32 vcc, 0, v[18:19]
	v_accvgpr_write_b32 a26, v2
	s_and_saveexec_b64 s[28:29], vcc
	s_cbranch_execz .LBB6_8539
; %bb.6177:
	v_accvgpr_read_b32 v3, a0
	s_waitcnt vmcnt(0)
	v_accvgpr_read_b32 v1, a2
	v_cmp_ne_u32_sdwa s[34:35], v1, v3 src0_sel:WORD_0 src1_sel:DWORD
	v_accvgpr_read_b32 v1, a1
	v_accvgpr_read_b32 v4, a3
	v_and_b32_e32 v1, 63, v1
	v_cmp_eq_u32_e64 s[12:13], 0, v1
	v_ashrrev_i32_e32 v1, 31, v4
	v_lshrrev_b32_e32 v1, 26, v1
	v_add_u32_e32 v1, v4, v1
	v_and_b32_e32 v2, 0xffffffc0, v1
	v_sub_u32_e32 v2, v4, v2
	v_cmp_lt_i32_e64 s[16:17], v2, v0
	v_ashrrev_i32_e32 v0, 6, v1
	v_accvgpr_write_b32 a21, v0
	v_lshlrev_b32_e32 v0, 12, v0
	v_lshl_add_u32 v0, v2, 4, v0
	v_lshrrev_b32_e32 v6, 6, v3
	v_accvgpr_write_b32 a34, v0
	v_ashrrev_i32_e32 v1, 31, v0
	v_mov_b32_e32 v0, 0xfffff000
	v_lshl_add_u32 v0, v6, 12, v0
	s_movk_i32 s18, 0x1000
	v_accvgpr_write_b32 a33, v1
	v_ashrrev_i32_e32 v1, 31, v0
	v_add_co_u32_e64 v0, s[18:19], s18, v0
	v_accvgpr_write_b32 a35, v0
	v_addc_co_u32_e64 v0, s[18:19], 0, v1, s[18:19]
	v_accvgpr_write_b32 a36, v0
	v_lshlrev_b32_e32 v0, 10, v6
	v_accvgpr_write_b32 a37, v0
	v_add_u32_e32 v0, 0xfffffc00, v0
	s_movk_i32 s18, 0x400
	v_ashrrev_i32_e32 v1, 31, v0
	v_add_co_u32_e64 v0, s[18:19], s18, v0
	v_accvgpr_write_b32 a38, v0
	v_addc_co_u32_e64 v0, s[18:19], 0, v1, s[18:19]
	v_accvgpr_write_b32 a39, v0
	v_mov_b32_e32 v0, 0xfffff800
	v_lshl_add_u32 v0, v6, 11, v0
	s_movk_i32 s18, 0x800
	v_ashrrev_i32_e32 v1, 31, v0
	v_add_co_u32_e64 v0, s[18:19], s18, v0
	v_accvgpr_write_b32 a40, v0
	v_addc_co_u32_e64 v0, s[18:19], 0, v1, s[18:19]
	v_accvgpr_write_b32 a41, v0
	v_and_b32_e32 v0, 0xffffffc0, v3
	s_ashr_i32 s6, s70, 31
	v_ashrrev_i32_e32 v1, 31, v0
	s_lshr_b32 s6, s6, 24
	v_accvgpr_write_b32 a42, v0
	v_accvgpr_write_b32 a43, v1
	s_waitcnt lgkmcnt(0)
	v_accvgpr_read_b32 v0, a30
	v_pk_mov_b32 v[52:53], 0, 0
	v_accvgpr_write_b32 a14, v20
	s_add_i32 s70, s70, s6
	v_cmp_ge_i32_e64 s[6:7], v4, v3
	v_cmp_eq_u32_e32 vcc, 64, v3
	v_cmp_ne_u32_e64 s[10:11], 64, v3
	v_cmp_gt_i32_e64 s[14:15], 1, v2
	v_accvgpr_write_b32 a5, v2
	v_accvgpr_read_b32 v1, a31
	s_mov_b32 s42, -1
	v_accvgpr_write_b32 a26, v52
	v_accvgpr_read_b32 v2, a28
	v_accvgpr_write_b32 a15, v21
	v_accvgpr_write_b32 a16, v22
	;; [unrolled: 1-line block ×3, first 2 shown]
	s_ashr_i32 s66, s70, 8
	v_mov_b32_e32 v39, 0
	v_accvgpr_write_b32 a32, v6
	v_cmp_ne_u64_e64 s[18:19], 0, v[0:1]
	s_movk_i32 s67, 0x270e
	s_xor_b64 s[36:37], vcc, -1
	s_movk_i32 s68, 0x7f
	s_movk_i32 s69, 0x80
	s_mov_b64 s[38:39], 0x7f800000
	s_mov_b64 s[40:41], 0x43e00001
	s_movk_i32 s70, 0x7a
	s_mov_b32 s43, 0xffffff
	s_mov_b64 s[44:45], 0xffffff
	s_mov_b32 s71, 0x6050400
	s_mov_b32 s72, 0xc0c0500
	v_accvgpr_write_b32 a27, v53
	v_accvgpr_read_b32 v3, a29
	s_trap 2
	s_branch .LBB6_6181
.LBB6_6178:                             ;   in Loop: Header=BB6_6181 Depth=1
	s_or_b64 exec, exec, vcc
	v_accvgpr_read_b32 v0, a14
	v_accvgpr_read_b32 v2, a16
	;; [unrolled: 1-line block ×3, first 2 shown]
	v_add_co_u32_e32 v2, vcc, 1, v2
	v_addc_co_u32_e32 v3, vcc, 0, v3, vcc
	v_accvgpr_read_b32 v1, a15
	v_accvgpr_write_b32 a17, v3
	v_accvgpr_write_b32 a16, v2
	;; [unrolled: 1-line block ×4, first 2 shown]
	v_accvgpr_read_b32 v0, a18
	v_accvgpr_read_b32 v1, a19
	flat_store_dwordx2 v[0:1], v[2:3]
.LBB6_6179:                             ;   in Loop: Header=BB6_6181 Depth=1
	s_or_b64 exec, exec, s[20:21]
.LBB6_6180:                             ;   in Loop: Header=BB6_6181 Depth=1
	s_or_b64 exec, exec, s[22:23]
	v_accvgpr_read_b32 v2, a28
	v_add_co_u32_e32 v52, vcc, v52, v2
	v_addc_co_u32_e32 v53, vcc, 0, v53, vcc
	v_cmp_ge_u64_e32 vcc, v[52:53], v[18:19]
	v_accvgpr_read_b32 v3, a29
	s_or_b64 s[30:31], vcc, s[30:31]
	s_andn2_b64 exec, exec, s[30:31]
	s_cbranch_execz .LBB6_8538
.LBB6_6181:                             ; =>This Loop Header: Depth=1
                                        ;     Child Loop BB6_6190 Depth 2
                                        ;     Child Loop BB6_6214 Depth 2
	;; [unrolled: 1-line block ×10, first 2 shown]
	v_sub_co_u32_e32 v0, vcc, v18, v52
	v_subb_co_u32_e32 v1, vcc, v19, v53, vcc
	v_cmp_lt_u64_e32 vcc, v[2:3], v[0:1]
	v_cndmask_b32_e64 v3, v1, 0, vcc
	v_cndmask_b32_e32 v2, v0, v2, vcc
	v_add_u32_e32 v0, 15, v2
	v_cmp_eq_u64_e32 vcc, 0, v[2:3]
	v_and_b32_e32 v0, 0x7ffffff0, v0
	s_or_b64 s[46:47], s[6:7], vcc
	v_max_i32_e32 v46, s66, v0
	v_accvgpr_write_b32 a44, v2
	s_xor_b64 s[20:21], s[46:47], -1
	v_mov_b32_e32 v0, v39
	s_and_saveexec_b64 s[48:49], s[20:21]
	s_cbranch_execz .LBB6_8491
; %bb.6182:                             ;   in Loop: Header=BB6_6181 Depth=1
	s_and_saveexec_b64 s[20:21], s[4:5]
	s_cbranch_execz .LBB6_6184
; %bb.6183:                             ;   in Loop: Header=BB6_6181 Depth=1
	s_trap 2
	ds_read_b64 v[0:1], v0
	v_accvgpr_read_b32 v2, a8
	v_accvgpr_read_b32 v3, a9
	v_mov_b32_e32 v38, v39
	s_waitcnt lgkmcnt(0)
	v_add_co_u32_e32 v0, vcc, v0, v2
	v_addc_co_u32_e32 v1, vcc, v1, v3, vcc
	v_add_co_u32_e32 v0, vcc, v0, v52
	v_addc_co_u32_e32 v1, vcc, v1, v53, vcc
	ds_write_b64 v0, v[0:1]
	ds_write_b64 v0, v[38:39]
.LBB6_6184:                             ;   in Loop: Header=BB6_6181 Depth=1
	s_or_b64 exec, exec, s[20:21]
	v_accvgpr_read_b32 v0, a4
	v_and_b32_e32 v0, 8, v0
	v_cmp_ne_u32_e32 vcc, 0, v0
	s_mov_b64 s[22:23], -1
	s_and_saveexec_b64 s[20:21], vcc
	s_cbranch_execz .LBB6_6196
; %bb.6185:                             ;   in Loop: Header=BB6_6181 Depth=1
	v_accvgpr_read_b32 v0, a24
	v_accvgpr_read_b32 v1, a25
	v_add_co_u32_e32 v0, vcc, 8, v0
	v_accvgpr_read_b32 v2, a14
	v_addc_co_u32_e32 v1, vcc, 0, v1, vcc
	v_accvgpr_read_b32 v4, a16
	v_accvgpr_read_b32 v3, a15
	;; [unrolled: 1-line block ×3, first 2 shown]
	v_add_co_u32_e32 v2, vcc, 1, v4
	v_addc_co_u32_e32 v3, vcc, 0, v5, vcc
	v_cmp_lt_u64_e32 vcc, v[0:1], v[2:3]
	v_mov_b32_e32 v0, 1
	s_and_saveexec_b64 s[22:23], vcc
	s_cbranch_execz .LBB6_6195
; %bb.6186:                             ;   in Loop: Header=BB6_6181 Depth=1
	s_mov_b64 s[50:51], 0
	v_mov_b32_e32 v0, 0
                                        ; implicit-def: $sgpr52_sgpr53
	s_branch .LBB6_6190
.LBB6_6187:                             ;   in Loop: Header=BB6_6190 Depth=2
	s_or_b64 exec, exec, s[60:61]
	v_mov_b32_e32 v1, 0
	s_orn2_b64 s[58:59], s[58:59], exec
.LBB6_6188:                             ;   in Loop: Header=BB6_6190 Depth=2
	s_or_b64 exec, exec, s[56:57]
	s_andn2_b64 vcc, s[52:53], exec
	s_and_b64 s[52:53], s[58:59], exec
	s_or_b64 s[52:53], vcc, s[52:53]
	v_mov_b32_e32 v0, v1
.LBB6_6189:                             ;   in Loop: Header=BB6_6190 Depth=2
	s_or_b64 exec, exec, s[54:55]
	s_waitcnt vmcnt(0) lgkmcnt(0)
	v_accvgpr_read_b32 v4, a24
	v_accvgpr_read_b32 v5, a25
	v_add_co_u32_e32 v4, vcc, 8, v4
	v_addc_co_u32_e32 v5, vcc, 0, v5, vcc
	v_cmp_ge_u64_e32 vcc, v[4:5], v[2:3]
	s_xor_b64 s[54:55], s[52:53], -1
	s_or_b64 vcc, s[54:55], vcc
	s_and_b64 vcc, exec, vcc
	s_or_b64 s[50:51], vcc, s[50:51]
	s_andn2_b64 exec, exec, s[50:51]
	s_cbranch_execz .LBB6_6194
.LBB6_6190:                             ;   Parent Loop BB6_6181 Depth=1
                                        ; =>  This Inner Loop Header: Depth=2
	v_accvgpr_read_b32 v4, a18
	v_accvgpr_read_b32 v5, a19
	s_sleep 1
	flat_load_dwordx2 a[24:25], v[4:5] glc
	v_accvgpr_read_b32 v1, a4
	v_and_b32_e32 v1, 64, v1
	v_cmp_eq_u32_e32 vcc, 0, v1
	s_andn2_b64 s[52:53], s[52:53], exec
	s_and_saveexec_b64 s[54:55], vcc
	s_cbranch_execz .LBB6_6189
; %bb.6191:                             ;   in Loop: Header=BB6_6190 Depth=2
	v_add_u32_e32 v1, 1, v0
	v_cmp_lt_i32_e32 vcc, s67, v0
	s_mov_b64 s[58:59], -1
	s_and_saveexec_b64 s[56:57], vcc
	s_cbranch_execz .LBB6_6188
; %bb.6192:                             ;   in Loop: Header=BB6_6190 Depth=2
	s_trap 2
	ds_read_b64 v[0:1], v0
	s_waitcnt vmcnt(0) lgkmcnt(0)
	flat_load_dword v0, v[0:1] glc
	s_waitcnt vmcnt(0) lgkmcnt(0)
	buffer_invl2
	buffer_wbinvl1_vol
	v_cmp_ne_u32_e32 vcc, 0, v0
	s_and_saveexec_b64 s[60:61], vcc
	s_cbranch_execz .LBB6_6187
; %bb.6193:                             ;   in Loop: Header=BB6_6190 Depth=2
	v_accvgpr_read_b32 v1, a4
	v_or_b32_e32 v1, 64, v1
	v_accvgpr_write_b32 a4, v1
	s_xor_b64 s[58:59], exec, -1
	ds_write_b32 v0, v0
	s_trap 2
	s_branch .LBB6_6187
.LBB6_6194:                             ;   in Loop: Header=BB6_6181 Depth=1
	s_or_b64 exec, exec, s[50:51]
	v_accvgpr_read_b32 v0, a4
	v_and_b32_e32 v0, 8, v0
.LBB6_6195:                             ;   in Loop: Header=BB6_6181 Depth=1
	s_or_b64 exec, exec, s[22:23]
	v_cmp_eq_u32_e32 vcc, 0, v0
	s_orn2_b64 s[22:23], vcc, exec
	;;#ASMSTART
	s_wakeup
	;;#ASMEND
.LBB6_6196:                             ;   in Loop: Header=BB6_6181 Depth=1
	s_or_b64 exec, exec, s[20:21]
	v_accvgpr_read_b32 v0, a44
	s_xor_b64 s[20:21], s[22:23], -1
	v_min_u32_e32 v46, v46, v0
	s_and_saveexec_b64 s[22:23], s[20:21]
	s_cbranch_execz .LBB6_6206
; %bb.6197:                             ;   in Loop: Header=BB6_6181 Depth=1
	v_accvgpr_read_b32 v0, a4
	v_and_b32_e32 v0, 0x100, v0
	v_cmp_ne_u32_e32 vcc, 0, v0
	v_accvgpr_read_b32 v0, a14
	v_accvgpr_read_b32 v2, a16
	;; [unrolled: 1-line block ×3, first 2 shown]
	v_and_b32_e32 v0, 7, v2
	s_mov_b64 s[20:21], -1
	v_accvgpr_read_b32 v1, a15
                                        ; implicit-def: $vgpr2_vgpr3
	s_and_saveexec_b64 s[50:51], vcc
	s_cbranch_execz .LBB6_6201
; %bb.6198:                             ;   in Loop: Header=BB6_6181 Depth=1
	v_accvgpr_read_b32 v2, a14
	v_accvgpr_read_b32 v3, a15
	v_mad_u64_u32 v[10:11], s[20:21], v0, 24, v[2:3]
	flat_load_dword v1, v[10:11]
	v_mov_b32_e32 v47, v39
	v_accvgpr_read_b32 v4, a16
	v_accvgpr_read_b32 v5, a17
	flat_store_dwordx2 v[10:11], v[46:47] offset:8
                                        ; implicit-def: $vgpr2_vgpr3
	s_waitcnt vmcnt(0) lgkmcnt(0)
	v_cmp_ne_u32_e32 vcc, 1, v1
	v_cmp_eq_u32_e64 s[20:21], 1, v1
	s_and_saveexec_b64 s[52:53], s[20:21]
	s_cbranch_execz .LBB6_6200
; %bb.6199:                             ;   in Loop: Header=BB6_6181 Depth=1
	flat_load_dword v2, v[10:11] offset:4 glc
	s_waitcnt vmcnt(0) lgkmcnt(0)
	v_ashrrev_i32_e32 v3, 31, v2
.LBB6_6200:                             ;   in Loop: Header=BB6_6181 Depth=1
	s_or_b64 exec, exec, s[52:53]
	s_orn2_b64 s[20:21], vcc, exec
.LBB6_6201:                             ;   in Loop: Header=BB6_6181 Depth=1
	s_or_b64 exec, exec, s[50:51]
	s_and_saveexec_b64 vcc, s[20:21]
; %bb.6202:                             ;   in Loop: Header=BB6_6181 Depth=1
	v_accvgpr_read_b32 v2, a20
	v_mad_i64_i32 v[2:3], s[20:21], v0, v2, 0
; %bb.6203:                             ;   in Loop: Header=BB6_6181 Depth=1
	s_or_b64 exec, exec, vcc
	v_accvgpr_read_b32 v0, a22
	v_accvgpr_read_b32 v1, a23
	v_add_co_u32_e32 v0, vcc, v0, v2
	v_addc_co_u32_e32 v1, vcc, v1, v3, vcc
	ds_write_b64 v0, v[0:1] offset:784
	v_accvgpr_read_b32 v0, a4
	v_and_b32_e32 v0, 0x2000, v0
	v_cmp_ne_u32_e32 vcc, 0, v0
	s_and_saveexec_b64 s[20:21], vcc
	s_cbranch_execz .LBB6_6205
; %bb.6204:                             ;   in Loop: Header=BB6_6181 Depth=1
	ds_read_b64 v[0:1], v0 offset:584
	s_waitcnt lgkmcnt(0)
	v_add_co_u32_e32 v0, vcc, 1, v0
	v_addc_co_u32_e32 v1, vcc, 0, v1, vcc
	ds_write_b64 v0, v[0:1] offset:584
.LBB6_6205:                             ;   in Loop: Header=BB6_6181 Depth=1
	s_or_b64 exec, exec, s[20:21]
	v_accvgpr_read_b32 v0, a14
	v_accvgpr_read_b32 v2, a16
	v_accvgpr_read_b32 v3, a17
	v_add_co_u32_e32 v2, vcc, 1, v2
	v_addc_co_u32_e32 v3, vcc, 0, v3, vcc
	v_accvgpr_read_b32 v1, a15
	v_accvgpr_write_b32 a17, v3
	v_accvgpr_write_b32 a16, v2
	;; [unrolled: 1-line block ×4, first 2 shown]
.LBB6_6206:                             ;   in Loop: Header=BB6_6181 Depth=1
	s_or_b64 exec, exec, s[22:23]
	s_and_saveexec_b64 s[20:21], s[10:11]
	s_cbranch_execz .LBB6_6225
; %bb.6207:                             ;   in Loop: Header=BB6_6181 Depth=1
	s_and_saveexec_b64 s[22:23], s[34:35]
	s_xor_b64 s[22:23], exec, s[22:23]
	s_cbranch_execz .LBB6_6222
; %bb.6208:                             ;   in Loop: Header=BB6_6181 Depth=1
	s_and_saveexec_b64 s[50:51], s[12:13]
	s_cbranch_execz .LBB6_6221
; %bb.6209:                             ;   in Loop: Header=BB6_6181 Depth=1
	s_mov_b64 s[54:55], exec
	v_mbcnt_lo_u32_b32 v0, s54, 0
	v_mbcnt_hi_u32_b32 v0, s55, v0
	v_cmp_eq_u32_e32 vcc, 0, v0
	s_waitcnt vmcnt(0) lgkmcnt(0)
	buffer_wbinvl1_vol
	s_and_saveexec_b64 s[52:53], vcc
	s_cbranch_execz .LBB6_6211
; %bb.6210:                             ;   in Loop: Header=BB6_6181 Depth=1
	s_bcnt1_i32_b64 vcc_lo, s[54:55]
	v_mov_b32_e32 v38, vcc_lo
	ds_add_u64 v0, v[38:39]
	s_trap 2
.LBB6_6211:                             ;   in Loop: Header=BB6_6181 Depth=1
	s_or_b64 exec, exec, s[52:53]
	s_trap 2
	ds_read_b64 v[0:1], v0
	v_accvgpr_read_b32 v2, a26
	v_accvgpr_read_b32 v4, a32
	;; [unrolled: 1-line block ×3, first 2 shown]
	v_add_co_u32_e32 v2, vcc, v2, v4
	v_addc_co_u32_e32 v3, vcc, 0, v3, vcc
	v_accvgpr_write_b32 a27, v3
	v_accvgpr_write_b32 a26, v2
	s_waitcnt lgkmcnt(0)
	v_cmp_lt_u64_e32 vcc, v[0:1], v[2:3]
	s_and_saveexec_b64 s[52:53], vcc
	s_cbranch_execz .LBB6_6220
; %bb.6212:                             ;   in Loop: Header=BB6_6181 Depth=1
	s_mov_b32 s64, 0
	s_mov_b64 s[54:55], 0
                                        ; implicit-def: $sgpr56_sgpr57
                                        ; implicit-def: $sgpr58_sgpr59
	s_branch .LBB6_6214
.LBB6_6213:                             ;   in Loop: Header=BB6_6214 Depth=2
	s_or_b64 exec, exec, s[62:63]
	s_and_b64 vcc, exec, vcc
	s_or_b64 s[54:55], vcc, s[54:55]
	s_andn2_b64 vcc, s[56:57], exec
	s_and_b64 s[56:57], s[58:59], exec
	s_or_b64 s[56:57], vcc, s[56:57]
	s_andn2_b64 exec, exec, s[54:55]
	s_cbranch_execz .LBB6_6218
.LBB6_6214:                             ;   Parent Loop BB6_6181 Depth=1
                                        ; =>  This Inner Loop Header: Depth=2
	s_add_i32 s64, s64, 1
	s_cmpk_lg_i32 s64, 0x2710
	s_cselect_b64 s[60:61], -1, 0
	s_and_b64 vcc, exec, s[60:61]
                                        ; implicit-def: $sgpr62_sgpr63
	s_cbranch_vccnz .LBB6_6216
; %bb.6215:                             ;   in Loop: Header=BB6_6214 Depth=2
	s_trap 2
	ds_read_b64 v[0:1], v0
	s_andn2_b64 s[60:61], s[60:61], exec
	s_mov_b32 s64, 0
	s_mov_b64 s[62:63], -1
	s_waitcnt lgkmcnt(0)
	flat_load_dword v0, v[0:1] glc
	s_waitcnt vmcnt(0) lgkmcnt(0)
	buffer_invl2
	buffer_wbinvl1_vol
	v_cmp_eq_u32_e32 vcc, 0, v0
	s_and_b64 vcc, vcc, exec
	s_or_b64 s[60:61], s[60:61], vcc
.LBB6_6216:                             ;   in Loop: Header=BB6_6214 Depth=2
	s_andn2_b64 s[58:59], s[58:59], exec
	s_and_b64 s[62:63], s[62:63], exec
	s_mov_b64 vcc, -1
	s_or_b64 s[58:59], s[58:59], s[62:63]
	s_and_saveexec_b64 s[62:63], s[60:61]
	s_cbranch_execz .LBB6_6213
; %bb.6217:                             ;   in Loop: Header=BB6_6214 Depth=2
	s_sleep 1
	s_trap 2
	ds_read_b64 v[0:1], v0
	v_accvgpr_read_b32 v2, a26
	v_accvgpr_read_b32 v3, a27
	s_andn2_b64 s[58:59], s[58:59], exec
	s_waitcnt lgkmcnt(0)
	v_cmp_ge_u64_e32 vcc, v[0:1], v[2:3]
	s_orn2_b64 vcc, vcc, exec
	s_branch .LBB6_6213
.LBB6_6218:                             ;   in Loop: Header=BB6_6181 Depth=1
	s_or_b64 exec, exec, s[54:55]
	s_and_saveexec_b64 vcc, s[56:57]
	s_xor_b64 vcc, exec, vcc
	s_cbranch_execz .LBB6_6220
; %bb.6219:                             ;   in Loop: Header=BB6_6181 Depth=1
	v_mov_b32_e32 v0, 1
	ds_write_b32 v0, v0
	s_trap 2
.LBB6_6220:                             ;   in Loop: Header=BB6_6181 Depth=1
	s_or_b64 exec, exec, s[52:53]
	;;#ASMSTART
	s_wakeup
	;;#ASMEND
.LBB6_6221:                             ;   in Loop: Header=BB6_6181 Depth=1
	s_or_b64 exec, exec, s[50:51]
.LBB6_6222:                             ;   in Loop: Header=BB6_6181 Depth=1
	s_andn2_saveexec_b64 s[22:23], s[22:23]
	s_cbranch_execz .LBB6_6224
; %bb.6223:                             ;   in Loop: Header=BB6_6181 Depth=1
	s_waitcnt vmcnt(0) lgkmcnt(0)
	buffer_wbinvl1_vol
	s_barrier
.LBB6_6224:                             ;   in Loop: Header=BB6_6181 Depth=1
	s_or_b64 exec, exec, s[22:23]
.LBB6_6225:                             ;   in Loop: Header=BB6_6181 Depth=1
	s_or_b64 exec, exec, s[20:21]
	s_trap 2
	ds_read_b32 v1, v0
	v_accvgpr_read_b32 v0, a4
	v_and_b32_e32 v0, 0x4000, v0
	v_cmp_ne_u32_e32 vcc, 0, v0
	s_and_b64 s[22:23], s[36:37], vcc
	s_and_saveexec_b64 s[20:21], s[22:23]
	s_cbranch_execz .LBB6_6244
; %bb.6226:                             ;   in Loop: Header=BB6_6181 Depth=1
	s_and_saveexec_b64 s[22:23], s[34:35]
	s_xor_b64 s[22:23], exec, s[22:23]
	s_cbranch_execz .LBB6_6241
; %bb.6227:                             ;   in Loop: Header=BB6_6181 Depth=1
	s_and_saveexec_b64 s[50:51], s[12:13]
	s_cbranch_execz .LBB6_6240
; %bb.6228:                             ;   in Loop: Header=BB6_6181 Depth=1
	s_mov_b64 s[54:55], exec
	v_mbcnt_lo_u32_b32 v0, s54, 0
	v_mbcnt_hi_u32_b32 v0, s55, v0
	v_cmp_eq_u32_e32 vcc, 0, v0
	s_waitcnt vmcnt(0) lgkmcnt(0)
	buffer_wbinvl1_vol
	s_and_saveexec_b64 s[52:53], vcc
	s_cbranch_execz .LBB6_6230
; %bb.6229:                             ;   in Loop: Header=BB6_6181 Depth=1
	s_bcnt1_i32_b64 vcc_lo, s[54:55]
	v_mov_b32_e32 v38, vcc_lo
	ds_add_u64 v0, v[38:39]
	s_trap 2
.LBB6_6230:                             ;   in Loop: Header=BB6_6181 Depth=1
	s_or_b64 exec, exec, s[52:53]
	s_trap 2
	ds_read_b64 v[2:3], v0
	v_accvgpr_read_b32 v4, a26
	v_accvgpr_read_b32 v0, a32
	;; [unrolled: 1-line block ×3, first 2 shown]
	v_add_co_u32_e32 v4, vcc, v4, v0
	v_addc_co_u32_e32 v5, vcc, 0, v5, vcc
	v_accvgpr_write_b32 a27, v5
	v_accvgpr_write_b32 a26, v4
	s_waitcnt lgkmcnt(0)
	v_cmp_lt_u64_e32 vcc, v[2:3], v[4:5]
	s_and_saveexec_b64 s[52:53], vcc
	s_cbranch_execz .LBB6_6239
; %bb.6231:                             ;   in Loop: Header=BB6_6181 Depth=1
	s_mov_b32 s64, 0
	s_mov_b64 s[54:55], 0
                                        ; implicit-def: $sgpr56_sgpr57
                                        ; implicit-def: $sgpr58_sgpr59
	s_branch .LBB6_6233
.LBB6_6232:                             ;   in Loop: Header=BB6_6233 Depth=2
	s_or_b64 exec, exec, s[62:63]
	s_and_b64 vcc, exec, vcc
	s_or_b64 s[54:55], vcc, s[54:55]
	s_andn2_b64 vcc, s[56:57], exec
	s_and_b64 s[56:57], s[58:59], exec
	s_or_b64 s[56:57], vcc, s[56:57]
	s_andn2_b64 exec, exec, s[54:55]
	s_cbranch_execz .LBB6_6237
.LBB6_6233:                             ;   Parent Loop BB6_6181 Depth=1
                                        ; =>  This Inner Loop Header: Depth=2
	s_add_i32 s64, s64, 1
	s_cmpk_lg_i32 s64, 0x2710
	s_cselect_b64 s[60:61], -1, 0
	s_and_b64 vcc, exec, s[60:61]
                                        ; implicit-def: $sgpr62_sgpr63
	s_cbranch_vccnz .LBB6_6235
; %bb.6234:                             ;   in Loop: Header=BB6_6233 Depth=2
	s_trap 2
	ds_read_b64 v[2:3], v0
	s_andn2_b64 s[60:61], s[60:61], exec
	s_mov_b32 s64, 0
	s_mov_b64 s[62:63], -1
	s_waitcnt lgkmcnt(0)
	flat_load_dword v0, v[2:3] glc
	s_waitcnt vmcnt(0) lgkmcnt(0)
	buffer_invl2
	buffer_wbinvl1_vol
	v_cmp_eq_u32_e32 vcc, 0, v0
	s_and_b64 vcc, vcc, exec
	s_or_b64 s[60:61], s[60:61], vcc
.LBB6_6235:                             ;   in Loop: Header=BB6_6233 Depth=2
	s_andn2_b64 s[58:59], s[58:59], exec
	s_and_b64 s[62:63], s[62:63], exec
	s_mov_b64 vcc, -1
	s_or_b64 s[58:59], s[58:59], s[62:63]
	s_and_saveexec_b64 s[62:63], s[60:61]
	s_cbranch_execz .LBB6_6232
; %bb.6236:                             ;   in Loop: Header=BB6_6233 Depth=2
	s_sleep 1
	s_trap 2
	ds_read_b64 v[2:3], v0
	v_accvgpr_read_b32 v4, a26
	v_accvgpr_read_b32 v5, a27
	s_andn2_b64 s[58:59], s[58:59], exec
	s_waitcnt lgkmcnt(0)
	v_cmp_ge_u64_e32 vcc, v[2:3], v[4:5]
	s_orn2_b64 vcc, vcc, exec
	s_branch .LBB6_6232
.LBB6_6237:                             ;   in Loop: Header=BB6_6181 Depth=1
	s_or_b64 exec, exec, s[54:55]
	s_and_saveexec_b64 vcc, s[56:57]
	s_xor_b64 vcc, exec, vcc
	s_cbranch_execz .LBB6_6239
; %bb.6238:                             ;   in Loop: Header=BB6_6181 Depth=1
	v_mov_b32_e32 v0, 1
	ds_write_b32 v0, v0
	s_trap 2
.LBB6_6239:                             ;   in Loop: Header=BB6_6181 Depth=1
	s_or_b64 exec, exec, s[52:53]
	;;#ASMSTART
	s_wakeup
	;;#ASMEND
.LBB6_6240:                             ;   in Loop: Header=BB6_6181 Depth=1
	s_or_b64 exec, exec, s[50:51]
.LBB6_6241:                             ;   in Loop: Header=BB6_6181 Depth=1
	s_andn2_saveexec_b64 s[22:23], s[22:23]
	s_cbranch_execz .LBB6_6243
; %bb.6242:                             ;   in Loop: Header=BB6_6181 Depth=1
	s_waitcnt vmcnt(0) lgkmcnt(0)
	buffer_wbinvl1_vol
	s_barrier
.LBB6_6243:                             ;   in Loop: Header=BB6_6181 Depth=1
	s_or_b64 exec, exec, s[22:23]
.LBB6_6244:                             ;   in Loop: Header=BB6_6181 Depth=1
	s_or_b64 exec, exec, s[20:21]
	s_trap 2
	ds_read_b64 v[2:3], v0
	s_waitcnt lgkmcnt(0)
	v_readfirstlane_b32 s20, v2
	v_readfirstlane_b32 s21, v3
	s_cmp_eq_u64 s[20:21], 0
	s_cselect_b64 s[20:21], -1, 0
	s_or_b64 s[22:23], s[20:21], s[20:21]
	s_mov_b64 s[20:21], 0
	s_and_b64 vcc, exec, s[22:23]
	s_cbranch_vccnz .LBB6_8465
; %bb.6245:                             ;   in Loop: Header=BB6_6181 Depth=1
	s_mov_b64 s[22:23], -1
	s_and_saveexec_b64 s[20:21], s[14:15]
	s_cbranch_execz .LBB6_6247
; %bb.6246:                             ;   in Loop: Header=BB6_6181 Depth=1
	ds_read_b32 v0, v0 offset:720
	s_waitcnt lgkmcnt(0)
	v_and_b32_e32 v0, 15, v0
	v_cmp_eq_u32_e32 vcc, 0, v0
	s_orn2_b64 s[22:23], vcc, exec
.LBB6_6247:                             ;   in Loop: Header=BB6_6181 Depth=1
	s_or_b64 exec, exec, s[20:21]
	s_and_saveexec_b64 s[20:21], s[16:17]
	s_cbranch_execz .LBB6_6249
; %bb.6248:                             ;   in Loop: Header=BB6_6181 Depth=1
	ds_read_b32 v0, v0 offset:784
	s_waitcnt lgkmcnt(0)
	v_and_b32_e32 v0, 15, v0
	v_cmp_eq_u32_e32 vcc, 0, v0
	s_and_b64 vcc, s[22:23], vcc
	s_andn2_b64 s[22:23], s[22:23], exec
	s_and_b64 vcc, vcc, exec
	s_or_b64 s[22:23], s[22:23], vcc
.LBB6_6249:                             ;   in Loop: Header=BB6_6181 Depth=1
	s_or_b64 exec, exec, s[20:21]
	s_xor_b64 s[22:23], s[22:23], -1
	v_cmp_eq_u32_e32 vcc, 0, v1
	v_cndmask_b32_e64 v1, 0, 1, s[22:23]
	v_accvgpr_write_b32 a6, v18
	v_cndmask_b32_e32 v2, 0, v46, vcc
	;;#ASMSTART
	;;#ASMEND
	v_accvgpr_write_b32 a7, v19
	v_mov_b32_e32 v0, 0
	s_mov_b64 s[20:21], -1
	v_cmp_ne_u32_e32 vcc, 0, v1
	v_accvgpr_write_b32 a45, v2
	v_mov_b32_e32 v1, v2
	v_accvgpr_read_b32 v4, a3
	v_accvgpr_read_b32 v2, a21
	v_accvgpr_write_b32 a46, v46
	s_cbranch_vccz .LBB6_6251
; %bb.6250:                             ;   in Loop: Header=BB6_6181 Depth=1
	s_and_saveexec_b64 s[22:23], s[20:21]
	s_cbranch_execnz .LBB6_7720
	s_branch .LBB6_8464
.LBB6_6251:                             ;   in Loop: Header=BB6_6181 Depth=1
	v_accvgpr_read_b32 v0, a45
	v_lshrrev_b32_e32 v0, 12, v0
	v_accvgpr_read_b32 v1, a21
	v_sub_u32_e32 v24, v0, v1
	v_cmp_lt_i32_e32 vcc, 0, v24
	s_and_saveexec_b64 s[22:23], vcc
	s_cbranch_execz .LBB6_7415
; %bb.6252:                             ;   in Loop: Header=BB6_6181 Depth=1
	s_trap 2
	ds_read_b64 v[34:35], v0
	s_waitcnt lgkmcnt(0)
	v_readfirstlane_b32 s20, v34
	s_and_b32 s21, s20, 7
	s_flbit_i32_b32 s21, s21
	s_min_u32 s21, s21, 32
	s_and_b32 vcc_lo, s20, 0x7f
	s_bfe_u32 vcc_hi, s20, 0x40003
	s_sub_i32 s50, s21, 28
	s_sub_i32 s21, 29, s21
	s_cmp_lt_u32 vcc_lo, 8
	s_cselect_b32 s21, s21, vcc_hi
	s_cselect_b32 vcc_hi, s50, 0
	s_lshl_b32 s20, s20, 24
	s_lshl_b32 s21, s21, 23
	v_lshlrev_b64 v[0:1], vcc_hi, v[34:35]
	s_and_b32 s20, s20, 0x80000000
	s_add_i32 s21, s21, 0x3c000000
	v_lshlrev_b32_e32 v0, 20, v0
	s_or_b32 s20, s20, s21
	v_and_b32_e32 v0, 0x700000, v0
	s_cmpk_lg_i32 vcc_lo, 0x7f
	v_or_b32_e32 v0, s20, v0
	s_cselect_b64 vcc, -1, 0
	v_mov_b32_e32 v1, 0x7f800001
	v_cndmask_b32_e32 v0, v1, v0, vcc
	v_accvgpr_write_b32 a47, v0
	s_mov_b64 s[50:51], 0
	v_pk_mov_b32 v[44:45], v[34:35], v[34:35] op_sel:[0,1]
	v_pk_mov_b32 v[46:47], v[34:35], v[34:35] op_sel:[0,1]
	v_accvgpr_write_b32 a48, v34
	s_branch .LBB6_6254
.LBB6_6253:                             ;   in Loop: Header=BB6_6254 Depth=2
	s_or_b64 exec, exec, s[20:21]
	v_lshlrev_b32_e32 v9, 8, v9
	v_and_b32_e32 v11, 0xff, v57
	v_perm_b32 v3, v23, v22, s71
	v_perm_b32 v8, v9, v8, s72
	v_lshlrev_b32_e32 v9, 16, v42
	v_lshlrev_b32_e32 v10, 24, v59
	;; [unrolled: 1-line block ×4, first 2 shown]
	v_or3_b32 v11, v9, v3, v10
	v_or3_b32 v10, v12, v13, v8
	v_lshlrev_b32_e32 v3, 8, v60
	v_and_b32_e32 v8, 0xff, v21
	v_perm_b32 v3, v3, v43, s72
	v_lshlrev_b32_e32 v9, 24, v37
	v_lshlrev_b32_e32 v8, 16, v8
	v_or3_b32 v12, v9, v8, v3
	v_perm_b32 v3, v61, v62, s71
	v_lshlrev_b32_e32 v1, 24, v1
	v_lshlrev_b32_e32 v8, 16, v20
	v_or3_b32 v13, v8, v3, v1
	buffer_load_dword v3, off, s[0:3], s33 offset:200 ; 4-byte Folded Reload
	buffer_load_dword v8, off, s[0:3], s33 offset:204 ; 4-byte Folded Reload
	;; [unrolled: 1-line block ×3, first 2 shown]
	v_perm_b32 v1, v4, v17, s71
	buffer_load_dword v4, off, s[0:3], s33 offset:196 ; 4-byte Folded Reload
	v_lshlrev_b32_e32 v20, 24, v51
	v_lshlrev_b32_e32 v18, 8, v18
	v_perm_b32 v0, v18, v0, s72
	s_waitcnt vmcnt(3)
	v_lshlrev_b32_e32 v3, 8, v3
	s_waitcnt vmcnt(2)
	v_and_b32_e32 v8, 0xff, v8
	s_waitcnt vmcnt(1)
	v_lshlrev_b32_e32 v9, 24, v9
	v_lshlrev_b32_e32 v8, 16, v8
	s_waitcnt vmcnt(0)
	v_perm_b32 v3, v3, v4, s72
	v_lshlrev_b32_e32 v4, 16, v5
	v_lshlrev_b32_e32 v5, 24, v32
	v_or3_b32 v15, v4, v1, v5
	v_or3_b32 v14, v9, v8, v3
	v_lshlrev_b32_e32 v1, 8, v30
	v_and_b32_e32 v3, 0xff, v31
	v_perm_b32 v1, v1, v33, s72
	v_lshlrev_b32_e32 v4, 24, v36
	v_lshlrev_b32_e32 v3, 16, v3
	v_or3_b32 v16, v4, v3, v1
	v_perm_b32 v1, v40, v54, s71
	v_lshlrev_b32_e32 v3, 24, v7
	v_lshlrev_b32_e32 v4, 16, v6
	v_or3_b32 v17, v4, v1, v3
	buffer_load_dword v1, off, s[0:3], s33 offset:156 ; 4-byte Folded Reload
	buffer_load_dword v3, off, s[0:3], s33 offset:148 ; 4-byte Folded Reload
	;; [unrolled: 1-line block ×3, first 2 shown]
	v_accvgpr_read_b32 v8, a34
	v_add_co_u32_e32 v8, vcc, v8, v44
	buffer_load_dword v6, off, s[0:3], s33 offset:168 ; 4-byte Folded Reload
	buffer_load_dword v7, off, s[0:3], s33 offset:164 ; 4-byte Folded Reload
	s_waitcnt vmcnt(4)
	v_lshlrev_b32_e32 v1, 16, v1
	s_waitcnt vmcnt(2)
	v_perm_b32 v3, v4, v3, s71
	buffer_load_dword v4, off, s[0:3], s33 offset:160 ; 4-byte Folded Reload
	s_waitcnt vmcnt(2)
	v_lshlrev_b32_e32 v6, 8, v6
	s_waitcnt vmcnt(1)
	v_perm_b32 v6, v6, v7, s72
	s_waitcnt vmcnt(0)
	v_lshlrev_b32_e32 v4, 24, v4
	v_or3_b32 v5, v1, v3, v4
	buffer_load_dword v1, off, s[0:3], s33 offset:140 ; 4-byte Folded Reload
	buffer_load_dword v3, off, s[0:3], s33 offset:144 ; 4-byte Folded Reload
	;; [unrolled: 1-line block ×3, first 2 shown]
	s_waitcnt vmcnt(2)
	v_and_b32_e32 v1, 0xff, v1
	s_waitcnt vmcnt(1)
	v_lshlrev_b32_e32 v3, 24, v3
	s_waitcnt vmcnt(0)
	v_lshlrev_b32_e32 v4, 8, v4
	v_lshlrev_b32_e32 v1, 16, v1
	v_perm_b32 v4, v4, v35, s72
	v_or3_b32 v4, v3, v1, v4
	buffer_load_dword v1, off, s[0:3], s33 offset:172 ; 4-byte Folded Reload
	buffer_load_dword v3, off, s[0:3], s33 offset:176 ; 4-byte Folded Reload
	s_waitcnt vmcnt(1)
	v_and_b32_e32 v1, 0xff, v1
	s_waitcnt vmcnt(0)
	v_lshlrev_b32_e32 v3, 24, v3
	v_lshlrev_b32_e32 v1, 16, v1
	v_or3_b32 v6, v3, v1, v6
	buffer_load_dword v1, off, s[0:3], s33 offset:180 ; 4-byte Folded Reload
	buffer_load_dword v3, off, s[0:3], s33 offset:184 ; 4-byte Folded Reload
	;; [unrolled: 1-line block ×3, first 2 shown]
	s_waitcnt vmcnt(1)
	v_perm_b32 v1, v3, v1, s71
	buffer_load_dword v3, off, s[0:3], s33 offset:192 ; 4-byte Folded Reload
	s_waitcnt vmcnt(1)
	v_lshlrev_b32_e32 v7, 16, v7
	s_waitcnt vmcnt(0)
	v_lshlrev_b32_e32 v3, 24, v3
	v_or3_b32 v7, v7, v1, v3
	v_accvgpr_read_b32 v1, a33
	v_addc_co_u32_e32 v9, vcc, v1, v45, vcc
	v_lshlrev_b32_e32 v1, 16, v55
	v_perm_b32 v3, v27, v26, s71
	v_or3_b32 v21, v1, v3, v20
	v_and_b32_e32 v1, 0xff, v19
	v_lshlrev_b32_e32 v3, 24, v49
	v_lshlrev_b32_e32 v1, 16, v1
	v_or3_b32 v20, v3, v1, v0
	v_and_b32_e32 v0, 0xff, v29
	v_lshlrev_b32_e32 v3, 8, v28
	v_lshlrev_b32_e32 v1, 24, v41
	;; [unrolled: 1-line block ×3, first 2 shown]
	v_perm_b32 v3, v3, v56, s72
	v_or3_b32 v22, v1, v0, v3
	v_perm_b32 v0, v25, v50, s71
	v_lshlrev_b32_e32 v1, 24, v2
	v_lshlrev_b32_e32 v2, 16, v48
	v_or3_b32 v23, v2, v0, v1
	v_accvgpr_read_b32 v0, a32
	v_sub_u32_e32 v24, v24, v0
	v_accvgpr_read_b32 v0, a35
	v_add_co_u32_e32 v46, vcc, v46, v0
	v_accvgpr_read_b32 v1, a36
	v_addc_co_u32_e32 v47, vcc, v47, v1, vcc
	v_cmp_gt_i32_e32 vcc, 1, v24
	s_or_b64 s[50:51], vcc, s[50:51]
	v_add_co_u32_e32 v44, vcc, v44, v0
	v_addc_co_u32_e32 v45, vcc, v45, v1, vcc
	global_store_dwordx4 v[8:9], v[4:7], off glc slc
	global_store_dwordx4 v[8:9], v[14:17], off offset:1024 glc slc
	global_store_dwordx4 v[8:9], v[10:13], off offset:2048 glc slc
	;; [unrolled: 1-line block ×3, first 2 shown]
	s_andn2_b64 exec, exec, s[50:51]
	s_cbranch_execz .LBB6_7414
.LBB6_6254:                             ;   Parent Loop BB6_6181 Depth=1
                                        ; =>  This Inner Loop Header: Depth=2
	v_cmp_lt_i16_sdwa s[20:21], v34, s69 src0_sel:BYTE_0 src1_sel:DWORD
	s_and_b64 vcc, exec, s[20:21]
	s_cbranch_vccnz .LBB6_6258
; %bb.6255:                             ;   in Loop: Header=BB6_6254 Depth=2
	v_cmp_eq_u16_sdwa vcc, v34, s69 src0_sel:BYTE_0 src1_sel:DWORD
	s_mov_b64 s[20:21], -1
	s_and_b64 vcc, exec, vcc
                                        ; implicit-def: $sgpr52
	s_cbranch_vccz .LBB6_6257
; %bb.6256:                             ;   in Loop: Header=BB6_6254 Depth=2
	s_mov_b64 s[20:21], 0
	s_brev_b32 s52, 1
.LBB6_6257:                             ;   in Loop: Header=BB6_6254 Depth=2
	s_branch .LBB6_6260
.LBB6_6258:                             ;   in Loop: Header=BB6_6254 Depth=2
	s_mov_b64 s[20:21], 0
                                        ; implicit-def: $sgpr52
	s_cbranch_execz .LBB6_6260
; %bb.6259:                             ;   in Loop: Header=BB6_6254 Depth=2
	v_cmp_ne_u16_sdwa s[20:21], v34, v39 src0_sel:BYTE_0 src1_sel:DWORD
	s_mov_b32 s52, 0
.LBB6_6260:                             ;   in Loop: Header=BB6_6254 Depth=2
	s_andn2_b64 vcc, exec, s[20:21]
	v_mov_b32_e32 v16, s52
	s_cbranch_vccnz .LBB6_6262
; %bb.6261:                             ;   in Loop: Header=BB6_6254 Depth=2
	v_accvgpr_read_b32 v16, a47
.LBB6_6262:                             ;   in Loop: Header=BB6_6254 Depth=2
	v_accvgpr_read_b32 v0, a34
	v_add_co_u32_e32 v14, vcc, v0, v46
	v_accvgpr_read_b32 v1, a33
	v_addc_co_u32_e32 v15, vcc, v1, v47, vcc
	global_load_dwordx4 v[10:13], v[14:15], off glc slc
	v_mov_b32_e32 v0, 0
	s_waitcnt vmcnt(0)
	v_cmp_ne_u16_sdwa vcc, v10, v39 src0_sel:BYTE_0 src1_sel:DWORD
	s_and_saveexec_b64 s[20:21], vcc
	s_cbranch_execz .LBB6_6268
; %bb.6263:                             ;   in Loop: Header=BB6_6254 Depth=2
	v_cmp_ne_u16_sdwa vcc, v10, s69 src0_sel:BYTE_0 src1_sel:DWORD
	v_bfrev_b32_e32 v0, 1
	s_and_saveexec_b64 s[52:53], vcc
	s_cbranch_execz .LBB6_6267
; %bb.6264:                             ;   in Loop: Header=BB6_6254 Depth=2
	v_and_b32_e32 v1, 0x7f, v10
	v_cmp_ne_u32_e32 vcc, s68, v1
	v_mov_b32_e32 v0, 0x7f800001
	s_and_saveexec_b64 s[54:55], vcc
	s_cbranch_execz .LBB6_6266
; %bb.6265:                             ;   in Loop: Header=BB6_6254 Depth=2
	v_and_b32_e32 v0, 7, v10
	v_ffbh_u32_e32 v0, v0
	v_min_u32_e32 v0, 32, v0
	v_lshrrev_b32_e32 v2, 3, v1
	v_subrev_u32_e32 v3, 28, v0
	v_sub_u32_e32 v0, 29, v0
	v_cmp_gt_u32_e32 vcc, 8, v1
	v_cndmask_b32_e32 v2, v2, v0, vcc
	v_cndmask_b32_e32 v0, 0, v3, vcc
	v_lshlrev_b64 v[0:1], v0, v[10:11]
	v_lshlrev_b32_e32 v0, 20, v0
	v_lshlrev_b32_e32 v1, 24, v10
	v_bfrev_b32_e32 v3, 60
	v_and_b32_e32 v0, 0x700000, v0
	v_and_b32_e32 v1, 0x80000000, v1
	v_lshl_add_u32 v2, v2, 23, v3
	v_or3_b32 v0, v1, v2, v0
.LBB6_6266:                             ;   in Loop: Header=BB6_6254 Depth=2
	s_or_b64 exec, exec, s[54:55]
.LBB6_6267:                             ;   in Loop: Header=BB6_6254 Depth=2
	s_or_b64 exec, exec, s[52:53]
.LBB6_6268:                             ;   in Loop: Header=BB6_6254 Depth=2
	s_or_b64 exec, exec, s[20:21]
	v_mul_f32_e32 v1, v16, v0
	v_and_b32_sdwa v0, v1, s69 dst_sel:DWORD dst_unused:UNUSED_PAD src0_sel:BYTE_3 src1_sel:DWORD
	v_and_b32_e32 v2, 0x7f800000, v1
	v_mov_b32_e32 v3, v39
	v_and_b32_e32 v38, 0x7fffff, v1
	v_or_b32_e32 v35, 0x7e, v0
	v_cmp_ne_u64_e32 vcc, s[38:39], v[2:3]
	s_and_saveexec_b64 s[20:21], vcc
	s_xor_b64 s[52:53], exec, s[20:21]
	s_cbranch_execz .LBB6_6278
; %bb.6269:                             ;   in Loop: Header=BB6_6254 Depth=2
	v_and_b32_e32 v2, 0x7fffffff, v1
	v_mov_b32_e32 v3, v39
	v_cmp_gt_u64_e32 vcc, s[40:41], v[2:3]
	s_and_saveexec_b64 s[54:55], vcc
	s_cbranch_execz .LBB6_6277
; %bb.6270:                             ;   in Loop: Header=BB6_6254 Depth=2
	v_cmp_ne_u32_e32 vcc, 0, v1
	v_mov_b32_e32 v35, 0
	s_and_saveexec_b64 s[56:57], vcc
	s_cbranch_execz .LBB6_6276
; %bb.6271:                             ;   in Loop: Header=BB6_6254 Depth=2
	v_bfe_u32 v1, v1, 23, 8
	v_sub_u32_e32 v3, 0x79, v1
	v_cmp_gt_u32_e32 vcc, s70, v1
	v_add_u32_e32 v2, 0xffffff81, v1
	v_cndmask_b32_e32 v3, 0, v3, vcc
	v_cmp_eq_u32_e32 vcc, 0, v1
	v_mov_b32_e32 v1, 0xffffff82
	v_cndmask_b32_e32 v1, v2, v1, vcc
	v_mov_b32_e32 v2, 0x78
	v_or_b32_e32 v4, 0x800000, v38
	v_cndmask_b32_e32 v5, v3, v2, vcc
	v_cndmask_b32_e32 v38, v4, v38, vcc
	v_add_u32_e32 v2, 20, v5
	v_lshlrev_b64 v[2:3], v2, -1
	v_add_u32_e32 v4, 19, v5
	v_lshrrev_b64 v[8:9], v5, v[38:39]
	v_not_b32_e32 v3, v3
	v_not_b32_e32 v2, v2
	v_lshlrev_b64 v[6:7], v4, 1
	v_lshrrev_b32_e32 v4, 23, v8
	v_and_b32_e32 v3, 0, v3
	v_and_b32_e32 v2, v38, v2
	v_add3_u32 v5, v5, v1, v4
	v_bfe_u32 v1, v8, 20, 1
	v_add_u32_e32 v1, -1, v1
	v_cmp_eq_u64_e32 vcc, v[2:3], v[6:7]
	v_cndmask_b32_e32 v1, 0, v1, vcc
	v_add_u32_e32 v1, v1, v8
	v_and_b32_e32 v1, 0xfffff, v1
	v_add_co_u32_e32 v2, vcc, v1, v8
	v_add_u32_e32 v4, 6, v5
	v_addc_co_u32_e32 v3, vcc, 0, v9, vcc
	v_cmp_ne_u32_e32 vcc, 0, v4
                                        ; implicit-def: $vgpr1
	s_and_saveexec_b64 s[20:21], vcc
	s_xor_b64 s[20:21], exec, s[20:21]
; %bb.6272:                             ;   in Loop: Header=BB6_6254 Depth=2
	v_add_u32_e32 v1, 7, v5
	v_cmp_lt_u64_e32 vcc, s[44:45], v[2:3]
	v_cndmask_b32_e32 v1, v4, v1, vcc
	v_cndmask_b32_e64 v4, 0, 1, vcc
	v_lshrrev_b64 v[2:3], v4, v[2:3]
; %bb.6273:                             ;   in Loop: Header=BB6_6254 Depth=2
	s_andn2_saveexec_b64 s[20:21], s[20:21]
; %bb.6274:                             ;   in Loop: Header=BB6_6254 Depth=2
	v_bfe_u32 v1, v2, 23, 1
; %bb.6275:                             ;   in Loop: Header=BB6_6254 Depth=2
	s_or_b64 exec, exec, s[20:21]
	v_lshrrev_b64 v[2:3], 20, v[2:3]
	v_cmp_gt_i32_e32 vcc, 16, v1
	v_cndmask_b32_e32 v3, 0, v3, vcc
	v_cndmask_b32_e32 v2, 7, v2, vcc
	v_cmp_eq_u32_e32 vcc, 0, v1
	v_min_i32_e32 v1, 15, v1
	v_cmp_eq_u64_e64 s[20:21], 0, v[2:3]
	v_lshlrev_b32_e32 v1, 3, v1
	v_and_or_b32 v1, v2, 7, v1
	s_and_b64 s[20:21], vcc, s[20:21]
	v_cndmask_b32_e64 v1, v1, 0, s[20:21]
	v_or_b32_e32 v35, v1, v0
.LBB6_6276:                             ;   in Loop: Header=BB6_6254 Depth=2
	s_or_b64 exec, exec, s[56:57]
.LBB6_6277:                             ;   in Loop: Header=BB6_6254 Depth=2
	s_or_b64 exec, exec, s[54:55]
                                        ; implicit-def: $vgpr1
.LBB6_6278:                             ;   in Loop: Header=BB6_6254 Depth=2
	s_andn2_saveexec_b64 s[20:21], s[52:53]
; %bb.6279:                             ;   in Loop: Header=BB6_6254 Depth=2
	v_or_b32_sdwa v0, v1, s68 dst_sel:DWORD dst_unused:UNUSED_PAD src0_sel:BYTE_3 src1_sel:DWORD
	v_cmp_eq_u64_e32 vcc, 0, v[38:39]
	v_cndmask_b32_e32 v35, v0, v35, vcc
; %bb.6280:                             ;   in Loop: Header=BB6_6254 Depth=2
	s_or_b64 exec, exec, s[20:21]
	v_lshrrev_b16_e32 v2, 8, v10
	v_cmp_ne_u16_e32 vcc, 0, v2
	v_mov_b32_e32 v0, 0
	s_and_saveexec_b64 s[20:21], vcc
	s_cbranch_execz .LBB6_6286
; %bb.6281:                             ;   in Loop: Header=BB6_6254 Depth=2
	v_cmp_ne_u16_e32 vcc, s69, v2
	v_bfrev_b32_e32 v0, 1
	s_and_saveexec_b64 s[52:53], vcc
	s_cbranch_execz .LBB6_6285
; %bb.6282:                             ;   in Loop: Header=BB6_6254 Depth=2
	v_and_b32_e32 v1, 0x7f, v2
	v_cmp_ne_u32_e32 vcc, s68, v1
	v_mov_b32_e32 v0, 0x7f800001
	s_and_saveexec_b64 s[54:55], vcc
	s_cbranch_execz .LBB6_6284
; %bb.6283:                             ;   in Loop: Header=BB6_6254 Depth=2
	v_and_b32_e32 v0, 7, v2
	v_ffbh_u32_e32 v3, v0
	v_min_u32_e32 v5, 32, v3
	v_subrev_u32_e32 v3, 28, v5
	v_lshlrev_b64 v[2:3], v3, v[2:3]
	v_lshrrev_b32_e32 v4, 3, v1
	v_sub_u32_e32 v3, 29, v5
	v_and_b32_e32 v2, 7, v2
	v_cmp_gt_u32_e32 vcc, 8, v1
	v_cndmask_b32_e32 v1, v4, v3, vcc
	v_cndmask_b32_e32 v0, v0, v2, vcc
	v_lshlrev_b32_e32 v2, 16, v10
	v_bfrev_b32_e32 v3, 60
	v_lshlrev_b32_e32 v0, 20, v0
	v_and_b32_e32 v2, 0x80000000, v2
	v_lshl_add_u32 v1, v1, 23, v3
	v_or3_b32 v0, v2, v1, v0
.LBB6_6284:                             ;   in Loop: Header=BB6_6254 Depth=2
	s_or_b64 exec, exec, s[54:55]
.LBB6_6285:                             ;   in Loop: Header=BB6_6254 Depth=2
	s_or_b64 exec, exec, s[52:53]
.LBB6_6286:                             ;   in Loop: Header=BB6_6254 Depth=2
	s_or_b64 exec, exec, s[20:21]
	v_mul_f32_e32 v1, v16, v0
	v_and_b32_sdwa v0, v1, s69 dst_sel:DWORD dst_unused:UNUSED_PAD src0_sel:BYTE_3 src1_sel:DWORD
	v_or_b32_e32 v2, 0x7e, v0
	buffer_store_dword v2, off, s[0:3], s33 offset:136 ; 4-byte Folded Spill
	v_and_b32_e32 v2, 0x7f800000, v1
	v_mov_b32_e32 v3, v39
	v_and_b32_e32 v38, 0x7fffff, v1
	v_cmp_ne_u64_e32 vcc, s[38:39], v[2:3]
	s_and_saveexec_b64 s[20:21], vcc
	s_xor_b64 s[52:53], exec, s[20:21]
	s_cbranch_execz .LBB6_6296
; %bb.6287:                             ;   in Loop: Header=BB6_6254 Depth=2
	v_and_b32_e32 v2, 0x7fffffff, v1
	v_mov_b32_e32 v3, v39
	v_cmp_gt_u64_e32 vcc, s[40:41], v[2:3]
	s_and_saveexec_b64 s[54:55], vcc
	s_cbranch_execz .LBB6_6295
; %bb.6288:                             ;   in Loop: Header=BB6_6254 Depth=2
	v_cmp_ne_u32_e32 vcc, 0, v1
	v_mov_b32_e32 v2, 0
	buffer_store_dword v2, off, s[0:3], s33 offset:136 ; 4-byte Folded Spill
	s_and_saveexec_b64 s[56:57], vcc
	s_cbranch_execz .LBB6_6294
; %bb.6289:                             ;   in Loop: Header=BB6_6254 Depth=2
	v_bfe_u32 v1, v1, 23, 8
	v_sub_u32_e32 v3, 0x79, v1
	v_cmp_gt_u32_e32 vcc, s70, v1
	v_add_u32_e32 v2, 0xffffff81, v1
	v_cndmask_b32_e32 v3, 0, v3, vcc
	v_cmp_eq_u32_e32 vcc, 0, v1
	v_mov_b32_e32 v1, 0xffffff82
	v_cndmask_b32_e32 v1, v2, v1, vcc
	v_mov_b32_e32 v2, 0x78
	v_or_b32_e32 v4, 0x800000, v38
	v_cndmask_b32_e32 v5, v3, v2, vcc
	v_cndmask_b32_e32 v38, v4, v38, vcc
	v_add_u32_e32 v2, 20, v5
	v_lshlrev_b64 v[2:3], v2, -1
	v_add_u32_e32 v4, 19, v5
	v_lshrrev_b64 v[8:9], v5, v[38:39]
	v_not_b32_e32 v3, v3
	v_not_b32_e32 v2, v2
	v_lshlrev_b64 v[6:7], v4, 1
	v_lshrrev_b32_e32 v4, 23, v8
	v_and_b32_e32 v3, 0, v3
	v_and_b32_e32 v2, v38, v2
	v_add3_u32 v5, v5, v1, v4
	v_bfe_u32 v1, v8, 20, 1
	v_add_u32_e32 v1, -1, v1
	v_cmp_eq_u64_e32 vcc, v[2:3], v[6:7]
	v_cndmask_b32_e32 v1, 0, v1, vcc
	v_add_u32_e32 v1, v1, v8
	v_and_b32_e32 v1, 0xfffff, v1
	v_add_co_u32_e32 v2, vcc, v1, v8
	v_add_u32_e32 v4, 6, v5
	v_addc_co_u32_e32 v3, vcc, 0, v9, vcc
	v_cmp_ne_u32_e32 vcc, 0, v4
                                        ; implicit-def: $vgpr1
	s_and_saveexec_b64 s[20:21], vcc
	s_xor_b64 s[20:21], exec, s[20:21]
; %bb.6290:                             ;   in Loop: Header=BB6_6254 Depth=2
	v_add_u32_e32 v1, 7, v5
	v_cmp_lt_u64_e32 vcc, s[44:45], v[2:3]
	v_cndmask_b32_e32 v1, v4, v1, vcc
	v_cndmask_b32_e64 v4, 0, 1, vcc
	v_lshrrev_b64 v[2:3], v4, v[2:3]
; %bb.6291:                             ;   in Loop: Header=BB6_6254 Depth=2
	s_andn2_saveexec_b64 s[20:21], s[20:21]
; %bb.6292:                             ;   in Loop: Header=BB6_6254 Depth=2
	v_bfe_u32 v1, v2, 23, 1
; %bb.6293:                             ;   in Loop: Header=BB6_6254 Depth=2
	s_or_b64 exec, exec, s[20:21]
	v_lshrrev_b64 v[2:3], 20, v[2:3]
	v_cmp_gt_i32_e32 vcc, 16, v1
	v_cndmask_b32_e32 v3, 0, v3, vcc
	v_cndmask_b32_e32 v2, 7, v2, vcc
	v_cmp_eq_u32_e32 vcc, 0, v1
	v_min_i32_e32 v1, 15, v1
	v_cmp_eq_u64_e64 s[20:21], 0, v[2:3]
	v_lshlrev_b32_e32 v1, 3, v1
	v_and_or_b32 v1, v2, 7, v1
	s_and_b64 s[20:21], vcc, s[20:21]
	v_cndmask_b32_e64 v1, v1, 0, s[20:21]
	v_or_b32_e32 v0, v1, v0
	buffer_store_dword v0, off, s[0:3], s33 offset:136 ; 4-byte Folded Spill
.LBB6_6294:                             ;   in Loop: Header=BB6_6254 Depth=2
	s_or_b64 exec, exec, s[56:57]
.LBB6_6295:                             ;   in Loop: Header=BB6_6254 Depth=2
	s_or_b64 exec, exec, s[54:55]
                                        ; implicit-def: $vgpr1
.LBB6_6296:                             ;   in Loop: Header=BB6_6254 Depth=2
	s_andn2_saveexec_b64 s[20:21], s[52:53]
	s_cbranch_execz .LBB6_6298
; %bb.6297:                             ;   in Loop: Header=BB6_6254 Depth=2
	v_or_b32_sdwa v0, v1, s68 dst_sel:DWORD dst_unused:UNUSED_PAD src0_sel:BYTE_3 src1_sel:DWORD
	buffer_load_dword v1, off, s[0:3], s33 offset:136 ; 4-byte Folded Reload
	v_cmp_eq_u64_e32 vcc, 0, v[38:39]
	s_waitcnt vmcnt(0)
	v_cndmask_b32_e32 v1, v0, v1, vcc
	buffer_store_dword v1, off, s[0:3], s33 offset:136 ; 4-byte Folded Spill
.LBB6_6298:                             ;   in Loop: Header=BB6_6254 Depth=2
	s_or_b64 exec, exec, s[20:21]
	v_lshrrev_b32_e32 v2, 16, v10
	v_cmp_ne_u16_sdwa vcc, v2, v39 src0_sel:BYTE_0 src1_sel:DWORD
	v_mov_b32_e32 v0, 0
	s_and_saveexec_b64 s[20:21], vcc
	s_cbranch_execz .LBB6_6304
; %bb.6299:                             ;   in Loop: Header=BB6_6254 Depth=2
	v_cmp_ne_u16_sdwa vcc, v2, s69 src0_sel:BYTE_0 src1_sel:DWORD
	v_bfrev_b32_e32 v0, 1
	s_and_saveexec_b64 s[52:53], vcc
	s_cbranch_execz .LBB6_6303
; %bb.6300:                             ;   in Loop: Header=BB6_6254 Depth=2
	v_bfe_u32 v1, v10, 16, 7
	v_cmp_ne_u32_e32 vcc, s68, v1
	v_mov_b32_e32 v0, 0x7f800001
	s_and_saveexec_b64 s[54:55], vcc
	s_cbranch_execz .LBB6_6302
; %bb.6301:                             ;   in Loop: Header=BB6_6254 Depth=2
	v_and_b32_e32 v0, 7, v2
	v_ffbh_u32_e32 v4, v0
	v_min_u32_e32 v6, 32, v4
	v_lshrrev_b32_e32 v3, 3, v1
	v_subrev_u32_e32 v4, 28, v6
	v_lshlrev_b64 v[4:5], v4, v[2:3]
	v_sub_u32_e32 v5, 29, v6
	v_and_b32_e32 v4, 7, v4
	v_cmp_gt_u32_e32 vcc, 8, v1
	v_cndmask_b32_e32 v1, v3, v5, vcc
	v_cndmask_b32_e32 v0, v0, v4, vcc
	v_lshlrev_b32_e32 v2, 24, v2
	v_bfrev_b32_e32 v3, 60
	v_lshlrev_b32_e32 v0, 20, v0
	v_and_b32_e32 v2, 0x80000000, v2
	v_lshl_add_u32 v1, v1, 23, v3
	v_or3_b32 v0, v2, v1, v0
.LBB6_6302:                             ;   in Loop: Header=BB6_6254 Depth=2
	s_or_b64 exec, exec, s[54:55]
.LBB6_6303:                             ;   in Loop: Header=BB6_6254 Depth=2
	s_or_b64 exec, exec, s[52:53]
.LBB6_6304:                             ;   in Loop: Header=BB6_6254 Depth=2
	s_or_b64 exec, exec, s[20:21]
	v_mul_f32_e32 v1, v16, v0
	v_and_b32_sdwa v0, v1, s69 dst_sel:DWORD dst_unused:UNUSED_PAD src0_sel:BYTE_3 src1_sel:DWORD
	v_or_b32_e32 v2, 0x7e, v0
	buffer_store_dword v2, off, s[0:3], s33 offset:140 ; 4-byte Folded Spill
	v_and_b32_e32 v2, 0x7f800000, v1
	v_mov_b32_e32 v3, v39
	v_and_b32_e32 v38, 0x7fffff, v1
	v_cmp_ne_u64_e32 vcc, s[38:39], v[2:3]
	s_and_saveexec_b64 s[20:21], vcc
	s_xor_b64 s[52:53], exec, s[20:21]
	s_cbranch_execz .LBB6_6314
; %bb.6305:                             ;   in Loop: Header=BB6_6254 Depth=2
	v_and_b32_e32 v2, 0x7fffffff, v1
	v_mov_b32_e32 v3, v39
	v_cmp_gt_u64_e32 vcc, s[40:41], v[2:3]
	s_and_saveexec_b64 s[54:55], vcc
	s_cbranch_execz .LBB6_6313
; %bb.6306:                             ;   in Loop: Header=BB6_6254 Depth=2
	v_cmp_ne_u32_e32 vcc, 0, v1
	v_mov_b32_e32 v2, 0
	buffer_store_dword v2, off, s[0:3], s33 offset:140 ; 4-byte Folded Spill
	s_and_saveexec_b64 s[56:57], vcc
	s_cbranch_execz .LBB6_6312
; %bb.6307:                             ;   in Loop: Header=BB6_6254 Depth=2
	v_bfe_u32 v1, v1, 23, 8
	v_sub_u32_e32 v3, 0x79, v1
	v_cmp_gt_u32_e32 vcc, s70, v1
	v_add_u32_e32 v2, 0xffffff81, v1
	v_cndmask_b32_e32 v3, 0, v3, vcc
	v_cmp_eq_u32_e32 vcc, 0, v1
	v_mov_b32_e32 v1, 0xffffff82
	v_cndmask_b32_e32 v1, v2, v1, vcc
	v_mov_b32_e32 v2, 0x78
	v_or_b32_e32 v4, 0x800000, v38
	v_cndmask_b32_e32 v5, v3, v2, vcc
	v_cndmask_b32_e32 v38, v4, v38, vcc
	v_add_u32_e32 v2, 20, v5
	v_lshlrev_b64 v[2:3], v2, -1
	v_add_u32_e32 v4, 19, v5
	v_lshrrev_b64 v[8:9], v5, v[38:39]
	v_not_b32_e32 v3, v3
	v_not_b32_e32 v2, v2
	v_lshlrev_b64 v[6:7], v4, 1
	v_lshrrev_b32_e32 v4, 23, v8
	v_and_b32_e32 v3, 0, v3
	v_and_b32_e32 v2, v38, v2
	v_add3_u32 v5, v5, v1, v4
	v_bfe_u32 v1, v8, 20, 1
	v_add_u32_e32 v1, -1, v1
	v_cmp_eq_u64_e32 vcc, v[2:3], v[6:7]
	v_cndmask_b32_e32 v1, 0, v1, vcc
	v_add_u32_e32 v1, v1, v8
	v_and_b32_e32 v1, 0xfffff, v1
	v_add_co_u32_e32 v2, vcc, v1, v8
	v_add_u32_e32 v4, 6, v5
	v_addc_co_u32_e32 v3, vcc, 0, v9, vcc
	v_cmp_ne_u32_e32 vcc, 0, v4
                                        ; implicit-def: $vgpr1
	s_and_saveexec_b64 s[20:21], vcc
	s_xor_b64 s[20:21], exec, s[20:21]
; %bb.6308:                             ;   in Loop: Header=BB6_6254 Depth=2
	v_add_u32_e32 v1, 7, v5
	v_cmp_lt_u64_e32 vcc, s[44:45], v[2:3]
	v_cndmask_b32_e32 v1, v4, v1, vcc
	v_cndmask_b32_e64 v4, 0, 1, vcc
	v_lshrrev_b64 v[2:3], v4, v[2:3]
; %bb.6309:                             ;   in Loop: Header=BB6_6254 Depth=2
	s_andn2_saveexec_b64 s[20:21], s[20:21]
; %bb.6310:                             ;   in Loop: Header=BB6_6254 Depth=2
	v_bfe_u32 v1, v2, 23, 1
; %bb.6311:                             ;   in Loop: Header=BB6_6254 Depth=2
	s_or_b64 exec, exec, s[20:21]
	v_lshrrev_b64 v[2:3], 20, v[2:3]
	v_cmp_gt_i32_e32 vcc, 16, v1
	v_cndmask_b32_e32 v3, 0, v3, vcc
	v_cndmask_b32_e32 v2, 7, v2, vcc
	v_cmp_eq_u32_e32 vcc, 0, v1
	v_min_i32_e32 v1, 15, v1
	v_cmp_eq_u64_e64 s[20:21], 0, v[2:3]
	v_lshlrev_b32_e32 v1, 3, v1
	v_and_or_b32 v1, v2, 7, v1
	s_and_b64 s[20:21], vcc, s[20:21]
	v_cndmask_b32_e64 v1, v1, 0, s[20:21]
	v_or_b32_e32 v0, v1, v0
	buffer_store_dword v0, off, s[0:3], s33 offset:140 ; 4-byte Folded Spill
.LBB6_6312:                             ;   in Loop: Header=BB6_6254 Depth=2
	s_or_b64 exec, exec, s[56:57]
.LBB6_6313:                             ;   in Loop: Header=BB6_6254 Depth=2
	s_or_b64 exec, exec, s[54:55]
                                        ; implicit-def: $vgpr1
.LBB6_6314:                             ;   in Loop: Header=BB6_6254 Depth=2
	s_andn2_saveexec_b64 s[20:21], s[52:53]
	s_cbranch_execz .LBB6_6316
; %bb.6315:                             ;   in Loop: Header=BB6_6254 Depth=2
	v_or_b32_sdwa v0, v1, s68 dst_sel:DWORD dst_unused:UNUSED_PAD src0_sel:BYTE_3 src1_sel:DWORD
	buffer_load_dword v1, off, s[0:3], s33 offset:140 ; 4-byte Folded Reload
	v_cmp_eq_u64_e32 vcc, 0, v[38:39]
	s_waitcnt vmcnt(0)
	v_cndmask_b32_e32 v1, v0, v1, vcc
	buffer_store_dword v1, off, s[0:3], s33 offset:140 ; 4-byte Folded Spill
.LBB6_6316:                             ;   in Loop: Header=BB6_6254 Depth=2
	s_or_b64 exec, exec, s[20:21]
	v_cmp_lt_u32_e32 vcc, s43, v10
	v_mov_b32_e32 v0, 0
	s_and_saveexec_b64 s[20:21], vcc
	s_cbranch_execz .LBB6_6322
; %bb.6317:                             ;   in Loop: Header=BB6_6254 Depth=2
	v_lshrrev_b32_e32 v2, 24, v10
	v_cmp_ne_u32_e32 vcc, s69, v2
	v_bfrev_b32_e32 v0, 1
	s_and_saveexec_b64 s[52:53], vcc
	s_cbranch_execz .LBB6_6321
; %bb.6318:                             ;   in Loop: Header=BB6_6254 Depth=2
	v_bfe_u32 v1, v10, 24, 7
	v_cmp_ne_u32_e32 vcc, s68, v1
	v_mov_b32_e32 v0, 0x7f800001
	s_and_saveexec_b64 s[54:55], vcc
	s_cbranch_execz .LBB6_6320
; %bb.6319:                             ;   in Loop: Header=BB6_6254 Depth=2
	v_and_b32_e32 v0, 7, v2
	v_ffbh_u32_e32 v4, v0
	v_min_u32_e32 v6, 32, v4
	v_lshrrev_b32_e32 v3, 3, v1
	v_subrev_u32_e32 v4, 28, v6
	v_lshlrev_b64 v[4:5], v4, v[2:3]
	v_sub_u32_e32 v5, 29, v6
	v_and_b32_e32 v4, 7, v4
	v_cmp_gt_u32_e32 vcc, 8, v1
	v_cndmask_b32_e32 v1, v3, v5, vcc
	v_cndmask_b32_e32 v0, v0, v4, vcc
	v_lshlrev_b32_e32 v2, 24, v2
	v_bfrev_b32_e32 v3, 60
	v_lshlrev_b32_e32 v0, 20, v0
	v_and_b32_e32 v2, 0x80000000, v2
	v_lshl_add_u32 v1, v1, 23, v3
	v_or3_b32 v0, v2, v1, v0
.LBB6_6320:                             ;   in Loop: Header=BB6_6254 Depth=2
	s_or_b64 exec, exec, s[54:55]
.LBB6_6321:                             ;   in Loop: Header=BB6_6254 Depth=2
	s_or_b64 exec, exec, s[52:53]
.LBB6_6322:                             ;   in Loop: Header=BB6_6254 Depth=2
	s_or_b64 exec, exec, s[20:21]
	v_mul_f32_e32 v1, v16, v0
	v_and_b32_sdwa v0, v1, s69 dst_sel:DWORD dst_unused:UNUSED_PAD src0_sel:BYTE_3 src1_sel:DWORD
	v_or_b32_e32 v2, 0x7e, v0
	buffer_store_dword v2, off, s[0:3], s33 offset:144 ; 4-byte Folded Spill
	v_and_b32_e32 v2, 0x7f800000, v1
	v_mov_b32_e32 v3, v39
	v_and_b32_e32 v38, 0x7fffff, v1
	v_cmp_ne_u64_e32 vcc, s[38:39], v[2:3]
	s_and_saveexec_b64 s[20:21], vcc
	s_xor_b64 s[52:53], exec, s[20:21]
	s_cbranch_execz .LBB6_6332
; %bb.6323:                             ;   in Loop: Header=BB6_6254 Depth=2
	v_and_b32_e32 v2, 0x7fffffff, v1
	v_mov_b32_e32 v3, v39
	v_cmp_gt_u64_e32 vcc, s[40:41], v[2:3]
	s_and_saveexec_b64 s[54:55], vcc
	s_cbranch_execz .LBB6_6331
; %bb.6324:                             ;   in Loop: Header=BB6_6254 Depth=2
	v_cmp_ne_u32_e32 vcc, 0, v1
	v_mov_b32_e32 v2, 0
	buffer_store_dword v2, off, s[0:3], s33 offset:144 ; 4-byte Folded Spill
	s_and_saveexec_b64 s[56:57], vcc
	s_cbranch_execz .LBB6_6330
; %bb.6325:                             ;   in Loop: Header=BB6_6254 Depth=2
	v_bfe_u32 v1, v1, 23, 8
	v_sub_u32_e32 v3, 0x79, v1
	v_cmp_gt_u32_e32 vcc, s70, v1
	v_add_u32_e32 v2, 0xffffff81, v1
	v_cndmask_b32_e32 v3, 0, v3, vcc
	v_cmp_eq_u32_e32 vcc, 0, v1
	v_mov_b32_e32 v1, 0xffffff82
	v_cndmask_b32_e32 v1, v2, v1, vcc
	v_mov_b32_e32 v2, 0x78
	v_or_b32_e32 v4, 0x800000, v38
	v_cndmask_b32_e32 v5, v3, v2, vcc
	v_cndmask_b32_e32 v38, v4, v38, vcc
	v_add_u32_e32 v2, 20, v5
	v_lshlrev_b64 v[2:3], v2, -1
	v_add_u32_e32 v4, 19, v5
	v_lshrrev_b64 v[8:9], v5, v[38:39]
	v_not_b32_e32 v3, v3
	v_not_b32_e32 v2, v2
	v_lshlrev_b64 v[6:7], v4, 1
	v_lshrrev_b32_e32 v4, 23, v8
	v_and_b32_e32 v3, 0, v3
	v_and_b32_e32 v2, v38, v2
	v_add3_u32 v5, v5, v1, v4
	v_bfe_u32 v1, v8, 20, 1
	v_add_u32_e32 v1, -1, v1
	v_cmp_eq_u64_e32 vcc, v[2:3], v[6:7]
	v_cndmask_b32_e32 v1, 0, v1, vcc
	v_add_u32_e32 v1, v1, v8
	v_and_b32_e32 v1, 0xfffff, v1
	v_add_co_u32_e32 v2, vcc, v1, v8
	v_add_u32_e32 v4, 6, v5
	v_addc_co_u32_e32 v3, vcc, 0, v9, vcc
	v_cmp_ne_u32_e32 vcc, 0, v4
                                        ; implicit-def: $vgpr1
	s_and_saveexec_b64 s[20:21], vcc
	s_xor_b64 s[20:21], exec, s[20:21]
; %bb.6326:                             ;   in Loop: Header=BB6_6254 Depth=2
	v_add_u32_e32 v1, 7, v5
	v_cmp_lt_u64_e32 vcc, s[44:45], v[2:3]
	v_cndmask_b32_e32 v1, v4, v1, vcc
	v_cndmask_b32_e64 v4, 0, 1, vcc
	v_lshrrev_b64 v[2:3], v4, v[2:3]
; %bb.6327:                             ;   in Loop: Header=BB6_6254 Depth=2
	s_andn2_saveexec_b64 s[20:21], s[20:21]
; %bb.6328:                             ;   in Loop: Header=BB6_6254 Depth=2
	v_bfe_u32 v1, v2, 23, 1
; %bb.6329:                             ;   in Loop: Header=BB6_6254 Depth=2
	s_or_b64 exec, exec, s[20:21]
	v_lshrrev_b64 v[2:3], 20, v[2:3]
	v_cmp_gt_i32_e32 vcc, 16, v1
	v_cndmask_b32_e32 v3, 0, v3, vcc
	v_cndmask_b32_e32 v2, 7, v2, vcc
	v_cmp_eq_u32_e32 vcc, 0, v1
	v_min_i32_e32 v1, 15, v1
	v_cmp_eq_u64_e64 s[20:21], 0, v[2:3]
	v_lshlrev_b32_e32 v1, 3, v1
	v_and_or_b32 v1, v2, 7, v1
	s_and_b64 s[20:21], vcc, s[20:21]
	v_cndmask_b32_e64 v1, v1, 0, s[20:21]
	v_or_b32_e32 v0, v1, v0
	buffer_store_dword v0, off, s[0:3], s33 offset:144 ; 4-byte Folded Spill
.LBB6_6330:                             ;   in Loop: Header=BB6_6254 Depth=2
	s_or_b64 exec, exec, s[56:57]
.LBB6_6331:                             ;   in Loop: Header=BB6_6254 Depth=2
	s_or_b64 exec, exec, s[54:55]
                                        ; implicit-def: $vgpr1
.LBB6_6332:                             ;   in Loop: Header=BB6_6254 Depth=2
	s_andn2_saveexec_b64 s[20:21], s[52:53]
	s_cbranch_execz .LBB6_6334
; %bb.6333:                             ;   in Loop: Header=BB6_6254 Depth=2
	v_or_b32_sdwa v0, v1, s68 dst_sel:DWORD dst_unused:UNUSED_PAD src0_sel:BYTE_3 src1_sel:DWORD
	buffer_load_dword v1, off, s[0:3], s33 offset:144 ; 4-byte Folded Reload
	v_cmp_eq_u64_e32 vcc, 0, v[38:39]
	s_waitcnt vmcnt(0)
	v_cndmask_b32_e32 v1, v0, v1, vcc
	buffer_store_dword v1, off, s[0:3], s33 offset:144 ; 4-byte Folded Spill
.LBB6_6334:                             ;   in Loop: Header=BB6_6254 Depth=2
	s_or_b64 exec, exec, s[20:21]
	v_mov_b32_e32 v38, v11
	v_cmp_ne_u16_sdwa vcc, v11, v39 src0_sel:BYTE_0 src1_sel:DWORD
	v_mov_b32_e32 v0, 0
	s_and_saveexec_b64 s[20:21], vcc
	s_cbranch_execz .LBB6_6340
; %bb.6335:                             ;   in Loop: Header=BB6_6254 Depth=2
	v_cmp_ne_u16_sdwa vcc, v11, s69 src0_sel:BYTE_0 src1_sel:DWORD
	v_bfrev_b32_e32 v0, 1
	s_and_saveexec_b64 s[52:53], vcc
	s_cbranch_execz .LBB6_6339
; %bb.6336:                             ;   in Loop: Header=BB6_6254 Depth=2
	v_and_b32_e32 v1, 0x7f, v11
	v_cmp_ne_u32_e32 vcc, s68, v1
	v_mov_b32_e32 v0, 0x7f800001
	s_and_saveexec_b64 s[54:55], vcc
	s_cbranch_execz .LBB6_6338
; %bb.6337:                             ;   in Loop: Header=BB6_6254 Depth=2
	v_and_b32_e32 v0, 7, v11
	v_ffbh_u32_e32 v0, v0
	v_min_u32_e32 v0, 32, v0
	v_lshrrev_b32_e32 v2, 3, v1
	v_subrev_u32_e32 v3, 28, v0
	v_sub_u32_e32 v0, 29, v0
	v_cmp_gt_u32_e32 vcc, 8, v1
	v_cndmask_b32_e32 v2, v2, v0, vcc
	v_cndmask_b32_e32 v0, 0, v3, vcc
	v_lshlrev_b64 v[0:1], v0, v[38:39]
	v_lshlrev_b32_e32 v0, 20, v0
	v_lshlrev_b32_e32 v1, 24, v38
	v_bfrev_b32_e32 v3, 60
	v_and_b32_e32 v0, 0x700000, v0
	v_and_b32_e32 v1, 0x80000000, v1
	v_lshl_add_u32 v2, v2, 23, v3
	v_or3_b32 v0, v1, v2, v0
.LBB6_6338:                             ;   in Loop: Header=BB6_6254 Depth=2
	s_or_b64 exec, exec, s[54:55]
.LBB6_6339:                             ;   in Loop: Header=BB6_6254 Depth=2
	s_or_b64 exec, exec, s[52:53]
.LBB6_6340:                             ;   in Loop: Header=BB6_6254 Depth=2
	s_or_b64 exec, exec, s[20:21]
	v_mul_f32_e32 v1, v16, v0
	v_and_b32_sdwa v0, v1, s69 dst_sel:DWORD dst_unused:UNUSED_PAD src0_sel:BYTE_3 src1_sel:DWORD
	v_or_b32_e32 v4, 0x7e, v0
	buffer_store_dword v4, off, s[0:3], s33 offset:148 ; 4-byte Folded Spill
	v_and_b32_e32 v4, 0x7f800000, v1
	v_mov_b32_e32 v5, v39
	v_and_b32_e32 v2, 0x7fffff, v1
	v_mov_b32_e32 v3, v39
	v_cmp_ne_u64_e32 vcc, s[38:39], v[4:5]
	s_and_saveexec_b64 s[20:21], vcc
	s_xor_b64 s[52:53], exec, s[20:21]
	s_cbranch_execz .LBB6_6350
; %bb.6341:                             ;   in Loop: Header=BB6_6254 Depth=2
	v_and_b32_e32 v4, 0x7fffffff, v1
	v_mov_b32_e32 v5, v39
	v_cmp_gt_u64_e32 vcc, s[40:41], v[4:5]
	s_and_saveexec_b64 s[54:55], vcc
	s_cbranch_execz .LBB6_6349
; %bb.6342:                             ;   in Loop: Header=BB6_6254 Depth=2
	v_cmp_ne_u32_e32 vcc, 0, v1
	v_mov_b32_e32 v4, 0
	buffer_store_dword v4, off, s[0:3], s33 offset:148 ; 4-byte Folded Spill
	s_and_saveexec_b64 s[56:57], vcc
	s_cbranch_execz .LBB6_6348
; %bb.6343:                             ;   in Loop: Header=BB6_6254 Depth=2
	v_bfe_u32 v1, v1, 23, 8
	v_sub_u32_e32 v5, 0x79, v1
	v_cmp_gt_u32_e32 vcc, s70, v1
	v_add_u32_e32 v4, 0xffffff81, v1
	v_cndmask_b32_e32 v5, 0, v5, vcc
	v_cmp_eq_u32_e32 vcc, 0, v1
	v_mov_b32_e32 v1, 0xffffff82
	v_cndmask_b32_e32 v1, v4, v1, vcc
	v_mov_b32_e32 v4, 0x78
	v_cndmask_b32_e32 v17, v5, v4, vcc
	v_add_u32_e32 v4, 20, v17
	v_or_b32_e32 v6, 0x800000, v2
	v_lshlrev_b64 v[4:5], v4, -1
	v_cndmask_b32_e32 v2, v6, v2, vcc
	v_not_b32_e32 v4, v4
	v_and_b32_e32 v6, v2, v4
	v_add_u32_e32 v4, 19, v17
	v_lshrrev_b64 v[2:3], v17, v[2:3]
	v_not_b32_e32 v5, v5
	v_lshlrev_b64 v[8:9], v4, 1
	v_lshrrev_b32_e32 v4, 23, v2
	v_and_b32_e32 v7, 0, v5
	v_add3_u32 v5, v17, v1, v4
	v_bfe_u32 v1, v2, 20, 1
	v_add_u32_e32 v1, -1, v1
	v_cmp_eq_u64_e32 vcc, v[6:7], v[8:9]
	v_cndmask_b32_e32 v1, 0, v1, vcc
	v_add_u32_e32 v1, v1, v2
	v_and_b32_e32 v1, 0xfffff, v1
	v_add_co_u32_e32 v2, vcc, v1, v2
	v_add_u32_e32 v4, 6, v5
	v_addc_co_u32_e32 v3, vcc, 0, v3, vcc
	v_cmp_ne_u32_e32 vcc, 0, v4
                                        ; implicit-def: $vgpr1
	s_and_saveexec_b64 s[20:21], vcc
	s_xor_b64 s[20:21], exec, s[20:21]
; %bb.6344:                             ;   in Loop: Header=BB6_6254 Depth=2
	v_add_u32_e32 v1, 7, v5
	v_cmp_lt_u64_e32 vcc, s[44:45], v[2:3]
	v_cndmask_b32_e32 v1, v4, v1, vcc
	v_cndmask_b32_e64 v4, 0, 1, vcc
	v_lshrrev_b64 v[2:3], v4, v[2:3]
; %bb.6345:                             ;   in Loop: Header=BB6_6254 Depth=2
	s_andn2_saveexec_b64 s[20:21], s[20:21]
; %bb.6346:                             ;   in Loop: Header=BB6_6254 Depth=2
	v_bfe_u32 v1, v2, 23, 1
; %bb.6347:                             ;   in Loop: Header=BB6_6254 Depth=2
	s_or_b64 exec, exec, s[20:21]
	v_lshrrev_b64 v[2:3], 20, v[2:3]
	v_cmp_gt_i32_e32 vcc, 16, v1
	v_cndmask_b32_e32 v3, 0, v3, vcc
	v_cndmask_b32_e32 v2, 7, v2, vcc
	v_cmp_eq_u32_e32 vcc, 0, v1
	v_min_i32_e32 v1, 15, v1
	v_cmp_eq_u64_e64 s[20:21], 0, v[2:3]
	v_lshlrev_b32_e32 v1, 3, v1
	v_and_or_b32 v1, v2, 7, v1
	s_and_b64 s[20:21], vcc, s[20:21]
	v_cndmask_b32_e64 v1, v1, 0, s[20:21]
	v_or_b32_e32 v0, v1, v0
	buffer_store_dword v0, off, s[0:3], s33 offset:148 ; 4-byte Folded Spill
.LBB6_6348:                             ;   in Loop: Header=BB6_6254 Depth=2
	s_or_b64 exec, exec, s[56:57]
.LBB6_6349:                             ;   in Loop: Header=BB6_6254 Depth=2
	s_or_b64 exec, exec, s[54:55]
                                        ; implicit-def: $vgpr1
                                        ; implicit-def: $vgpr2_vgpr3
.LBB6_6350:                             ;   in Loop: Header=BB6_6254 Depth=2
	s_andn2_saveexec_b64 s[20:21], s[52:53]
	s_cbranch_execz .LBB6_6352
; %bb.6351:                             ;   in Loop: Header=BB6_6254 Depth=2
	v_or_b32_sdwa v0, v1, s68 dst_sel:DWORD dst_unused:UNUSED_PAD src0_sel:BYTE_3 src1_sel:DWORD
	buffer_load_dword v1, off, s[0:3], s33 offset:148 ; 4-byte Folded Reload
	v_cmp_eq_u64_e32 vcc, 0, v[2:3]
	s_waitcnt vmcnt(0)
	v_cndmask_b32_e32 v1, v0, v1, vcc
	buffer_store_dword v1, off, s[0:3], s33 offset:148 ; 4-byte Folded Spill
.LBB6_6352:                             ;   in Loop: Header=BB6_6254 Depth=2
	s_or_b64 exec, exec, s[20:21]
	v_lshrrev_b16_e32 v2, 8, v38
	v_cmp_ne_u16_e32 vcc, 0, v2
	v_mov_b32_e32 v0, 0
	s_and_saveexec_b64 s[20:21], vcc
	s_cbranch_execz .LBB6_6358
; %bb.6353:                             ;   in Loop: Header=BB6_6254 Depth=2
	v_cmp_ne_u16_e32 vcc, s69, v2
	v_bfrev_b32_e32 v0, 1
	s_and_saveexec_b64 s[52:53], vcc
	s_cbranch_execz .LBB6_6357
; %bb.6354:                             ;   in Loop: Header=BB6_6254 Depth=2
	v_and_b32_e32 v1, 0x7f, v2
	v_cmp_ne_u32_e32 vcc, s68, v1
	v_mov_b32_e32 v0, 0x7f800001
	s_and_saveexec_b64 s[54:55], vcc
	s_cbranch_execz .LBB6_6356
; %bb.6355:                             ;   in Loop: Header=BB6_6254 Depth=2
	v_and_b32_e32 v0, 7, v2
	v_ffbh_u32_e32 v3, v0
	v_min_u32_e32 v5, 32, v3
	v_subrev_u32_e32 v3, 28, v5
	v_lshlrev_b64 v[2:3], v3, v[2:3]
	v_lshrrev_b32_e32 v4, 3, v1
	v_sub_u32_e32 v3, 29, v5
	v_and_b32_e32 v2, 7, v2
	v_cmp_gt_u32_e32 vcc, 8, v1
	v_cndmask_b32_e32 v1, v4, v3, vcc
	v_cndmask_b32_e32 v0, v0, v2, vcc
	v_lshlrev_b32_e32 v2, 16, v38
	v_bfrev_b32_e32 v3, 60
	v_lshlrev_b32_e32 v0, 20, v0
	v_and_b32_e32 v2, 0x80000000, v2
	v_lshl_add_u32 v1, v1, 23, v3
	v_or3_b32 v0, v2, v1, v0
.LBB6_6356:                             ;   in Loop: Header=BB6_6254 Depth=2
	s_or_b64 exec, exec, s[54:55]
.LBB6_6357:                             ;   in Loop: Header=BB6_6254 Depth=2
	s_or_b64 exec, exec, s[52:53]
.LBB6_6358:                             ;   in Loop: Header=BB6_6254 Depth=2
	s_or_b64 exec, exec, s[20:21]
	v_mul_f32_e32 v1, v16, v0
	v_and_b32_sdwa v0, v1, s69 dst_sel:DWORD dst_unused:UNUSED_PAD src0_sel:BYTE_3 src1_sel:DWORD
	v_or_b32_e32 v2, 0x7e, v0
	buffer_store_dword v2, off, s[0:3], s33 offset:152 ; 4-byte Folded Spill
	v_and_b32_e32 v2, 0x7f800000, v1
	v_mov_b32_e32 v3, v39
	v_and_b32_e32 v38, 0x7fffff, v1
	v_cmp_ne_u64_e32 vcc, s[38:39], v[2:3]
	s_and_saveexec_b64 s[20:21], vcc
	s_xor_b64 s[52:53], exec, s[20:21]
	s_cbranch_execz .LBB6_6368
; %bb.6359:                             ;   in Loop: Header=BB6_6254 Depth=2
	v_and_b32_e32 v2, 0x7fffffff, v1
	v_mov_b32_e32 v3, v39
	v_cmp_gt_u64_e32 vcc, s[40:41], v[2:3]
	s_and_saveexec_b64 s[54:55], vcc
	s_cbranch_execz .LBB6_6367
; %bb.6360:                             ;   in Loop: Header=BB6_6254 Depth=2
	v_cmp_ne_u32_e32 vcc, 0, v1
	v_mov_b32_e32 v2, 0
	buffer_store_dword v2, off, s[0:3], s33 offset:152 ; 4-byte Folded Spill
	s_and_saveexec_b64 s[56:57], vcc
	s_cbranch_execz .LBB6_6366
; %bb.6361:                             ;   in Loop: Header=BB6_6254 Depth=2
	v_bfe_u32 v1, v1, 23, 8
	v_sub_u32_e32 v3, 0x79, v1
	v_cmp_gt_u32_e32 vcc, s70, v1
	v_add_u32_e32 v2, 0xffffff81, v1
	v_cndmask_b32_e32 v3, 0, v3, vcc
	v_cmp_eq_u32_e32 vcc, 0, v1
	v_mov_b32_e32 v1, 0xffffff82
	v_cndmask_b32_e32 v1, v2, v1, vcc
	v_mov_b32_e32 v2, 0x78
	v_or_b32_e32 v4, 0x800000, v38
	v_cndmask_b32_e32 v5, v3, v2, vcc
	v_cndmask_b32_e32 v38, v4, v38, vcc
	v_add_u32_e32 v2, 20, v5
	v_lshlrev_b64 v[2:3], v2, -1
	v_add_u32_e32 v4, 19, v5
	v_lshrrev_b64 v[8:9], v5, v[38:39]
	v_not_b32_e32 v3, v3
	v_not_b32_e32 v2, v2
	v_lshlrev_b64 v[6:7], v4, 1
	v_lshrrev_b32_e32 v4, 23, v8
	v_and_b32_e32 v3, 0, v3
	v_and_b32_e32 v2, v38, v2
	v_add3_u32 v5, v5, v1, v4
	v_bfe_u32 v1, v8, 20, 1
	v_add_u32_e32 v1, -1, v1
	v_cmp_eq_u64_e32 vcc, v[2:3], v[6:7]
	v_cndmask_b32_e32 v1, 0, v1, vcc
	v_add_u32_e32 v1, v1, v8
	v_and_b32_e32 v1, 0xfffff, v1
	v_add_co_u32_e32 v2, vcc, v1, v8
	v_add_u32_e32 v4, 6, v5
	v_addc_co_u32_e32 v3, vcc, 0, v9, vcc
	v_cmp_ne_u32_e32 vcc, 0, v4
                                        ; implicit-def: $vgpr1
	s_and_saveexec_b64 s[20:21], vcc
	s_xor_b64 s[20:21], exec, s[20:21]
; %bb.6362:                             ;   in Loop: Header=BB6_6254 Depth=2
	v_add_u32_e32 v1, 7, v5
	v_cmp_lt_u64_e32 vcc, s[44:45], v[2:3]
	v_cndmask_b32_e32 v1, v4, v1, vcc
	v_cndmask_b32_e64 v4, 0, 1, vcc
	v_lshrrev_b64 v[2:3], v4, v[2:3]
; %bb.6363:                             ;   in Loop: Header=BB6_6254 Depth=2
	s_andn2_saveexec_b64 s[20:21], s[20:21]
; %bb.6364:                             ;   in Loop: Header=BB6_6254 Depth=2
	v_bfe_u32 v1, v2, 23, 1
; %bb.6365:                             ;   in Loop: Header=BB6_6254 Depth=2
	s_or_b64 exec, exec, s[20:21]
	v_lshrrev_b64 v[2:3], 20, v[2:3]
	v_cmp_gt_i32_e32 vcc, 16, v1
	v_cndmask_b32_e32 v3, 0, v3, vcc
	v_cndmask_b32_e32 v2, 7, v2, vcc
	v_cmp_eq_u32_e32 vcc, 0, v1
	v_min_i32_e32 v1, 15, v1
	v_lshlrev_b32_e32 v1, 3, v1
	v_cmp_eq_u64_e64 s[20:21], 0, v[2:3]
	v_and_b32_e32 v1, 0xf8, v1
	v_and_or_b32 v1, v2, 7, v1
	s_and_b64 s[20:21], vcc, s[20:21]
	v_cndmask_b32_e64 v1, v1, 0, s[20:21]
	v_or_b32_e32 v0, v1, v0
	buffer_store_dword v0, off, s[0:3], s33 offset:152 ; 4-byte Folded Spill
.LBB6_6366:                             ;   in Loop: Header=BB6_6254 Depth=2
	s_or_b64 exec, exec, s[56:57]
.LBB6_6367:                             ;   in Loop: Header=BB6_6254 Depth=2
	s_or_b64 exec, exec, s[54:55]
                                        ; implicit-def: $vgpr1
.LBB6_6368:                             ;   in Loop: Header=BB6_6254 Depth=2
	s_andn2_saveexec_b64 s[20:21], s[52:53]
	s_cbranch_execz .LBB6_6370
; %bb.6369:                             ;   in Loop: Header=BB6_6254 Depth=2
	v_or_b32_sdwa v0, v1, s68 dst_sel:DWORD dst_unused:UNUSED_PAD src0_sel:BYTE_3 src1_sel:DWORD
	buffer_load_dword v1, off, s[0:3], s33 offset:152 ; 4-byte Folded Reload
	v_cmp_eq_u64_e32 vcc, 0, v[38:39]
	s_waitcnt vmcnt(0)
	v_cndmask_b32_e32 v1, v0, v1, vcc
	buffer_store_dword v1, off, s[0:3], s33 offset:152 ; 4-byte Folded Spill
.LBB6_6370:                             ;   in Loop: Header=BB6_6254 Depth=2
	s_or_b64 exec, exec, s[20:21]
	v_lshrrev_b32_e32 v2, 16, v11
	v_cmp_ne_u16_sdwa vcc, v2, v39 src0_sel:BYTE_0 src1_sel:DWORD
	v_mov_b32_e32 v0, 0
	s_and_saveexec_b64 s[20:21], vcc
	s_cbranch_execz .LBB6_6376
; %bb.6371:                             ;   in Loop: Header=BB6_6254 Depth=2
	v_cmp_ne_u16_sdwa vcc, v2, s69 src0_sel:BYTE_0 src1_sel:DWORD
	v_bfrev_b32_e32 v0, 1
	s_and_saveexec_b64 s[52:53], vcc
	s_cbranch_execz .LBB6_6375
; %bb.6372:                             ;   in Loop: Header=BB6_6254 Depth=2
	v_bfe_u32 v1, v11, 16, 7
	v_cmp_ne_u32_e32 vcc, s68, v1
	v_mov_b32_e32 v0, 0x7f800001
	s_and_saveexec_b64 s[54:55], vcc
	s_cbranch_execz .LBB6_6374
; %bb.6373:                             ;   in Loop: Header=BB6_6254 Depth=2
	v_and_b32_e32 v0, 7, v2
	v_ffbh_u32_e32 v4, v0
	v_min_u32_e32 v6, 32, v4
	v_lshrrev_b32_e32 v3, 3, v1
	v_subrev_u32_e32 v4, 28, v6
	v_lshlrev_b64 v[4:5], v4, v[2:3]
	v_sub_u32_e32 v5, 29, v6
	v_and_b32_e32 v4, 7, v4
	v_cmp_gt_u32_e32 vcc, 8, v1
	v_cndmask_b32_e32 v1, v3, v5, vcc
	v_cndmask_b32_e32 v0, v0, v4, vcc
	v_lshlrev_b32_e32 v2, 24, v2
	v_bfrev_b32_e32 v3, 60
	v_lshlrev_b32_e32 v0, 20, v0
	v_and_b32_e32 v2, 0x80000000, v2
	v_lshl_add_u32 v1, v1, 23, v3
	v_or3_b32 v0, v2, v1, v0
.LBB6_6374:                             ;   in Loop: Header=BB6_6254 Depth=2
	s_or_b64 exec, exec, s[54:55]
.LBB6_6375:                             ;   in Loop: Header=BB6_6254 Depth=2
	s_or_b64 exec, exec, s[52:53]
.LBB6_6376:                             ;   in Loop: Header=BB6_6254 Depth=2
	s_or_b64 exec, exec, s[20:21]
	v_mul_f32_e32 v1, v16, v0
	v_and_b32_sdwa v0, v1, s69 dst_sel:DWORD dst_unused:UNUSED_PAD src0_sel:BYTE_3 src1_sel:DWORD
	v_or_b32_e32 v2, 0x7e, v0
	buffer_store_dword v2, off, s[0:3], s33 offset:156 ; 4-byte Folded Spill
	v_and_b32_e32 v2, 0x7f800000, v1
	v_mov_b32_e32 v3, v39
	v_and_b32_e32 v38, 0x7fffff, v1
	v_cmp_ne_u64_e32 vcc, s[38:39], v[2:3]
	s_and_saveexec_b64 s[20:21], vcc
	s_xor_b64 s[52:53], exec, s[20:21]
	s_cbranch_execz .LBB6_6386
; %bb.6377:                             ;   in Loop: Header=BB6_6254 Depth=2
	v_and_b32_e32 v2, 0x7fffffff, v1
	v_mov_b32_e32 v3, v39
	v_cmp_gt_u64_e32 vcc, s[40:41], v[2:3]
	s_and_saveexec_b64 s[54:55], vcc
	s_cbranch_execz .LBB6_6385
; %bb.6378:                             ;   in Loop: Header=BB6_6254 Depth=2
	v_cmp_ne_u32_e32 vcc, 0, v1
	v_mov_b32_e32 v2, 0
	buffer_store_dword v2, off, s[0:3], s33 offset:156 ; 4-byte Folded Spill
	s_and_saveexec_b64 s[56:57], vcc
	s_cbranch_execz .LBB6_6384
; %bb.6379:                             ;   in Loop: Header=BB6_6254 Depth=2
	v_bfe_u32 v1, v1, 23, 8
	v_sub_u32_e32 v3, 0x79, v1
	v_cmp_gt_u32_e32 vcc, s70, v1
	v_add_u32_e32 v2, 0xffffff81, v1
	v_cndmask_b32_e32 v3, 0, v3, vcc
	v_cmp_eq_u32_e32 vcc, 0, v1
	v_mov_b32_e32 v1, 0xffffff82
	v_cndmask_b32_e32 v1, v2, v1, vcc
	v_mov_b32_e32 v2, 0x78
	v_or_b32_e32 v4, 0x800000, v38
	v_cndmask_b32_e32 v5, v3, v2, vcc
	v_cndmask_b32_e32 v38, v4, v38, vcc
	v_add_u32_e32 v2, 20, v5
	v_lshlrev_b64 v[2:3], v2, -1
	v_add_u32_e32 v4, 19, v5
	v_lshrrev_b64 v[8:9], v5, v[38:39]
	v_not_b32_e32 v3, v3
	v_not_b32_e32 v2, v2
	v_lshlrev_b64 v[6:7], v4, 1
	v_lshrrev_b32_e32 v4, 23, v8
	v_and_b32_e32 v3, 0, v3
	v_and_b32_e32 v2, v38, v2
	v_add3_u32 v5, v5, v1, v4
	v_bfe_u32 v1, v8, 20, 1
	v_add_u32_e32 v1, -1, v1
	v_cmp_eq_u64_e32 vcc, v[2:3], v[6:7]
	v_cndmask_b32_e32 v1, 0, v1, vcc
	v_add_u32_e32 v1, v1, v8
	v_and_b32_e32 v1, 0xfffff, v1
	v_add_co_u32_e32 v2, vcc, v1, v8
	v_add_u32_e32 v4, 6, v5
	v_addc_co_u32_e32 v3, vcc, 0, v9, vcc
	v_cmp_ne_u32_e32 vcc, 0, v4
                                        ; implicit-def: $vgpr1
	s_and_saveexec_b64 s[20:21], vcc
	s_xor_b64 s[20:21], exec, s[20:21]
; %bb.6380:                             ;   in Loop: Header=BB6_6254 Depth=2
	v_add_u32_e32 v1, 7, v5
	v_cmp_lt_u64_e32 vcc, s[44:45], v[2:3]
	v_cndmask_b32_e32 v1, v4, v1, vcc
	v_cndmask_b32_e64 v4, 0, 1, vcc
	v_lshrrev_b64 v[2:3], v4, v[2:3]
; %bb.6381:                             ;   in Loop: Header=BB6_6254 Depth=2
	s_andn2_saveexec_b64 s[20:21], s[20:21]
; %bb.6382:                             ;   in Loop: Header=BB6_6254 Depth=2
	v_bfe_u32 v1, v2, 23, 1
; %bb.6383:                             ;   in Loop: Header=BB6_6254 Depth=2
	s_or_b64 exec, exec, s[20:21]
	v_lshrrev_b64 v[2:3], 20, v[2:3]
	v_cmp_gt_i32_e32 vcc, 16, v1
	v_cndmask_b32_e32 v3, 0, v3, vcc
	v_cndmask_b32_e32 v2, 7, v2, vcc
	v_cmp_eq_u32_e32 vcc, 0, v1
	v_min_i32_e32 v1, 15, v1
	v_lshlrev_b32_e32 v1, 3, v1
	v_cmp_eq_u64_e64 s[20:21], 0, v[2:3]
	v_and_b32_e32 v1, 0xf8, v1
	v_and_or_b32 v1, v2, 7, v1
	s_and_b64 s[20:21], vcc, s[20:21]
	v_cndmask_b32_e64 v1, v1, 0, s[20:21]
	v_or_b32_e32 v0, v1, v0
	buffer_store_dword v0, off, s[0:3], s33 offset:156 ; 4-byte Folded Spill
.LBB6_6384:                             ;   in Loop: Header=BB6_6254 Depth=2
	s_or_b64 exec, exec, s[56:57]
.LBB6_6385:                             ;   in Loop: Header=BB6_6254 Depth=2
	s_or_b64 exec, exec, s[54:55]
                                        ; implicit-def: $vgpr1
.LBB6_6386:                             ;   in Loop: Header=BB6_6254 Depth=2
	s_andn2_saveexec_b64 s[20:21], s[52:53]
	s_cbranch_execz .LBB6_6388
; %bb.6387:                             ;   in Loop: Header=BB6_6254 Depth=2
	v_or_b32_sdwa v0, v1, s68 dst_sel:DWORD dst_unused:UNUSED_PAD src0_sel:BYTE_3 src1_sel:DWORD
	buffer_load_dword v1, off, s[0:3], s33 offset:156 ; 4-byte Folded Reload
	v_cmp_eq_u64_e32 vcc, 0, v[38:39]
	s_waitcnt vmcnt(0)
	v_cndmask_b32_e32 v1, v0, v1, vcc
	buffer_store_dword v1, off, s[0:3], s33 offset:156 ; 4-byte Folded Spill
.LBB6_6388:                             ;   in Loop: Header=BB6_6254 Depth=2
	s_or_b64 exec, exec, s[20:21]
	v_cmp_lt_u64_e32 vcc, s[42:43], v[10:11]
	v_mov_b32_e32 v0, 0
	s_and_saveexec_b64 s[20:21], vcc
	s_cbranch_execz .LBB6_6394
; %bb.6389:                             ;   in Loop: Header=BB6_6254 Depth=2
	v_lshrrev_b32_e32 v2, 24, v11
	v_cmp_ne_u32_e32 vcc, s69, v2
	v_bfrev_b32_e32 v0, 1
	s_and_saveexec_b64 s[52:53], vcc
	s_cbranch_execz .LBB6_6393
; %bb.6390:                             ;   in Loop: Header=BB6_6254 Depth=2
	v_bfe_u32 v1, v11, 24, 7
	v_cmp_ne_u32_e32 vcc, s68, v1
	v_mov_b32_e32 v0, 0x7f800001
	s_and_saveexec_b64 s[54:55], vcc
	s_cbranch_execz .LBB6_6392
; %bb.6391:                             ;   in Loop: Header=BB6_6254 Depth=2
	v_and_b32_e32 v0, 7, v2
	v_ffbh_u32_e32 v4, v0
	v_min_u32_e32 v6, 32, v4
	v_lshrrev_b32_e32 v3, 3, v1
	v_subrev_u32_e32 v4, 28, v6
	v_lshlrev_b64 v[4:5], v4, v[2:3]
	v_sub_u32_e32 v5, 29, v6
	v_and_b32_e32 v4, 7, v4
	v_cmp_gt_u32_e32 vcc, 8, v1
	v_cndmask_b32_e32 v1, v3, v5, vcc
	v_cndmask_b32_e32 v0, v0, v4, vcc
	v_lshlrev_b32_e32 v2, 24, v2
	v_bfrev_b32_e32 v3, 60
	v_lshlrev_b32_e32 v0, 20, v0
	v_and_b32_e32 v2, 0x80000000, v2
	v_lshl_add_u32 v1, v1, 23, v3
	v_or3_b32 v0, v2, v1, v0
.LBB6_6392:                             ;   in Loop: Header=BB6_6254 Depth=2
	s_or_b64 exec, exec, s[54:55]
.LBB6_6393:                             ;   in Loop: Header=BB6_6254 Depth=2
	s_or_b64 exec, exec, s[52:53]
.LBB6_6394:                             ;   in Loop: Header=BB6_6254 Depth=2
	s_or_b64 exec, exec, s[20:21]
	v_mul_f32_e32 v1, v16, v0
	v_and_b32_sdwa v0, v1, s69 dst_sel:DWORD dst_unused:UNUSED_PAD src0_sel:BYTE_3 src1_sel:DWORD
	v_or_b32_e32 v2, 0x7e, v0
	buffer_store_dword v2, off, s[0:3], s33 offset:160 ; 4-byte Folded Spill
	v_and_b32_e32 v2, 0x7f800000, v1
	v_mov_b32_e32 v3, v39
	v_and_b32_e32 v38, 0x7fffff, v1
	v_cmp_ne_u64_e32 vcc, s[38:39], v[2:3]
	s_and_saveexec_b64 s[20:21], vcc
	s_xor_b64 s[52:53], exec, s[20:21]
	s_cbranch_execz .LBB6_6404
; %bb.6395:                             ;   in Loop: Header=BB6_6254 Depth=2
	v_and_b32_e32 v2, 0x7fffffff, v1
	v_mov_b32_e32 v3, v39
	v_cmp_gt_u64_e32 vcc, s[40:41], v[2:3]
	s_and_saveexec_b64 s[54:55], vcc
	s_cbranch_execz .LBB6_6403
; %bb.6396:                             ;   in Loop: Header=BB6_6254 Depth=2
	v_cmp_ne_u32_e32 vcc, 0, v1
	v_mov_b32_e32 v2, 0
	buffer_store_dword v2, off, s[0:3], s33 offset:160 ; 4-byte Folded Spill
	s_and_saveexec_b64 s[56:57], vcc
	s_cbranch_execz .LBB6_6402
; %bb.6397:                             ;   in Loop: Header=BB6_6254 Depth=2
	v_bfe_u32 v1, v1, 23, 8
	v_sub_u32_e32 v3, 0x79, v1
	v_cmp_gt_u32_e32 vcc, s70, v1
	v_add_u32_e32 v2, 0xffffff81, v1
	v_cndmask_b32_e32 v3, 0, v3, vcc
	v_cmp_eq_u32_e32 vcc, 0, v1
	v_mov_b32_e32 v1, 0xffffff82
	v_cndmask_b32_e32 v1, v2, v1, vcc
	v_mov_b32_e32 v2, 0x78
	v_or_b32_e32 v4, 0x800000, v38
	v_cndmask_b32_e32 v5, v3, v2, vcc
	v_cndmask_b32_e32 v38, v4, v38, vcc
	v_add_u32_e32 v2, 20, v5
	v_lshlrev_b64 v[2:3], v2, -1
	v_add_u32_e32 v4, 19, v5
	v_lshrrev_b64 v[8:9], v5, v[38:39]
	v_not_b32_e32 v3, v3
	v_not_b32_e32 v2, v2
	v_lshlrev_b64 v[6:7], v4, 1
	v_lshrrev_b32_e32 v4, 23, v8
	v_and_b32_e32 v3, 0, v3
	v_and_b32_e32 v2, v38, v2
	v_add3_u32 v5, v5, v1, v4
	v_bfe_u32 v1, v8, 20, 1
	v_add_u32_e32 v1, -1, v1
	v_cmp_eq_u64_e32 vcc, v[2:3], v[6:7]
	v_cndmask_b32_e32 v1, 0, v1, vcc
	v_add_u32_e32 v1, v1, v8
	v_and_b32_e32 v1, 0xfffff, v1
	v_add_co_u32_e32 v2, vcc, v1, v8
	v_add_u32_e32 v4, 6, v5
	v_addc_co_u32_e32 v3, vcc, 0, v9, vcc
	v_cmp_ne_u32_e32 vcc, 0, v4
                                        ; implicit-def: $vgpr1
	s_and_saveexec_b64 s[20:21], vcc
	s_xor_b64 s[20:21], exec, s[20:21]
; %bb.6398:                             ;   in Loop: Header=BB6_6254 Depth=2
	v_add_u32_e32 v1, 7, v5
	v_cmp_lt_u64_e32 vcc, s[44:45], v[2:3]
	v_cndmask_b32_e32 v1, v4, v1, vcc
	v_cndmask_b32_e64 v4, 0, 1, vcc
	v_lshrrev_b64 v[2:3], v4, v[2:3]
; %bb.6399:                             ;   in Loop: Header=BB6_6254 Depth=2
	s_andn2_saveexec_b64 s[20:21], s[20:21]
; %bb.6400:                             ;   in Loop: Header=BB6_6254 Depth=2
	v_bfe_u32 v1, v2, 23, 1
; %bb.6401:                             ;   in Loop: Header=BB6_6254 Depth=2
	s_or_b64 exec, exec, s[20:21]
	v_lshrrev_b64 v[2:3], 20, v[2:3]
	v_cmp_gt_i32_e32 vcc, 16, v1
	v_cndmask_b32_e32 v3, 0, v3, vcc
	v_cndmask_b32_e32 v2, 7, v2, vcc
	v_cmp_eq_u32_e32 vcc, 0, v1
	v_min_i32_e32 v1, 15, v1
	v_lshlrev_b32_e32 v1, 3, v1
	v_cmp_eq_u64_e64 s[20:21], 0, v[2:3]
	v_and_b32_e32 v1, 0xf8, v1
	v_and_or_b32 v1, v2, 7, v1
	s_and_b64 s[20:21], vcc, s[20:21]
	v_cndmask_b32_e64 v1, v1, 0, s[20:21]
	v_or_b32_e32 v0, v1, v0
	buffer_store_dword v0, off, s[0:3], s33 offset:160 ; 4-byte Folded Spill
.LBB6_6402:                             ;   in Loop: Header=BB6_6254 Depth=2
	s_or_b64 exec, exec, s[56:57]
.LBB6_6403:                             ;   in Loop: Header=BB6_6254 Depth=2
	s_or_b64 exec, exec, s[54:55]
                                        ; implicit-def: $vgpr1
.LBB6_6404:                             ;   in Loop: Header=BB6_6254 Depth=2
	s_andn2_saveexec_b64 s[20:21], s[52:53]
	s_cbranch_execz .LBB6_6406
; %bb.6405:                             ;   in Loop: Header=BB6_6254 Depth=2
	v_or_b32_sdwa v0, v1, s68 dst_sel:DWORD dst_unused:UNUSED_PAD src0_sel:BYTE_3 src1_sel:DWORD
	buffer_load_dword v1, off, s[0:3], s33 offset:160 ; 4-byte Folded Reload
	v_cmp_eq_u64_e32 vcc, 0, v[38:39]
	s_waitcnt vmcnt(0)
	v_cndmask_b32_e32 v1, v0, v1, vcc
	buffer_store_dword v1, off, s[0:3], s33 offset:160 ; 4-byte Folded Spill
.LBB6_6406:                             ;   in Loop: Header=BB6_6254 Depth=2
	s_or_b64 exec, exec, s[20:21]
	v_cmp_ne_u16_sdwa vcc, v12, v39 src0_sel:BYTE_0 src1_sel:DWORD
	v_mov_b32_e32 v0, 0
	s_and_saveexec_b64 s[20:21], vcc
	s_cbranch_execz .LBB6_6412
; %bb.6407:                             ;   in Loop: Header=BB6_6254 Depth=2
	v_cmp_ne_u16_sdwa vcc, v12, s69 src0_sel:BYTE_0 src1_sel:DWORD
	v_bfrev_b32_e32 v0, 1
	s_and_saveexec_b64 s[52:53], vcc
	s_cbranch_execz .LBB6_6411
; %bb.6408:                             ;   in Loop: Header=BB6_6254 Depth=2
	v_and_b32_e32 v1, 0x7f, v12
	v_cmp_ne_u32_e32 vcc, s68, v1
	v_mov_b32_e32 v0, 0x7f800001
	s_and_saveexec_b64 s[54:55], vcc
	s_cbranch_execz .LBB6_6410
; %bb.6409:                             ;   in Loop: Header=BB6_6254 Depth=2
	v_and_b32_e32 v0, 7, v12
	v_ffbh_u32_e32 v0, v0
	v_min_u32_e32 v0, 32, v0
	v_lshrrev_b32_e32 v2, 3, v1
	v_subrev_u32_e32 v3, 28, v0
	v_sub_u32_e32 v0, 29, v0
	v_cmp_gt_u32_e32 vcc, 8, v1
	v_cndmask_b32_e32 v2, v2, v0, vcc
	v_cndmask_b32_e32 v0, 0, v3, vcc
	v_lshlrev_b64 v[0:1], v0, v[12:13]
	v_lshlrev_b32_e32 v0, 20, v0
	v_lshlrev_b32_e32 v1, 24, v12
	v_bfrev_b32_e32 v3, 60
	v_and_b32_e32 v0, 0x700000, v0
	v_and_b32_e32 v1, 0x80000000, v1
	v_lshl_add_u32 v2, v2, 23, v3
	v_or3_b32 v0, v1, v2, v0
.LBB6_6410:                             ;   in Loop: Header=BB6_6254 Depth=2
	s_or_b64 exec, exec, s[54:55]
.LBB6_6411:                             ;   in Loop: Header=BB6_6254 Depth=2
	s_or_b64 exec, exec, s[52:53]
.LBB6_6412:                             ;   in Loop: Header=BB6_6254 Depth=2
	s_or_b64 exec, exec, s[20:21]
	v_mul_f32_e32 v1, v16, v0
	v_and_b32_sdwa v0, v1, s69 dst_sel:DWORD dst_unused:UNUSED_PAD src0_sel:BYTE_3 src1_sel:DWORD
	v_or_b32_e32 v2, 0x7e, v0
	buffer_store_dword v2, off, s[0:3], s33 offset:164 ; 4-byte Folded Spill
	v_and_b32_e32 v2, 0x7f800000, v1
	v_mov_b32_e32 v3, v39
	v_and_b32_e32 v38, 0x7fffff, v1
	v_cmp_ne_u64_e32 vcc, s[38:39], v[2:3]
	s_and_saveexec_b64 s[20:21], vcc
	s_xor_b64 s[52:53], exec, s[20:21]
	s_cbranch_execz .LBB6_6422
; %bb.6413:                             ;   in Loop: Header=BB6_6254 Depth=2
	v_and_b32_e32 v2, 0x7fffffff, v1
	v_mov_b32_e32 v3, v39
	v_cmp_gt_u64_e32 vcc, s[40:41], v[2:3]
	s_and_saveexec_b64 s[54:55], vcc
	s_cbranch_execz .LBB6_6421
; %bb.6414:                             ;   in Loop: Header=BB6_6254 Depth=2
	v_cmp_ne_u32_e32 vcc, 0, v1
	v_mov_b32_e32 v2, 0
	buffer_store_dword v2, off, s[0:3], s33 offset:164 ; 4-byte Folded Spill
	s_and_saveexec_b64 s[56:57], vcc
	s_cbranch_execz .LBB6_6420
; %bb.6415:                             ;   in Loop: Header=BB6_6254 Depth=2
	v_bfe_u32 v1, v1, 23, 8
	v_sub_u32_e32 v3, 0x79, v1
	v_cmp_gt_u32_e32 vcc, s70, v1
	v_add_u32_e32 v2, 0xffffff81, v1
	v_cndmask_b32_e32 v3, 0, v3, vcc
	v_cmp_eq_u32_e32 vcc, 0, v1
	v_mov_b32_e32 v1, 0xffffff82
	v_cndmask_b32_e32 v1, v2, v1, vcc
	v_mov_b32_e32 v2, 0x78
	v_or_b32_e32 v4, 0x800000, v38
	v_cndmask_b32_e32 v5, v3, v2, vcc
	v_cndmask_b32_e32 v38, v4, v38, vcc
	v_add_u32_e32 v2, 20, v5
	v_lshlrev_b64 v[2:3], v2, -1
	v_add_u32_e32 v4, 19, v5
	v_lshrrev_b64 v[8:9], v5, v[38:39]
	v_not_b32_e32 v3, v3
	v_not_b32_e32 v2, v2
	v_lshlrev_b64 v[6:7], v4, 1
	v_lshrrev_b32_e32 v4, 23, v8
	v_and_b32_e32 v3, 0, v3
	v_and_b32_e32 v2, v38, v2
	v_add3_u32 v5, v5, v1, v4
	v_bfe_u32 v1, v8, 20, 1
	v_add_u32_e32 v1, -1, v1
	v_cmp_eq_u64_e32 vcc, v[2:3], v[6:7]
	v_cndmask_b32_e32 v1, 0, v1, vcc
	v_add_u32_e32 v1, v1, v8
	v_and_b32_e32 v1, 0xfffff, v1
	v_add_co_u32_e32 v2, vcc, v1, v8
	v_add_u32_e32 v4, 6, v5
	v_addc_co_u32_e32 v3, vcc, 0, v9, vcc
	v_cmp_ne_u32_e32 vcc, 0, v4
                                        ; implicit-def: $vgpr1
	s_and_saveexec_b64 s[20:21], vcc
	s_xor_b64 s[20:21], exec, s[20:21]
; %bb.6416:                             ;   in Loop: Header=BB6_6254 Depth=2
	v_add_u32_e32 v1, 7, v5
	v_cmp_lt_u64_e32 vcc, s[44:45], v[2:3]
	v_cndmask_b32_e32 v1, v4, v1, vcc
	v_cndmask_b32_e64 v4, 0, 1, vcc
	v_lshrrev_b64 v[2:3], v4, v[2:3]
; %bb.6417:                             ;   in Loop: Header=BB6_6254 Depth=2
	s_andn2_saveexec_b64 s[20:21], s[20:21]
; %bb.6418:                             ;   in Loop: Header=BB6_6254 Depth=2
	v_bfe_u32 v1, v2, 23, 1
; %bb.6419:                             ;   in Loop: Header=BB6_6254 Depth=2
	s_or_b64 exec, exec, s[20:21]
	v_lshrrev_b64 v[2:3], 20, v[2:3]
	v_cmp_gt_i32_e32 vcc, 16, v1
	v_cndmask_b32_e32 v3, 0, v3, vcc
	v_cndmask_b32_e32 v2, 7, v2, vcc
	v_cmp_eq_u32_e32 vcc, 0, v1
	v_min_i32_e32 v1, 15, v1
	v_cmp_eq_u64_e64 s[20:21], 0, v[2:3]
	v_lshlrev_b32_e32 v1, 3, v1
	v_and_or_b32 v1, v2, 7, v1
	s_and_b64 s[20:21], vcc, s[20:21]
	v_cndmask_b32_e64 v1, v1, 0, s[20:21]
	v_or_b32_e32 v0, v1, v0
	buffer_store_dword v0, off, s[0:3], s33 offset:164 ; 4-byte Folded Spill
.LBB6_6420:                             ;   in Loop: Header=BB6_6254 Depth=2
	s_or_b64 exec, exec, s[56:57]
.LBB6_6421:                             ;   in Loop: Header=BB6_6254 Depth=2
	s_or_b64 exec, exec, s[54:55]
                                        ; implicit-def: $vgpr1
.LBB6_6422:                             ;   in Loop: Header=BB6_6254 Depth=2
	s_andn2_saveexec_b64 s[20:21], s[52:53]
	s_cbranch_execz .LBB6_6424
; %bb.6423:                             ;   in Loop: Header=BB6_6254 Depth=2
	v_or_b32_sdwa v0, v1, s68 dst_sel:DWORD dst_unused:UNUSED_PAD src0_sel:BYTE_3 src1_sel:DWORD
	buffer_load_dword v1, off, s[0:3], s33 offset:164 ; 4-byte Folded Reload
	v_cmp_eq_u64_e32 vcc, 0, v[38:39]
	s_waitcnt vmcnt(0)
	v_cndmask_b32_e32 v1, v0, v1, vcc
	buffer_store_dword v1, off, s[0:3], s33 offset:164 ; 4-byte Folded Spill
.LBB6_6424:                             ;   in Loop: Header=BB6_6254 Depth=2
	s_or_b64 exec, exec, s[20:21]
	v_lshrrev_b16_e32 v2, 8, v12
	v_cmp_ne_u16_e32 vcc, 0, v2
	v_mov_b32_e32 v0, 0
	s_and_saveexec_b64 s[20:21], vcc
	s_cbranch_execz .LBB6_6430
; %bb.6425:                             ;   in Loop: Header=BB6_6254 Depth=2
	v_cmp_ne_u16_e32 vcc, s69, v2
	v_bfrev_b32_e32 v0, 1
	s_and_saveexec_b64 s[52:53], vcc
	s_cbranch_execz .LBB6_6429
; %bb.6426:                             ;   in Loop: Header=BB6_6254 Depth=2
	v_and_b32_e32 v1, 0x7f, v2
	v_cmp_ne_u32_e32 vcc, s68, v1
	v_mov_b32_e32 v0, 0x7f800001
	s_and_saveexec_b64 s[54:55], vcc
	s_cbranch_execz .LBB6_6428
; %bb.6427:                             ;   in Loop: Header=BB6_6254 Depth=2
	v_and_b32_e32 v0, 7, v2
	v_ffbh_u32_e32 v3, v0
	v_min_u32_e32 v5, 32, v3
	v_subrev_u32_e32 v3, 28, v5
	v_lshlrev_b64 v[2:3], v3, v[2:3]
	v_lshrrev_b32_e32 v4, 3, v1
	v_sub_u32_e32 v3, 29, v5
	v_and_b32_e32 v2, 7, v2
	v_cmp_gt_u32_e32 vcc, 8, v1
	v_cndmask_b32_e32 v1, v4, v3, vcc
	v_cndmask_b32_e32 v0, v0, v2, vcc
	v_lshlrev_b32_e32 v2, 16, v12
	v_bfrev_b32_e32 v3, 60
	v_lshlrev_b32_e32 v0, 20, v0
	v_and_b32_e32 v2, 0x80000000, v2
	v_lshl_add_u32 v1, v1, 23, v3
	v_or3_b32 v0, v2, v1, v0
.LBB6_6428:                             ;   in Loop: Header=BB6_6254 Depth=2
	s_or_b64 exec, exec, s[54:55]
.LBB6_6429:                             ;   in Loop: Header=BB6_6254 Depth=2
	s_or_b64 exec, exec, s[52:53]
.LBB6_6430:                             ;   in Loop: Header=BB6_6254 Depth=2
	s_or_b64 exec, exec, s[20:21]
	v_mul_f32_e32 v1, v16, v0
	v_and_b32_sdwa v0, v1, s69 dst_sel:DWORD dst_unused:UNUSED_PAD src0_sel:BYTE_3 src1_sel:DWORD
	v_or_b32_e32 v2, 0x7e, v0
	buffer_store_dword v2, off, s[0:3], s33 offset:168 ; 4-byte Folded Spill
	v_and_b32_e32 v2, 0x7f800000, v1
	v_mov_b32_e32 v3, v39
	v_and_b32_e32 v38, 0x7fffff, v1
	v_cmp_ne_u64_e32 vcc, s[38:39], v[2:3]
	s_and_saveexec_b64 s[20:21], vcc
	s_xor_b64 s[52:53], exec, s[20:21]
	s_cbranch_execz .LBB6_6440
; %bb.6431:                             ;   in Loop: Header=BB6_6254 Depth=2
	v_and_b32_e32 v2, 0x7fffffff, v1
	v_mov_b32_e32 v3, v39
	v_cmp_gt_u64_e32 vcc, s[40:41], v[2:3]
	s_and_saveexec_b64 s[54:55], vcc
	s_cbranch_execz .LBB6_6439
; %bb.6432:                             ;   in Loop: Header=BB6_6254 Depth=2
	v_cmp_ne_u32_e32 vcc, 0, v1
	v_mov_b32_e32 v2, 0
	buffer_store_dword v2, off, s[0:3], s33 offset:168 ; 4-byte Folded Spill
	s_and_saveexec_b64 s[56:57], vcc
	s_cbranch_execz .LBB6_6438
; %bb.6433:                             ;   in Loop: Header=BB6_6254 Depth=2
	v_bfe_u32 v1, v1, 23, 8
	v_sub_u32_e32 v3, 0x79, v1
	v_cmp_gt_u32_e32 vcc, s70, v1
	v_add_u32_e32 v2, 0xffffff81, v1
	v_cndmask_b32_e32 v3, 0, v3, vcc
	v_cmp_eq_u32_e32 vcc, 0, v1
	v_mov_b32_e32 v1, 0xffffff82
	v_cndmask_b32_e32 v1, v2, v1, vcc
	v_mov_b32_e32 v2, 0x78
	v_or_b32_e32 v4, 0x800000, v38
	v_cndmask_b32_e32 v5, v3, v2, vcc
	v_cndmask_b32_e32 v38, v4, v38, vcc
	v_add_u32_e32 v2, 20, v5
	v_lshlrev_b64 v[2:3], v2, -1
	v_add_u32_e32 v4, 19, v5
	v_lshrrev_b64 v[8:9], v5, v[38:39]
	v_not_b32_e32 v3, v3
	v_not_b32_e32 v2, v2
	v_lshlrev_b64 v[6:7], v4, 1
	v_lshrrev_b32_e32 v4, 23, v8
	v_and_b32_e32 v3, 0, v3
	v_and_b32_e32 v2, v38, v2
	v_add3_u32 v5, v5, v1, v4
	v_bfe_u32 v1, v8, 20, 1
	v_add_u32_e32 v1, -1, v1
	v_cmp_eq_u64_e32 vcc, v[2:3], v[6:7]
	v_cndmask_b32_e32 v1, 0, v1, vcc
	v_add_u32_e32 v1, v1, v8
	v_and_b32_e32 v1, 0xfffff, v1
	v_add_co_u32_e32 v2, vcc, v1, v8
	v_add_u32_e32 v4, 6, v5
	v_addc_co_u32_e32 v3, vcc, 0, v9, vcc
	v_cmp_ne_u32_e32 vcc, 0, v4
                                        ; implicit-def: $vgpr1
	s_and_saveexec_b64 s[20:21], vcc
	s_xor_b64 s[20:21], exec, s[20:21]
; %bb.6434:                             ;   in Loop: Header=BB6_6254 Depth=2
	v_add_u32_e32 v1, 7, v5
	v_cmp_lt_u64_e32 vcc, s[44:45], v[2:3]
	v_cndmask_b32_e32 v1, v4, v1, vcc
	v_cndmask_b32_e64 v4, 0, 1, vcc
	v_lshrrev_b64 v[2:3], v4, v[2:3]
; %bb.6435:                             ;   in Loop: Header=BB6_6254 Depth=2
	s_andn2_saveexec_b64 s[20:21], s[20:21]
; %bb.6436:                             ;   in Loop: Header=BB6_6254 Depth=2
	v_bfe_u32 v1, v2, 23, 1
; %bb.6437:                             ;   in Loop: Header=BB6_6254 Depth=2
	s_or_b64 exec, exec, s[20:21]
	v_lshrrev_b64 v[2:3], 20, v[2:3]
	v_cmp_gt_i32_e32 vcc, 16, v1
	v_cndmask_b32_e32 v3, 0, v3, vcc
	v_cndmask_b32_e32 v2, 7, v2, vcc
	v_cmp_eq_u32_e32 vcc, 0, v1
	v_min_i32_e32 v1, 15, v1
	v_cmp_eq_u64_e64 s[20:21], 0, v[2:3]
	v_lshlrev_b32_e32 v1, 3, v1
	v_and_or_b32 v1, v2, 7, v1
	s_and_b64 s[20:21], vcc, s[20:21]
	v_cndmask_b32_e64 v1, v1, 0, s[20:21]
	v_or_b32_e32 v0, v1, v0
	buffer_store_dword v0, off, s[0:3], s33 offset:168 ; 4-byte Folded Spill
.LBB6_6438:                             ;   in Loop: Header=BB6_6254 Depth=2
	s_or_b64 exec, exec, s[56:57]
.LBB6_6439:                             ;   in Loop: Header=BB6_6254 Depth=2
	s_or_b64 exec, exec, s[54:55]
                                        ; implicit-def: $vgpr1
.LBB6_6440:                             ;   in Loop: Header=BB6_6254 Depth=2
	s_andn2_saveexec_b64 s[20:21], s[52:53]
	s_cbranch_execz .LBB6_6442
; %bb.6441:                             ;   in Loop: Header=BB6_6254 Depth=2
	v_or_b32_sdwa v0, v1, s68 dst_sel:DWORD dst_unused:UNUSED_PAD src0_sel:BYTE_3 src1_sel:DWORD
	buffer_load_dword v1, off, s[0:3], s33 offset:168 ; 4-byte Folded Reload
	v_cmp_eq_u64_e32 vcc, 0, v[38:39]
	s_waitcnt vmcnt(0)
	v_cndmask_b32_e32 v1, v0, v1, vcc
	buffer_store_dword v1, off, s[0:3], s33 offset:168 ; 4-byte Folded Spill
.LBB6_6442:                             ;   in Loop: Header=BB6_6254 Depth=2
	s_or_b64 exec, exec, s[20:21]
	v_lshrrev_b32_e32 v2, 16, v12
	v_cmp_ne_u16_sdwa vcc, v2, v39 src0_sel:BYTE_0 src1_sel:DWORD
	v_mov_b32_e32 v0, 0
	s_and_saveexec_b64 s[20:21], vcc
	s_cbranch_execz .LBB6_6448
; %bb.6443:                             ;   in Loop: Header=BB6_6254 Depth=2
	v_cmp_ne_u16_sdwa vcc, v2, s69 src0_sel:BYTE_0 src1_sel:DWORD
	v_bfrev_b32_e32 v0, 1
	s_and_saveexec_b64 s[52:53], vcc
	s_cbranch_execz .LBB6_6447
; %bb.6444:                             ;   in Loop: Header=BB6_6254 Depth=2
	v_bfe_u32 v1, v12, 16, 7
	v_cmp_ne_u32_e32 vcc, s68, v1
	v_mov_b32_e32 v0, 0x7f800001
	s_and_saveexec_b64 s[54:55], vcc
	s_cbranch_execz .LBB6_6446
; %bb.6445:                             ;   in Loop: Header=BB6_6254 Depth=2
	v_and_b32_e32 v0, 7, v2
	v_ffbh_u32_e32 v4, v0
	v_min_u32_e32 v6, 32, v4
	v_lshrrev_b32_e32 v3, 3, v1
	v_subrev_u32_e32 v4, 28, v6
	v_lshlrev_b64 v[4:5], v4, v[2:3]
	v_sub_u32_e32 v5, 29, v6
	v_and_b32_e32 v4, 7, v4
	v_cmp_gt_u32_e32 vcc, 8, v1
	v_cndmask_b32_e32 v1, v3, v5, vcc
	v_cndmask_b32_e32 v0, v0, v4, vcc
	v_lshlrev_b32_e32 v2, 24, v2
	v_bfrev_b32_e32 v3, 60
	v_lshlrev_b32_e32 v0, 20, v0
	v_and_b32_e32 v2, 0x80000000, v2
	v_lshl_add_u32 v1, v1, 23, v3
	v_or3_b32 v0, v2, v1, v0
.LBB6_6446:                             ;   in Loop: Header=BB6_6254 Depth=2
	s_or_b64 exec, exec, s[54:55]
.LBB6_6447:                             ;   in Loop: Header=BB6_6254 Depth=2
	s_or_b64 exec, exec, s[52:53]
.LBB6_6448:                             ;   in Loop: Header=BB6_6254 Depth=2
	s_or_b64 exec, exec, s[20:21]
	v_mul_f32_e32 v1, v16, v0
	v_and_b32_sdwa v0, v1, s69 dst_sel:DWORD dst_unused:UNUSED_PAD src0_sel:BYTE_3 src1_sel:DWORD
	v_or_b32_e32 v2, 0x7e, v0
	buffer_store_dword v2, off, s[0:3], s33 offset:172 ; 4-byte Folded Spill
	v_and_b32_e32 v2, 0x7f800000, v1
	v_mov_b32_e32 v3, v39
	v_and_b32_e32 v38, 0x7fffff, v1
	v_cmp_ne_u64_e32 vcc, s[38:39], v[2:3]
	s_and_saveexec_b64 s[20:21], vcc
	s_xor_b64 s[52:53], exec, s[20:21]
	s_cbranch_execz .LBB6_6458
; %bb.6449:                             ;   in Loop: Header=BB6_6254 Depth=2
	v_and_b32_e32 v2, 0x7fffffff, v1
	v_mov_b32_e32 v3, v39
	v_cmp_gt_u64_e32 vcc, s[40:41], v[2:3]
	s_and_saveexec_b64 s[54:55], vcc
	s_cbranch_execz .LBB6_6457
; %bb.6450:                             ;   in Loop: Header=BB6_6254 Depth=2
	v_cmp_ne_u32_e32 vcc, 0, v1
	v_mov_b32_e32 v2, 0
	buffer_store_dword v2, off, s[0:3], s33 offset:172 ; 4-byte Folded Spill
	s_and_saveexec_b64 s[56:57], vcc
	s_cbranch_execz .LBB6_6456
; %bb.6451:                             ;   in Loop: Header=BB6_6254 Depth=2
	v_bfe_u32 v1, v1, 23, 8
	v_sub_u32_e32 v3, 0x79, v1
	v_cmp_gt_u32_e32 vcc, s70, v1
	v_add_u32_e32 v2, 0xffffff81, v1
	v_cndmask_b32_e32 v3, 0, v3, vcc
	v_cmp_eq_u32_e32 vcc, 0, v1
	v_mov_b32_e32 v1, 0xffffff82
	v_cndmask_b32_e32 v1, v2, v1, vcc
	v_mov_b32_e32 v2, 0x78
	v_or_b32_e32 v4, 0x800000, v38
	v_cndmask_b32_e32 v5, v3, v2, vcc
	v_cndmask_b32_e32 v38, v4, v38, vcc
	v_add_u32_e32 v2, 20, v5
	v_lshlrev_b64 v[2:3], v2, -1
	v_add_u32_e32 v4, 19, v5
	v_lshrrev_b64 v[8:9], v5, v[38:39]
	v_not_b32_e32 v3, v3
	v_not_b32_e32 v2, v2
	v_lshlrev_b64 v[6:7], v4, 1
	v_lshrrev_b32_e32 v4, 23, v8
	v_and_b32_e32 v3, 0, v3
	v_and_b32_e32 v2, v38, v2
	v_add3_u32 v5, v5, v1, v4
	v_bfe_u32 v1, v8, 20, 1
	v_add_u32_e32 v1, -1, v1
	v_cmp_eq_u64_e32 vcc, v[2:3], v[6:7]
	v_cndmask_b32_e32 v1, 0, v1, vcc
	v_add_u32_e32 v1, v1, v8
	v_and_b32_e32 v1, 0xfffff, v1
	v_add_co_u32_e32 v2, vcc, v1, v8
	v_add_u32_e32 v4, 6, v5
	v_addc_co_u32_e32 v3, vcc, 0, v9, vcc
	v_cmp_ne_u32_e32 vcc, 0, v4
                                        ; implicit-def: $vgpr1
	s_and_saveexec_b64 s[20:21], vcc
	s_xor_b64 s[20:21], exec, s[20:21]
; %bb.6452:                             ;   in Loop: Header=BB6_6254 Depth=2
	v_add_u32_e32 v1, 7, v5
	v_cmp_lt_u64_e32 vcc, s[44:45], v[2:3]
	v_cndmask_b32_e32 v1, v4, v1, vcc
	v_cndmask_b32_e64 v4, 0, 1, vcc
	v_lshrrev_b64 v[2:3], v4, v[2:3]
; %bb.6453:                             ;   in Loop: Header=BB6_6254 Depth=2
	s_andn2_saveexec_b64 s[20:21], s[20:21]
; %bb.6454:                             ;   in Loop: Header=BB6_6254 Depth=2
	v_bfe_u32 v1, v2, 23, 1
; %bb.6455:                             ;   in Loop: Header=BB6_6254 Depth=2
	s_or_b64 exec, exec, s[20:21]
	v_lshrrev_b64 v[2:3], 20, v[2:3]
	v_cmp_gt_i32_e32 vcc, 16, v1
	v_cndmask_b32_e32 v3, 0, v3, vcc
	v_cndmask_b32_e32 v2, 7, v2, vcc
	v_cmp_eq_u32_e32 vcc, 0, v1
	v_min_i32_e32 v1, 15, v1
	v_cmp_eq_u64_e64 s[20:21], 0, v[2:3]
	v_lshlrev_b32_e32 v1, 3, v1
	v_and_or_b32 v1, v2, 7, v1
	s_and_b64 s[20:21], vcc, s[20:21]
	v_cndmask_b32_e64 v1, v1, 0, s[20:21]
	v_or_b32_e32 v0, v1, v0
	buffer_store_dword v0, off, s[0:3], s33 offset:172 ; 4-byte Folded Spill
.LBB6_6456:                             ;   in Loop: Header=BB6_6254 Depth=2
	s_or_b64 exec, exec, s[56:57]
.LBB6_6457:                             ;   in Loop: Header=BB6_6254 Depth=2
	s_or_b64 exec, exec, s[54:55]
                                        ; implicit-def: $vgpr1
.LBB6_6458:                             ;   in Loop: Header=BB6_6254 Depth=2
	s_andn2_saveexec_b64 s[20:21], s[52:53]
	s_cbranch_execz .LBB6_6460
; %bb.6459:                             ;   in Loop: Header=BB6_6254 Depth=2
	v_or_b32_sdwa v0, v1, s68 dst_sel:DWORD dst_unused:UNUSED_PAD src0_sel:BYTE_3 src1_sel:DWORD
	buffer_load_dword v1, off, s[0:3], s33 offset:172 ; 4-byte Folded Reload
	v_cmp_eq_u64_e32 vcc, 0, v[38:39]
	s_waitcnt vmcnt(0)
	v_cndmask_b32_e32 v1, v0, v1, vcc
	buffer_store_dword v1, off, s[0:3], s33 offset:172 ; 4-byte Folded Spill
.LBB6_6460:                             ;   in Loop: Header=BB6_6254 Depth=2
	s_or_b64 exec, exec, s[20:21]
	v_cmp_lt_u32_e32 vcc, s43, v12
	v_mov_b32_e32 v0, 0
	s_and_saveexec_b64 s[20:21], vcc
	s_cbranch_execz .LBB6_6466
; %bb.6461:                             ;   in Loop: Header=BB6_6254 Depth=2
	v_lshrrev_b32_e32 v2, 24, v12
	v_cmp_ne_u32_e32 vcc, s69, v2
	v_bfrev_b32_e32 v0, 1
	s_and_saveexec_b64 s[52:53], vcc
	s_cbranch_execz .LBB6_6465
; %bb.6462:                             ;   in Loop: Header=BB6_6254 Depth=2
	v_bfe_u32 v1, v12, 24, 7
	v_cmp_ne_u32_e32 vcc, s68, v1
	v_mov_b32_e32 v0, 0x7f800001
	s_and_saveexec_b64 s[54:55], vcc
	s_cbranch_execz .LBB6_6464
; %bb.6463:                             ;   in Loop: Header=BB6_6254 Depth=2
	v_and_b32_e32 v0, 7, v2
	v_ffbh_u32_e32 v4, v0
	v_min_u32_e32 v6, 32, v4
	v_lshrrev_b32_e32 v3, 3, v1
	v_subrev_u32_e32 v4, 28, v6
	v_lshlrev_b64 v[4:5], v4, v[2:3]
	v_sub_u32_e32 v5, 29, v6
	v_and_b32_e32 v4, 7, v4
	v_cmp_gt_u32_e32 vcc, 8, v1
	v_cndmask_b32_e32 v1, v3, v5, vcc
	v_cndmask_b32_e32 v0, v0, v4, vcc
	v_lshlrev_b32_e32 v2, 24, v2
	v_bfrev_b32_e32 v3, 60
	v_lshlrev_b32_e32 v0, 20, v0
	v_and_b32_e32 v2, 0x80000000, v2
	v_lshl_add_u32 v1, v1, 23, v3
	v_or3_b32 v0, v2, v1, v0
.LBB6_6464:                             ;   in Loop: Header=BB6_6254 Depth=2
	s_or_b64 exec, exec, s[54:55]
.LBB6_6465:                             ;   in Loop: Header=BB6_6254 Depth=2
	s_or_b64 exec, exec, s[52:53]
.LBB6_6466:                             ;   in Loop: Header=BB6_6254 Depth=2
	s_or_b64 exec, exec, s[20:21]
	v_mul_f32_e32 v1, v16, v0
	v_and_b32_sdwa v0, v1, s69 dst_sel:DWORD dst_unused:UNUSED_PAD src0_sel:BYTE_3 src1_sel:DWORD
	v_or_b32_e32 v2, 0x7e, v0
	buffer_store_dword v2, off, s[0:3], s33 offset:176 ; 4-byte Folded Spill
	v_and_b32_e32 v2, 0x7f800000, v1
	v_mov_b32_e32 v3, v39
	v_and_b32_e32 v38, 0x7fffff, v1
	v_cmp_ne_u64_e32 vcc, s[38:39], v[2:3]
	s_and_saveexec_b64 s[20:21], vcc
	s_xor_b64 s[52:53], exec, s[20:21]
	s_cbranch_execz .LBB6_6476
; %bb.6467:                             ;   in Loop: Header=BB6_6254 Depth=2
	v_and_b32_e32 v2, 0x7fffffff, v1
	v_mov_b32_e32 v3, v39
	v_cmp_gt_u64_e32 vcc, s[40:41], v[2:3]
	s_and_saveexec_b64 s[54:55], vcc
	s_cbranch_execz .LBB6_6475
; %bb.6468:                             ;   in Loop: Header=BB6_6254 Depth=2
	v_cmp_ne_u32_e32 vcc, 0, v1
	v_mov_b32_e32 v2, 0
	buffer_store_dword v2, off, s[0:3], s33 offset:176 ; 4-byte Folded Spill
	s_and_saveexec_b64 s[56:57], vcc
	s_cbranch_execz .LBB6_6474
; %bb.6469:                             ;   in Loop: Header=BB6_6254 Depth=2
	v_bfe_u32 v1, v1, 23, 8
	v_sub_u32_e32 v3, 0x79, v1
	v_cmp_gt_u32_e32 vcc, s70, v1
	v_add_u32_e32 v2, 0xffffff81, v1
	v_cndmask_b32_e32 v3, 0, v3, vcc
	v_cmp_eq_u32_e32 vcc, 0, v1
	v_mov_b32_e32 v1, 0xffffff82
	v_cndmask_b32_e32 v1, v2, v1, vcc
	v_mov_b32_e32 v2, 0x78
	v_or_b32_e32 v4, 0x800000, v38
	v_cndmask_b32_e32 v5, v3, v2, vcc
	v_cndmask_b32_e32 v38, v4, v38, vcc
	v_add_u32_e32 v2, 20, v5
	v_lshlrev_b64 v[2:3], v2, -1
	v_add_u32_e32 v4, 19, v5
	v_lshrrev_b64 v[8:9], v5, v[38:39]
	v_not_b32_e32 v3, v3
	v_not_b32_e32 v2, v2
	v_lshlrev_b64 v[6:7], v4, 1
	v_lshrrev_b32_e32 v4, 23, v8
	v_and_b32_e32 v3, 0, v3
	v_and_b32_e32 v2, v38, v2
	v_add3_u32 v5, v5, v1, v4
	v_bfe_u32 v1, v8, 20, 1
	v_add_u32_e32 v1, -1, v1
	v_cmp_eq_u64_e32 vcc, v[2:3], v[6:7]
	v_cndmask_b32_e32 v1, 0, v1, vcc
	v_add_u32_e32 v1, v1, v8
	v_and_b32_e32 v1, 0xfffff, v1
	v_add_co_u32_e32 v2, vcc, v1, v8
	v_add_u32_e32 v4, 6, v5
	v_addc_co_u32_e32 v3, vcc, 0, v9, vcc
	v_cmp_ne_u32_e32 vcc, 0, v4
                                        ; implicit-def: $vgpr1
	s_and_saveexec_b64 s[20:21], vcc
	s_xor_b64 s[20:21], exec, s[20:21]
; %bb.6470:                             ;   in Loop: Header=BB6_6254 Depth=2
	v_add_u32_e32 v1, 7, v5
	v_cmp_lt_u64_e32 vcc, s[44:45], v[2:3]
	v_cndmask_b32_e32 v1, v4, v1, vcc
	v_cndmask_b32_e64 v4, 0, 1, vcc
	v_lshrrev_b64 v[2:3], v4, v[2:3]
; %bb.6471:                             ;   in Loop: Header=BB6_6254 Depth=2
	s_andn2_saveexec_b64 s[20:21], s[20:21]
; %bb.6472:                             ;   in Loop: Header=BB6_6254 Depth=2
	v_bfe_u32 v1, v2, 23, 1
; %bb.6473:                             ;   in Loop: Header=BB6_6254 Depth=2
	s_or_b64 exec, exec, s[20:21]
	v_lshrrev_b64 v[2:3], 20, v[2:3]
	v_cmp_gt_i32_e32 vcc, 16, v1
	v_cndmask_b32_e32 v3, 0, v3, vcc
	v_cndmask_b32_e32 v2, 7, v2, vcc
	v_cmp_eq_u32_e32 vcc, 0, v1
	v_min_i32_e32 v1, 15, v1
	v_cmp_eq_u64_e64 s[20:21], 0, v[2:3]
	v_lshlrev_b32_e32 v1, 3, v1
	v_and_or_b32 v1, v2, 7, v1
	s_and_b64 s[20:21], vcc, s[20:21]
	v_cndmask_b32_e64 v1, v1, 0, s[20:21]
	v_or_b32_e32 v0, v1, v0
	buffer_store_dword v0, off, s[0:3], s33 offset:176 ; 4-byte Folded Spill
.LBB6_6474:                             ;   in Loop: Header=BB6_6254 Depth=2
	s_or_b64 exec, exec, s[56:57]
.LBB6_6475:                             ;   in Loop: Header=BB6_6254 Depth=2
	s_or_b64 exec, exec, s[54:55]
                                        ; implicit-def: $vgpr1
.LBB6_6476:                             ;   in Loop: Header=BB6_6254 Depth=2
	s_andn2_saveexec_b64 s[20:21], s[52:53]
	s_cbranch_execz .LBB6_6478
; %bb.6477:                             ;   in Loop: Header=BB6_6254 Depth=2
	v_or_b32_sdwa v0, v1, s68 dst_sel:DWORD dst_unused:UNUSED_PAD src0_sel:BYTE_3 src1_sel:DWORD
	buffer_load_dword v1, off, s[0:3], s33 offset:176 ; 4-byte Folded Reload
	v_cmp_eq_u64_e32 vcc, 0, v[38:39]
	s_waitcnt vmcnt(0)
	v_cndmask_b32_e32 v1, v0, v1, vcc
	buffer_store_dword v1, off, s[0:3], s33 offset:176 ; 4-byte Folded Spill
.LBB6_6478:                             ;   in Loop: Header=BB6_6254 Depth=2
	s_or_b64 exec, exec, s[20:21]
	v_mov_b32_e32 v38, v13
	v_cmp_ne_u16_sdwa vcc, v13, v39 src0_sel:BYTE_0 src1_sel:DWORD
	v_mov_b32_e32 v0, 0
	s_and_saveexec_b64 s[20:21], vcc
	s_cbranch_execz .LBB6_6484
; %bb.6479:                             ;   in Loop: Header=BB6_6254 Depth=2
	v_cmp_ne_u16_sdwa vcc, v13, s69 src0_sel:BYTE_0 src1_sel:DWORD
	v_bfrev_b32_e32 v0, 1
	s_and_saveexec_b64 s[52:53], vcc
	s_cbranch_execz .LBB6_6483
; %bb.6480:                             ;   in Loop: Header=BB6_6254 Depth=2
	v_and_b32_e32 v1, 0x7f, v13
	v_cmp_ne_u32_e32 vcc, s68, v1
	v_mov_b32_e32 v0, 0x7f800001
	s_and_saveexec_b64 s[54:55], vcc
	s_cbranch_execz .LBB6_6482
; %bb.6481:                             ;   in Loop: Header=BB6_6254 Depth=2
	v_and_b32_e32 v0, 7, v13
	v_ffbh_u32_e32 v0, v0
	v_min_u32_e32 v0, 32, v0
	v_lshrrev_b32_e32 v2, 3, v1
	v_subrev_u32_e32 v3, 28, v0
	v_sub_u32_e32 v0, 29, v0
	v_cmp_gt_u32_e32 vcc, 8, v1
	v_cndmask_b32_e32 v2, v2, v0, vcc
	v_cndmask_b32_e32 v0, 0, v3, vcc
	v_lshlrev_b64 v[0:1], v0, v[38:39]
	v_lshlrev_b32_e32 v0, 20, v0
	v_lshlrev_b32_e32 v1, 24, v38
	v_bfrev_b32_e32 v3, 60
	v_and_b32_e32 v0, 0x700000, v0
	v_and_b32_e32 v1, 0x80000000, v1
	v_lshl_add_u32 v2, v2, 23, v3
	v_or3_b32 v0, v1, v2, v0
.LBB6_6482:                             ;   in Loop: Header=BB6_6254 Depth=2
	s_or_b64 exec, exec, s[54:55]
.LBB6_6483:                             ;   in Loop: Header=BB6_6254 Depth=2
	s_or_b64 exec, exec, s[52:53]
.LBB6_6484:                             ;   in Loop: Header=BB6_6254 Depth=2
	s_or_b64 exec, exec, s[20:21]
	v_mul_f32_e32 v1, v16, v0
	v_and_b32_sdwa v0, v1, s69 dst_sel:DWORD dst_unused:UNUSED_PAD src0_sel:BYTE_3 src1_sel:DWORD
	v_or_b32_e32 v4, 0x7e, v0
	buffer_store_dword v4, off, s[0:3], s33 offset:180 ; 4-byte Folded Spill
	v_and_b32_e32 v4, 0x7f800000, v1
	v_mov_b32_e32 v5, v39
	v_and_b32_e32 v2, 0x7fffff, v1
	v_mov_b32_e32 v3, v39
	v_cmp_ne_u64_e32 vcc, s[38:39], v[4:5]
	s_and_saveexec_b64 s[20:21], vcc
	s_xor_b64 s[52:53], exec, s[20:21]
	s_cbranch_execz .LBB6_6494
; %bb.6485:                             ;   in Loop: Header=BB6_6254 Depth=2
	v_and_b32_e32 v4, 0x7fffffff, v1
	v_mov_b32_e32 v5, v39
	v_cmp_gt_u64_e32 vcc, s[40:41], v[4:5]
	s_and_saveexec_b64 s[54:55], vcc
	s_cbranch_execz .LBB6_6493
; %bb.6486:                             ;   in Loop: Header=BB6_6254 Depth=2
	v_cmp_ne_u32_e32 vcc, 0, v1
	v_mov_b32_e32 v4, 0
	buffer_store_dword v4, off, s[0:3], s33 offset:180 ; 4-byte Folded Spill
	s_and_saveexec_b64 s[56:57], vcc
	s_cbranch_execz .LBB6_6492
; %bb.6487:                             ;   in Loop: Header=BB6_6254 Depth=2
	v_bfe_u32 v1, v1, 23, 8
	v_sub_u32_e32 v5, 0x79, v1
	v_cmp_gt_u32_e32 vcc, s70, v1
	v_add_u32_e32 v4, 0xffffff81, v1
	v_cndmask_b32_e32 v5, 0, v5, vcc
	v_cmp_eq_u32_e32 vcc, 0, v1
	v_mov_b32_e32 v1, 0xffffff82
	v_cndmask_b32_e32 v1, v4, v1, vcc
	v_mov_b32_e32 v4, 0x78
	v_cndmask_b32_e32 v10, v5, v4, vcc
	v_add_u32_e32 v4, 20, v10
	v_or_b32_e32 v6, 0x800000, v2
	v_lshlrev_b64 v[4:5], v4, -1
	v_cndmask_b32_e32 v2, v6, v2, vcc
	v_not_b32_e32 v4, v4
	v_and_b32_e32 v6, v2, v4
	v_add_u32_e32 v4, 19, v10
	v_lshrrev_b64 v[2:3], v10, v[2:3]
	v_not_b32_e32 v5, v5
	v_lshlrev_b64 v[8:9], v4, 1
	v_lshrrev_b32_e32 v4, 23, v2
	v_and_b32_e32 v7, 0, v5
	v_add3_u32 v5, v10, v1, v4
	v_bfe_u32 v1, v2, 20, 1
	v_add_u32_e32 v1, -1, v1
	v_cmp_eq_u64_e32 vcc, v[6:7], v[8:9]
	v_cndmask_b32_e32 v1, 0, v1, vcc
	v_add_u32_e32 v1, v1, v2
	v_and_b32_e32 v1, 0xfffff, v1
	v_add_co_u32_e32 v2, vcc, v1, v2
	v_add_u32_e32 v4, 6, v5
	v_addc_co_u32_e32 v3, vcc, 0, v3, vcc
	v_cmp_ne_u32_e32 vcc, 0, v4
                                        ; implicit-def: $vgpr1
	s_and_saveexec_b64 s[20:21], vcc
	s_xor_b64 s[20:21], exec, s[20:21]
; %bb.6488:                             ;   in Loop: Header=BB6_6254 Depth=2
	v_add_u32_e32 v1, 7, v5
	v_cmp_lt_u64_e32 vcc, s[44:45], v[2:3]
	v_cndmask_b32_e32 v1, v4, v1, vcc
	v_cndmask_b32_e64 v4, 0, 1, vcc
	v_lshrrev_b64 v[2:3], v4, v[2:3]
; %bb.6489:                             ;   in Loop: Header=BB6_6254 Depth=2
	s_andn2_saveexec_b64 s[20:21], s[20:21]
; %bb.6490:                             ;   in Loop: Header=BB6_6254 Depth=2
	v_bfe_u32 v1, v2, 23, 1
; %bb.6491:                             ;   in Loop: Header=BB6_6254 Depth=2
	s_or_b64 exec, exec, s[20:21]
	v_lshrrev_b64 v[2:3], 20, v[2:3]
	v_cmp_gt_i32_e32 vcc, 16, v1
	v_cndmask_b32_e32 v3, 0, v3, vcc
	v_cndmask_b32_e32 v2, 7, v2, vcc
	v_cmp_eq_u32_e32 vcc, 0, v1
	v_min_i32_e32 v1, 15, v1
	v_cmp_eq_u64_e64 s[20:21], 0, v[2:3]
	v_lshlrev_b32_e32 v1, 3, v1
	v_and_or_b32 v1, v2, 7, v1
	s_and_b64 s[20:21], vcc, s[20:21]
	v_cndmask_b32_e64 v1, v1, 0, s[20:21]
	v_or_b32_e32 v0, v1, v0
	buffer_store_dword v0, off, s[0:3], s33 offset:180 ; 4-byte Folded Spill
.LBB6_6492:                             ;   in Loop: Header=BB6_6254 Depth=2
	s_or_b64 exec, exec, s[56:57]
.LBB6_6493:                             ;   in Loop: Header=BB6_6254 Depth=2
	s_or_b64 exec, exec, s[54:55]
                                        ; implicit-def: $vgpr1
                                        ; implicit-def: $vgpr2_vgpr3
.LBB6_6494:                             ;   in Loop: Header=BB6_6254 Depth=2
	s_andn2_saveexec_b64 s[20:21], s[52:53]
	s_cbranch_execz .LBB6_6496
; %bb.6495:                             ;   in Loop: Header=BB6_6254 Depth=2
	v_or_b32_sdwa v0, v1, s68 dst_sel:DWORD dst_unused:UNUSED_PAD src0_sel:BYTE_3 src1_sel:DWORD
	buffer_load_dword v1, off, s[0:3], s33 offset:180 ; 4-byte Folded Reload
	v_cmp_eq_u64_e32 vcc, 0, v[2:3]
	s_waitcnt vmcnt(0)
	v_cndmask_b32_e32 v1, v0, v1, vcc
	buffer_store_dword v1, off, s[0:3], s33 offset:180 ; 4-byte Folded Spill
.LBB6_6496:                             ;   in Loop: Header=BB6_6254 Depth=2
	s_or_b64 exec, exec, s[20:21]
	v_lshrrev_b16_e32 v2, 8, v38
	v_cmp_ne_u16_e32 vcc, 0, v2
	v_mov_b32_e32 v0, 0
	s_and_saveexec_b64 s[20:21], vcc
	s_cbranch_execz .LBB6_6502
; %bb.6497:                             ;   in Loop: Header=BB6_6254 Depth=2
	v_cmp_ne_u16_e32 vcc, s69, v2
	v_bfrev_b32_e32 v0, 1
	s_and_saveexec_b64 s[52:53], vcc
	s_cbranch_execz .LBB6_6501
; %bb.6498:                             ;   in Loop: Header=BB6_6254 Depth=2
	v_and_b32_e32 v1, 0x7f, v2
	v_cmp_ne_u32_e32 vcc, s68, v1
	v_mov_b32_e32 v0, 0x7f800001
	s_and_saveexec_b64 s[54:55], vcc
	s_cbranch_execz .LBB6_6500
; %bb.6499:                             ;   in Loop: Header=BB6_6254 Depth=2
	v_and_b32_e32 v0, 7, v2
	v_ffbh_u32_e32 v3, v0
	v_min_u32_e32 v5, 32, v3
	v_subrev_u32_e32 v3, 28, v5
	v_lshlrev_b64 v[2:3], v3, v[2:3]
	v_lshrrev_b32_e32 v4, 3, v1
	v_sub_u32_e32 v3, 29, v5
	v_and_b32_e32 v2, 7, v2
	v_cmp_gt_u32_e32 vcc, 8, v1
	v_cndmask_b32_e32 v1, v4, v3, vcc
	v_cndmask_b32_e32 v0, v0, v2, vcc
	v_lshlrev_b32_e32 v2, 16, v38
	v_bfrev_b32_e32 v3, 60
	v_lshlrev_b32_e32 v0, 20, v0
	v_and_b32_e32 v2, 0x80000000, v2
	v_lshl_add_u32 v1, v1, 23, v3
	v_or3_b32 v0, v2, v1, v0
.LBB6_6500:                             ;   in Loop: Header=BB6_6254 Depth=2
	s_or_b64 exec, exec, s[54:55]
.LBB6_6501:                             ;   in Loop: Header=BB6_6254 Depth=2
	s_or_b64 exec, exec, s[52:53]
.LBB6_6502:                             ;   in Loop: Header=BB6_6254 Depth=2
	s_or_b64 exec, exec, s[20:21]
	v_mul_f32_e32 v1, v16, v0
	v_and_b32_sdwa v0, v1, s69 dst_sel:DWORD dst_unused:UNUSED_PAD src0_sel:BYTE_3 src1_sel:DWORD
	v_or_b32_e32 v2, 0x7e, v0
	buffer_store_dword v2, off, s[0:3], s33 offset:184 ; 4-byte Folded Spill
	v_and_b32_e32 v2, 0x7f800000, v1
	v_mov_b32_e32 v3, v39
	v_and_b32_e32 v38, 0x7fffff, v1
	v_cmp_ne_u64_e32 vcc, s[38:39], v[2:3]
	s_and_saveexec_b64 s[20:21], vcc
	s_xor_b64 s[52:53], exec, s[20:21]
	s_cbranch_execz .LBB6_6512
; %bb.6503:                             ;   in Loop: Header=BB6_6254 Depth=2
	v_and_b32_e32 v2, 0x7fffffff, v1
	v_mov_b32_e32 v3, v39
	v_cmp_gt_u64_e32 vcc, s[40:41], v[2:3]
	s_and_saveexec_b64 s[54:55], vcc
	s_cbranch_execz .LBB6_6511
; %bb.6504:                             ;   in Loop: Header=BB6_6254 Depth=2
	v_cmp_ne_u32_e32 vcc, 0, v1
	v_mov_b32_e32 v2, 0
	buffer_store_dword v2, off, s[0:3], s33 offset:184 ; 4-byte Folded Spill
	s_and_saveexec_b64 s[56:57], vcc
	s_cbranch_execz .LBB6_6510
; %bb.6505:                             ;   in Loop: Header=BB6_6254 Depth=2
	v_bfe_u32 v1, v1, 23, 8
	v_sub_u32_e32 v3, 0x79, v1
	v_cmp_gt_u32_e32 vcc, s70, v1
	v_add_u32_e32 v2, 0xffffff81, v1
	v_cndmask_b32_e32 v3, 0, v3, vcc
	v_cmp_eq_u32_e32 vcc, 0, v1
	v_mov_b32_e32 v1, 0xffffff82
	v_cndmask_b32_e32 v1, v2, v1, vcc
	v_mov_b32_e32 v2, 0x78
	v_or_b32_e32 v4, 0x800000, v38
	v_cndmask_b32_e32 v5, v3, v2, vcc
	v_cndmask_b32_e32 v38, v4, v38, vcc
	v_add_u32_e32 v2, 20, v5
	v_lshlrev_b64 v[2:3], v2, -1
	v_add_u32_e32 v4, 19, v5
	v_lshrrev_b64 v[8:9], v5, v[38:39]
	v_not_b32_e32 v3, v3
	v_not_b32_e32 v2, v2
	v_lshlrev_b64 v[6:7], v4, 1
	v_lshrrev_b32_e32 v4, 23, v8
	v_and_b32_e32 v3, 0, v3
	v_and_b32_e32 v2, v38, v2
	v_add3_u32 v5, v5, v1, v4
	v_bfe_u32 v1, v8, 20, 1
	v_add_u32_e32 v1, -1, v1
	v_cmp_eq_u64_e32 vcc, v[2:3], v[6:7]
	v_cndmask_b32_e32 v1, 0, v1, vcc
	v_add_u32_e32 v1, v1, v8
	v_and_b32_e32 v1, 0xfffff, v1
	v_add_co_u32_e32 v2, vcc, v1, v8
	v_add_u32_e32 v4, 6, v5
	v_addc_co_u32_e32 v3, vcc, 0, v9, vcc
	v_cmp_ne_u32_e32 vcc, 0, v4
                                        ; implicit-def: $vgpr1
	s_and_saveexec_b64 s[20:21], vcc
	s_xor_b64 s[20:21], exec, s[20:21]
; %bb.6506:                             ;   in Loop: Header=BB6_6254 Depth=2
	v_add_u32_e32 v1, 7, v5
	v_cmp_lt_u64_e32 vcc, s[44:45], v[2:3]
	v_cndmask_b32_e32 v1, v4, v1, vcc
	v_cndmask_b32_e64 v4, 0, 1, vcc
	v_lshrrev_b64 v[2:3], v4, v[2:3]
; %bb.6507:                             ;   in Loop: Header=BB6_6254 Depth=2
	s_andn2_saveexec_b64 s[20:21], s[20:21]
; %bb.6508:                             ;   in Loop: Header=BB6_6254 Depth=2
	v_bfe_u32 v1, v2, 23, 1
; %bb.6509:                             ;   in Loop: Header=BB6_6254 Depth=2
	s_or_b64 exec, exec, s[20:21]
	v_lshrrev_b64 v[2:3], 20, v[2:3]
	v_cmp_gt_i32_e32 vcc, 16, v1
	v_cndmask_b32_e32 v3, 0, v3, vcc
	v_cndmask_b32_e32 v2, 7, v2, vcc
	v_cmp_eq_u32_e32 vcc, 0, v1
	v_min_i32_e32 v1, 15, v1
	v_lshlrev_b32_e32 v1, 3, v1
	v_cmp_eq_u64_e64 s[20:21], 0, v[2:3]
	v_and_b32_e32 v1, 0xf8, v1
	v_and_or_b32 v1, v2, 7, v1
	s_and_b64 s[20:21], vcc, s[20:21]
	v_cndmask_b32_e64 v1, v1, 0, s[20:21]
	v_or_b32_e32 v0, v1, v0
	buffer_store_dword v0, off, s[0:3], s33 offset:184 ; 4-byte Folded Spill
.LBB6_6510:                             ;   in Loop: Header=BB6_6254 Depth=2
	s_or_b64 exec, exec, s[56:57]
.LBB6_6511:                             ;   in Loop: Header=BB6_6254 Depth=2
	s_or_b64 exec, exec, s[54:55]
                                        ; implicit-def: $vgpr1
.LBB6_6512:                             ;   in Loop: Header=BB6_6254 Depth=2
	s_andn2_saveexec_b64 s[20:21], s[52:53]
	s_cbranch_execz .LBB6_6514
; %bb.6513:                             ;   in Loop: Header=BB6_6254 Depth=2
	v_or_b32_sdwa v0, v1, s68 dst_sel:DWORD dst_unused:UNUSED_PAD src0_sel:BYTE_3 src1_sel:DWORD
	buffer_load_dword v1, off, s[0:3], s33 offset:184 ; 4-byte Folded Reload
	v_cmp_eq_u64_e32 vcc, 0, v[38:39]
	s_waitcnt vmcnt(0)
	v_cndmask_b32_e32 v1, v0, v1, vcc
	buffer_store_dword v1, off, s[0:3], s33 offset:184 ; 4-byte Folded Spill
.LBB6_6514:                             ;   in Loop: Header=BB6_6254 Depth=2
	s_or_b64 exec, exec, s[20:21]
	v_lshrrev_b32_e32 v2, 16, v13
	v_cmp_ne_u16_sdwa vcc, v2, v39 src0_sel:BYTE_0 src1_sel:DWORD
	v_mov_b32_e32 v0, 0
	s_and_saveexec_b64 s[20:21], vcc
	s_cbranch_execz .LBB6_6520
; %bb.6515:                             ;   in Loop: Header=BB6_6254 Depth=2
	v_cmp_ne_u16_sdwa vcc, v2, s69 src0_sel:BYTE_0 src1_sel:DWORD
	v_bfrev_b32_e32 v0, 1
	s_and_saveexec_b64 s[52:53], vcc
	s_cbranch_execz .LBB6_6519
; %bb.6516:                             ;   in Loop: Header=BB6_6254 Depth=2
	v_bfe_u32 v1, v13, 16, 7
	v_cmp_ne_u32_e32 vcc, s68, v1
	v_mov_b32_e32 v0, 0x7f800001
	s_and_saveexec_b64 s[54:55], vcc
	s_cbranch_execz .LBB6_6518
; %bb.6517:                             ;   in Loop: Header=BB6_6254 Depth=2
	v_and_b32_e32 v0, 7, v2
	v_ffbh_u32_e32 v4, v0
	v_min_u32_e32 v6, 32, v4
	v_lshrrev_b32_e32 v3, 3, v1
	v_subrev_u32_e32 v4, 28, v6
	v_lshlrev_b64 v[4:5], v4, v[2:3]
	v_sub_u32_e32 v5, 29, v6
	v_and_b32_e32 v4, 7, v4
	v_cmp_gt_u32_e32 vcc, 8, v1
	v_cndmask_b32_e32 v1, v3, v5, vcc
	v_cndmask_b32_e32 v0, v0, v4, vcc
	v_lshlrev_b32_e32 v2, 24, v2
	v_bfrev_b32_e32 v3, 60
	v_lshlrev_b32_e32 v0, 20, v0
	v_and_b32_e32 v2, 0x80000000, v2
	v_lshl_add_u32 v1, v1, 23, v3
	v_or3_b32 v0, v2, v1, v0
.LBB6_6518:                             ;   in Loop: Header=BB6_6254 Depth=2
	s_or_b64 exec, exec, s[54:55]
.LBB6_6519:                             ;   in Loop: Header=BB6_6254 Depth=2
	s_or_b64 exec, exec, s[52:53]
.LBB6_6520:                             ;   in Loop: Header=BB6_6254 Depth=2
	s_or_b64 exec, exec, s[20:21]
	v_mul_f32_e32 v1, v16, v0
	v_and_b32_sdwa v0, v1, s69 dst_sel:DWORD dst_unused:UNUSED_PAD src0_sel:BYTE_3 src1_sel:DWORD
	v_or_b32_e32 v2, 0x7e, v0
	buffer_store_dword v2, off, s[0:3], s33 offset:188 ; 4-byte Folded Spill
	v_and_b32_e32 v2, 0x7f800000, v1
	v_mov_b32_e32 v3, v39
	v_and_b32_e32 v38, 0x7fffff, v1
	v_cmp_ne_u64_e32 vcc, s[38:39], v[2:3]
	s_and_saveexec_b64 s[20:21], vcc
	s_xor_b64 s[52:53], exec, s[20:21]
	s_cbranch_execz .LBB6_6530
; %bb.6521:                             ;   in Loop: Header=BB6_6254 Depth=2
	v_and_b32_e32 v2, 0x7fffffff, v1
	v_mov_b32_e32 v3, v39
	v_cmp_gt_u64_e32 vcc, s[40:41], v[2:3]
	s_and_saveexec_b64 s[54:55], vcc
	s_cbranch_execz .LBB6_6529
; %bb.6522:                             ;   in Loop: Header=BB6_6254 Depth=2
	v_cmp_ne_u32_e32 vcc, 0, v1
	v_mov_b32_e32 v2, 0
	buffer_store_dword v2, off, s[0:3], s33 offset:188 ; 4-byte Folded Spill
	s_and_saveexec_b64 s[56:57], vcc
	s_cbranch_execz .LBB6_6528
; %bb.6523:                             ;   in Loop: Header=BB6_6254 Depth=2
	v_bfe_u32 v1, v1, 23, 8
	v_sub_u32_e32 v3, 0x79, v1
	v_cmp_gt_u32_e32 vcc, s70, v1
	v_add_u32_e32 v2, 0xffffff81, v1
	v_cndmask_b32_e32 v3, 0, v3, vcc
	v_cmp_eq_u32_e32 vcc, 0, v1
	v_mov_b32_e32 v1, 0xffffff82
	v_cndmask_b32_e32 v1, v2, v1, vcc
	v_mov_b32_e32 v2, 0x78
	v_or_b32_e32 v4, 0x800000, v38
	v_cndmask_b32_e32 v5, v3, v2, vcc
	v_cndmask_b32_e32 v38, v4, v38, vcc
	v_add_u32_e32 v2, 20, v5
	v_lshlrev_b64 v[2:3], v2, -1
	v_add_u32_e32 v4, 19, v5
	v_lshrrev_b64 v[8:9], v5, v[38:39]
	v_not_b32_e32 v3, v3
	v_not_b32_e32 v2, v2
	v_lshlrev_b64 v[6:7], v4, 1
	v_lshrrev_b32_e32 v4, 23, v8
	v_and_b32_e32 v3, 0, v3
	v_and_b32_e32 v2, v38, v2
	v_add3_u32 v5, v5, v1, v4
	v_bfe_u32 v1, v8, 20, 1
	v_add_u32_e32 v1, -1, v1
	v_cmp_eq_u64_e32 vcc, v[2:3], v[6:7]
	v_cndmask_b32_e32 v1, 0, v1, vcc
	v_add_u32_e32 v1, v1, v8
	v_and_b32_e32 v1, 0xfffff, v1
	v_add_co_u32_e32 v2, vcc, v1, v8
	v_add_u32_e32 v4, 6, v5
	v_addc_co_u32_e32 v3, vcc, 0, v9, vcc
	v_cmp_ne_u32_e32 vcc, 0, v4
                                        ; implicit-def: $vgpr1
	s_and_saveexec_b64 s[20:21], vcc
	s_xor_b64 s[20:21], exec, s[20:21]
; %bb.6524:                             ;   in Loop: Header=BB6_6254 Depth=2
	v_add_u32_e32 v1, 7, v5
	v_cmp_lt_u64_e32 vcc, s[44:45], v[2:3]
	v_cndmask_b32_e32 v1, v4, v1, vcc
	v_cndmask_b32_e64 v4, 0, 1, vcc
	v_lshrrev_b64 v[2:3], v4, v[2:3]
; %bb.6525:                             ;   in Loop: Header=BB6_6254 Depth=2
	s_andn2_saveexec_b64 s[20:21], s[20:21]
; %bb.6526:                             ;   in Loop: Header=BB6_6254 Depth=2
	v_bfe_u32 v1, v2, 23, 1
; %bb.6527:                             ;   in Loop: Header=BB6_6254 Depth=2
	s_or_b64 exec, exec, s[20:21]
	v_lshrrev_b64 v[2:3], 20, v[2:3]
	v_cmp_gt_i32_e32 vcc, 16, v1
	v_cndmask_b32_e32 v3, 0, v3, vcc
	v_cndmask_b32_e32 v2, 7, v2, vcc
	v_cmp_eq_u32_e32 vcc, 0, v1
	v_min_i32_e32 v1, 15, v1
	v_lshlrev_b32_e32 v1, 3, v1
	v_cmp_eq_u64_e64 s[20:21], 0, v[2:3]
	v_and_b32_e32 v1, 0xf8, v1
	v_and_or_b32 v1, v2, 7, v1
	s_and_b64 s[20:21], vcc, s[20:21]
	v_cndmask_b32_e64 v1, v1, 0, s[20:21]
	v_or_b32_e32 v0, v1, v0
	buffer_store_dword v0, off, s[0:3], s33 offset:188 ; 4-byte Folded Spill
.LBB6_6528:                             ;   in Loop: Header=BB6_6254 Depth=2
	s_or_b64 exec, exec, s[56:57]
.LBB6_6529:                             ;   in Loop: Header=BB6_6254 Depth=2
	s_or_b64 exec, exec, s[54:55]
                                        ; implicit-def: $vgpr1
.LBB6_6530:                             ;   in Loop: Header=BB6_6254 Depth=2
	s_andn2_saveexec_b64 s[20:21], s[52:53]
	s_cbranch_execz .LBB6_6532
; %bb.6531:                             ;   in Loop: Header=BB6_6254 Depth=2
	v_or_b32_sdwa v0, v1, s68 dst_sel:DWORD dst_unused:UNUSED_PAD src0_sel:BYTE_3 src1_sel:DWORD
	buffer_load_dword v1, off, s[0:3], s33 offset:188 ; 4-byte Folded Reload
	v_cmp_eq_u64_e32 vcc, 0, v[38:39]
	s_waitcnt vmcnt(0)
	v_cndmask_b32_e32 v1, v0, v1, vcc
	buffer_store_dword v1, off, s[0:3], s33 offset:188 ; 4-byte Folded Spill
.LBB6_6532:                             ;   in Loop: Header=BB6_6254 Depth=2
	s_or_b64 exec, exec, s[20:21]
	v_cmp_lt_u64_e32 vcc, s[42:43], v[12:13]
	v_mov_b32_e32 v0, 0
	s_and_saveexec_b64 s[20:21], vcc
	s_cbranch_execz .LBB6_6538
; %bb.6533:                             ;   in Loop: Header=BB6_6254 Depth=2
	v_lshrrev_b32_e32 v2, 24, v13
	v_cmp_ne_u32_e32 vcc, s69, v2
	v_bfrev_b32_e32 v0, 1
	s_and_saveexec_b64 s[52:53], vcc
	s_cbranch_execz .LBB6_6537
; %bb.6534:                             ;   in Loop: Header=BB6_6254 Depth=2
	v_bfe_u32 v1, v13, 24, 7
	v_cmp_ne_u32_e32 vcc, s68, v1
	v_mov_b32_e32 v0, 0x7f800001
	s_and_saveexec_b64 s[54:55], vcc
	s_cbranch_execz .LBB6_6536
; %bb.6535:                             ;   in Loop: Header=BB6_6254 Depth=2
	v_and_b32_e32 v0, 7, v2
	v_ffbh_u32_e32 v4, v0
	v_min_u32_e32 v6, 32, v4
	v_lshrrev_b32_e32 v3, 3, v1
	v_subrev_u32_e32 v4, 28, v6
	v_lshlrev_b64 v[4:5], v4, v[2:3]
	v_sub_u32_e32 v5, 29, v6
	v_and_b32_e32 v4, 7, v4
	v_cmp_gt_u32_e32 vcc, 8, v1
	v_cndmask_b32_e32 v1, v3, v5, vcc
	v_cndmask_b32_e32 v0, v0, v4, vcc
	v_lshlrev_b32_e32 v2, 24, v2
	v_bfrev_b32_e32 v3, 60
	v_lshlrev_b32_e32 v0, 20, v0
	v_and_b32_e32 v2, 0x80000000, v2
	v_lshl_add_u32 v1, v1, 23, v3
	v_or3_b32 v0, v2, v1, v0
.LBB6_6536:                             ;   in Loop: Header=BB6_6254 Depth=2
	s_or_b64 exec, exec, s[54:55]
.LBB6_6537:                             ;   in Loop: Header=BB6_6254 Depth=2
	s_or_b64 exec, exec, s[52:53]
.LBB6_6538:                             ;   in Loop: Header=BB6_6254 Depth=2
	s_or_b64 exec, exec, s[20:21]
	v_mul_f32_e32 v1, v16, v0
	v_and_b32_sdwa v0, v1, s69 dst_sel:DWORD dst_unused:UNUSED_PAD src0_sel:BYTE_3 src1_sel:DWORD
	v_or_b32_e32 v2, 0x7e, v0
	buffer_store_dword v2, off, s[0:3], s33 offset:192 ; 4-byte Folded Spill
	v_and_b32_e32 v2, 0x7f800000, v1
	v_mov_b32_e32 v3, v39
	v_and_b32_e32 v38, 0x7fffff, v1
	v_cmp_ne_u64_e32 vcc, s[38:39], v[2:3]
	s_and_saveexec_b64 s[20:21], vcc
	s_xor_b64 s[52:53], exec, s[20:21]
	s_cbranch_execz .LBB6_6548
; %bb.6539:                             ;   in Loop: Header=BB6_6254 Depth=2
	v_and_b32_e32 v2, 0x7fffffff, v1
	v_mov_b32_e32 v3, v39
	v_cmp_gt_u64_e32 vcc, s[40:41], v[2:3]
	s_and_saveexec_b64 s[54:55], vcc
	s_cbranch_execz .LBB6_6547
; %bb.6540:                             ;   in Loop: Header=BB6_6254 Depth=2
	v_cmp_ne_u32_e32 vcc, 0, v1
	v_mov_b32_e32 v2, 0
	buffer_store_dword v2, off, s[0:3], s33 offset:192 ; 4-byte Folded Spill
	s_and_saveexec_b64 s[56:57], vcc
	s_cbranch_execz .LBB6_6546
; %bb.6541:                             ;   in Loop: Header=BB6_6254 Depth=2
	v_bfe_u32 v1, v1, 23, 8
	v_sub_u32_e32 v3, 0x79, v1
	v_cmp_gt_u32_e32 vcc, s70, v1
	v_add_u32_e32 v2, 0xffffff81, v1
	v_cndmask_b32_e32 v3, 0, v3, vcc
	v_cmp_eq_u32_e32 vcc, 0, v1
	v_mov_b32_e32 v1, 0xffffff82
	v_cndmask_b32_e32 v1, v2, v1, vcc
	v_mov_b32_e32 v2, 0x78
	v_or_b32_e32 v4, 0x800000, v38
	v_cndmask_b32_e32 v5, v3, v2, vcc
	v_cndmask_b32_e32 v38, v4, v38, vcc
	v_add_u32_e32 v2, 20, v5
	v_lshlrev_b64 v[2:3], v2, -1
	v_add_u32_e32 v4, 19, v5
	v_lshrrev_b64 v[8:9], v5, v[38:39]
	v_not_b32_e32 v3, v3
	v_not_b32_e32 v2, v2
	v_lshlrev_b64 v[6:7], v4, 1
	v_lshrrev_b32_e32 v4, 23, v8
	v_and_b32_e32 v3, 0, v3
	v_and_b32_e32 v2, v38, v2
	v_add3_u32 v5, v5, v1, v4
	v_bfe_u32 v1, v8, 20, 1
	v_add_u32_e32 v1, -1, v1
	v_cmp_eq_u64_e32 vcc, v[2:3], v[6:7]
	v_cndmask_b32_e32 v1, 0, v1, vcc
	v_add_u32_e32 v1, v1, v8
	v_and_b32_e32 v1, 0xfffff, v1
	v_add_co_u32_e32 v2, vcc, v1, v8
	v_add_u32_e32 v4, 6, v5
	v_addc_co_u32_e32 v3, vcc, 0, v9, vcc
	v_cmp_ne_u32_e32 vcc, 0, v4
                                        ; implicit-def: $vgpr1
	s_and_saveexec_b64 s[20:21], vcc
	s_xor_b64 s[20:21], exec, s[20:21]
; %bb.6542:                             ;   in Loop: Header=BB6_6254 Depth=2
	v_add_u32_e32 v1, 7, v5
	v_cmp_lt_u64_e32 vcc, s[44:45], v[2:3]
	v_cndmask_b32_e32 v1, v4, v1, vcc
	v_cndmask_b32_e64 v4, 0, 1, vcc
	v_lshrrev_b64 v[2:3], v4, v[2:3]
; %bb.6543:                             ;   in Loop: Header=BB6_6254 Depth=2
	s_andn2_saveexec_b64 s[20:21], s[20:21]
; %bb.6544:                             ;   in Loop: Header=BB6_6254 Depth=2
	v_bfe_u32 v1, v2, 23, 1
; %bb.6545:                             ;   in Loop: Header=BB6_6254 Depth=2
	s_or_b64 exec, exec, s[20:21]
	v_lshrrev_b64 v[2:3], 20, v[2:3]
	v_cmp_gt_i32_e32 vcc, 16, v1
	v_cndmask_b32_e32 v3, 0, v3, vcc
	v_cndmask_b32_e32 v2, 7, v2, vcc
	v_cmp_eq_u32_e32 vcc, 0, v1
	v_min_i32_e32 v1, 15, v1
	v_lshlrev_b32_e32 v1, 3, v1
	v_cmp_eq_u64_e64 s[20:21], 0, v[2:3]
	v_and_b32_e32 v1, 0xf8, v1
	v_and_or_b32 v1, v2, 7, v1
	s_and_b64 s[20:21], vcc, s[20:21]
	v_cndmask_b32_e64 v1, v1, 0, s[20:21]
	v_or_b32_e32 v0, v1, v0
	buffer_store_dword v0, off, s[0:3], s33 offset:192 ; 4-byte Folded Spill
.LBB6_6546:                             ;   in Loop: Header=BB6_6254 Depth=2
	s_or_b64 exec, exec, s[56:57]
.LBB6_6547:                             ;   in Loop: Header=BB6_6254 Depth=2
	s_or_b64 exec, exec, s[54:55]
                                        ; implicit-def: $vgpr1
.LBB6_6548:                             ;   in Loop: Header=BB6_6254 Depth=2
	s_andn2_saveexec_b64 s[20:21], s[52:53]
	s_cbranch_execz .LBB6_6550
; %bb.6549:                             ;   in Loop: Header=BB6_6254 Depth=2
	v_or_b32_sdwa v0, v1, s68 dst_sel:DWORD dst_unused:UNUSED_PAD src0_sel:BYTE_3 src1_sel:DWORD
	buffer_load_dword v1, off, s[0:3], s33 offset:192 ; 4-byte Folded Reload
	v_cmp_eq_u64_e32 vcc, 0, v[38:39]
	s_waitcnt vmcnt(0)
	v_cndmask_b32_e32 v1, v0, v1, vcc
	buffer_store_dword v1, off, s[0:3], s33 offset:192 ; 4-byte Folded Spill
.LBB6_6550:                             ;   in Loop: Header=BB6_6254 Depth=2
	s_or_b64 exec, exec, s[20:21]
	global_load_dwordx4 v[10:13], v[14:15], off offset:1024 glc slc
	v_mov_b32_e32 v0, 0
	s_waitcnt vmcnt(0)
	v_cmp_ne_u16_sdwa vcc, v10, v39 src0_sel:BYTE_0 src1_sel:DWORD
	s_and_saveexec_b64 s[20:21], vcc
	s_cbranch_execz .LBB6_6556
; %bb.6551:                             ;   in Loop: Header=BB6_6254 Depth=2
	v_cmp_ne_u16_sdwa vcc, v10, s69 src0_sel:BYTE_0 src1_sel:DWORD
	v_bfrev_b32_e32 v0, 1
	s_and_saveexec_b64 s[52:53], vcc
	s_cbranch_execz .LBB6_6555
; %bb.6552:                             ;   in Loop: Header=BB6_6254 Depth=2
	v_and_b32_e32 v1, 0x7f, v10
	v_cmp_ne_u32_e32 vcc, s68, v1
	v_mov_b32_e32 v0, 0x7f800001
	s_and_saveexec_b64 s[54:55], vcc
	s_cbranch_execz .LBB6_6554
; %bb.6553:                             ;   in Loop: Header=BB6_6254 Depth=2
	v_and_b32_e32 v0, 7, v10
	v_ffbh_u32_e32 v0, v0
	v_min_u32_e32 v0, 32, v0
	v_lshrrev_b32_e32 v2, 3, v1
	v_subrev_u32_e32 v3, 28, v0
	v_sub_u32_e32 v0, 29, v0
	v_cmp_gt_u32_e32 vcc, 8, v1
	v_cndmask_b32_e32 v2, v2, v0, vcc
	v_cndmask_b32_e32 v0, 0, v3, vcc
	v_lshlrev_b64 v[0:1], v0, v[10:11]
	v_lshlrev_b32_e32 v0, 20, v0
	v_lshlrev_b32_e32 v1, 24, v10
	v_bfrev_b32_e32 v3, 60
	v_and_b32_e32 v0, 0x700000, v0
	v_and_b32_e32 v1, 0x80000000, v1
	v_lshl_add_u32 v2, v2, 23, v3
	v_or3_b32 v0, v1, v2, v0
.LBB6_6554:                             ;   in Loop: Header=BB6_6254 Depth=2
	s_or_b64 exec, exec, s[54:55]
.LBB6_6555:                             ;   in Loop: Header=BB6_6254 Depth=2
	s_or_b64 exec, exec, s[52:53]
.LBB6_6556:                             ;   in Loop: Header=BB6_6254 Depth=2
	s_or_b64 exec, exec, s[20:21]
	v_mul_f32_e32 v1, v16, v0
	v_and_b32_sdwa v0, v1, s69 dst_sel:DWORD dst_unused:UNUSED_PAD src0_sel:BYTE_3 src1_sel:DWORD
	v_or_b32_e32 v2, 0x7e, v0
	buffer_store_dword v2, off, s[0:3], s33 offset:196 ; 4-byte Folded Spill
	v_and_b32_e32 v2, 0x7f800000, v1
	v_mov_b32_e32 v3, v39
	v_and_b32_e32 v38, 0x7fffff, v1
	v_cmp_ne_u64_e32 vcc, s[38:39], v[2:3]
	s_and_saveexec_b64 s[20:21], vcc
	s_xor_b64 s[52:53], exec, s[20:21]
	s_cbranch_execz .LBB6_6566
; %bb.6557:                             ;   in Loop: Header=BB6_6254 Depth=2
	v_and_b32_e32 v2, 0x7fffffff, v1
	v_mov_b32_e32 v3, v39
	v_cmp_gt_u64_e32 vcc, s[40:41], v[2:3]
	s_and_saveexec_b64 s[54:55], vcc
	s_cbranch_execz .LBB6_6565
; %bb.6558:                             ;   in Loop: Header=BB6_6254 Depth=2
	v_cmp_ne_u32_e32 vcc, 0, v1
	v_mov_b32_e32 v2, 0
	buffer_store_dword v2, off, s[0:3], s33 offset:196 ; 4-byte Folded Spill
	s_and_saveexec_b64 s[56:57], vcc
	s_cbranch_execz .LBB6_6564
; %bb.6559:                             ;   in Loop: Header=BB6_6254 Depth=2
	v_bfe_u32 v1, v1, 23, 8
	v_sub_u32_e32 v3, 0x79, v1
	v_cmp_gt_u32_e32 vcc, s70, v1
	v_add_u32_e32 v2, 0xffffff81, v1
	v_cndmask_b32_e32 v3, 0, v3, vcc
	v_cmp_eq_u32_e32 vcc, 0, v1
	v_mov_b32_e32 v1, 0xffffff82
	v_cndmask_b32_e32 v1, v2, v1, vcc
	v_mov_b32_e32 v2, 0x78
	v_or_b32_e32 v4, 0x800000, v38
	v_cndmask_b32_e32 v5, v3, v2, vcc
	v_cndmask_b32_e32 v38, v4, v38, vcc
	v_add_u32_e32 v2, 20, v5
	v_lshlrev_b64 v[2:3], v2, -1
	v_add_u32_e32 v4, 19, v5
	v_lshrrev_b64 v[8:9], v5, v[38:39]
	v_not_b32_e32 v3, v3
	v_not_b32_e32 v2, v2
	v_lshlrev_b64 v[6:7], v4, 1
	v_lshrrev_b32_e32 v4, 23, v8
	v_and_b32_e32 v3, 0, v3
	v_and_b32_e32 v2, v38, v2
	v_add3_u32 v5, v5, v1, v4
	v_bfe_u32 v1, v8, 20, 1
	v_add_u32_e32 v1, -1, v1
	v_cmp_eq_u64_e32 vcc, v[2:3], v[6:7]
	v_cndmask_b32_e32 v1, 0, v1, vcc
	v_add_u32_e32 v1, v1, v8
	v_and_b32_e32 v1, 0xfffff, v1
	v_add_co_u32_e32 v2, vcc, v1, v8
	v_add_u32_e32 v4, 6, v5
	v_addc_co_u32_e32 v3, vcc, 0, v9, vcc
	v_cmp_ne_u32_e32 vcc, 0, v4
                                        ; implicit-def: $vgpr1
	s_and_saveexec_b64 s[20:21], vcc
	s_xor_b64 s[20:21], exec, s[20:21]
; %bb.6560:                             ;   in Loop: Header=BB6_6254 Depth=2
	v_add_u32_e32 v1, 7, v5
	v_cmp_lt_u64_e32 vcc, s[44:45], v[2:3]
	v_cndmask_b32_e32 v1, v4, v1, vcc
	v_cndmask_b32_e64 v4, 0, 1, vcc
	v_lshrrev_b64 v[2:3], v4, v[2:3]
; %bb.6561:                             ;   in Loop: Header=BB6_6254 Depth=2
	s_andn2_saveexec_b64 s[20:21], s[20:21]
; %bb.6562:                             ;   in Loop: Header=BB6_6254 Depth=2
	v_bfe_u32 v1, v2, 23, 1
; %bb.6563:                             ;   in Loop: Header=BB6_6254 Depth=2
	s_or_b64 exec, exec, s[20:21]
	v_lshrrev_b64 v[2:3], 20, v[2:3]
	v_cmp_gt_i32_e32 vcc, 16, v1
	v_cndmask_b32_e32 v3, 0, v3, vcc
	v_cndmask_b32_e32 v2, 7, v2, vcc
	v_cmp_eq_u32_e32 vcc, 0, v1
	v_min_i32_e32 v1, 15, v1
	v_cmp_eq_u64_e64 s[20:21], 0, v[2:3]
	v_lshlrev_b32_e32 v1, 3, v1
	v_and_or_b32 v1, v2, 7, v1
	s_and_b64 s[20:21], vcc, s[20:21]
	v_cndmask_b32_e64 v1, v1, 0, s[20:21]
	v_or_b32_e32 v0, v1, v0
	buffer_store_dword v0, off, s[0:3], s33 offset:196 ; 4-byte Folded Spill
.LBB6_6564:                             ;   in Loop: Header=BB6_6254 Depth=2
	s_or_b64 exec, exec, s[56:57]
.LBB6_6565:                             ;   in Loop: Header=BB6_6254 Depth=2
	s_or_b64 exec, exec, s[54:55]
                                        ; implicit-def: $vgpr1
.LBB6_6566:                             ;   in Loop: Header=BB6_6254 Depth=2
	s_andn2_saveexec_b64 s[20:21], s[52:53]
	s_cbranch_execz .LBB6_6568
; %bb.6567:                             ;   in Loop: Header=BB6_6254 Depth=2
	v_or_b32_sdwa v0, v1, s68 dst_sel:DWORD dst_unused:UNUSED_PAD src0_sel:BYTE_3 src1_sel:DWORD
	buffer_load_dword v1, off, s[0:3], s33 offset:196 ; 4-byte Folded Reload
	v_cmp_eq_u64_e32 vcc, 0, v[38:39]
	s_waitcnt vmcnt(0)
	v_cndmask_b32_e32 v1, v0, v1, vcc
	buffer_store_dword v1, off, s[0:3], s33 offset:196 ; 4-byte Folded Spill
.LBB6_6568:                             ;   in Loop: Header=BB6_6254 Depth=2
	s_or_b64 exec, exec, s[20:21]
	v_lshrrev_b16_e32 v2, 8, v10
	v_cmp_ne_u16_e32 vcc, 0, v2
	v_mov_b32_e32 v0, 0
	s_and_saveexec_b64 s[20:21], vcc
	s_cbranch_execz .LBB6_6574
; %bb.6569:                             ;   in Loop: Header=BB6_6254 Depth=2
	v_cmp_ne_u16_e32 vcc, s69, v2
	v_bfrev_b32_e32 v0, 1
	s_and_saveexec_b64 s[52:53], vcc
	s_cbranch_execz .LBB6_6573
; %bb.6570:                             ;   in Loop: Header=BB6_6254 Depth=2
	v_and_b32_e32 v1, 0x7f, v2
	v_cmp_ne_u32_e32 vcc, s68, v1
	v_mov_b32_e32 v0, 0x7f800001
	s_and_saveexec_b64 s[54:55], vcc
	s_cbranch_execz .LBB6_6572
; %bb.6571:                             ;   in Loop: Header=BB6_6254 Depth=2
	v_and_b32_e32 v0, 7, v2
	v_ffbh_u32_e32 v3, v0
	v_min_u32_e32 v5, 32, v3
	v_subrev_u32_e32 v3, 28, v5
	v_lshlrev_b64 v[2:3], v3, v[2:3]
	v_lshrrev_b32_e32 v4, 3, v1
	v_sub_u32_e32 v3, 29, v5
	v_and_b32_e32 v2, 7, v2
	v_cmp_gt_u32_e32 vcc, 8, v1
	v_cndmask_b32_e32 v1, v4, v3, vcc
	v_cndmask_b32_e32 v0, v0, v2, vcc
	v_lshlrev_b32_e32 v2, 16, v10
	v_bfrev_b32_e32 v3, 60
	v_lshlrev_b32_e32 v0, 20, v0
	v_and_b32_e32 v2, 0x80000000, v2
	v_lshl_add_u32 v1, v1, 23, v3
	v_or3_b32 v0, v2, v1, v0
.LBB6_6572:                             ;   in Loop: Header=BB6_6254 Depth=2
	s_or_b64 exec, exec, s[54:55]
.LBB6_6573:                             ;   in Loop: Header=BB6_6254 Depth=2
	s_or_b64 exec, exec, s[52:53]
.LBB6_6574:                             ;   in Loop: Header=BB6_6254 Depth=2
	s_or_b64 exec, exec, s[20:21]
	v_mul_f32_e32 v1, v16, v0
	v_and_b32_sdwa v0, v1, s69 dst_sel:DWORD dst_unused:UNUSED_PAD src0_sel:BYTE_3 src1_sel:DWORD
	v_or_b32_e32 v2, 0x7e, v0
	buffer_store_dword v2, off, s[0:3], s33 offset:200 ; 4-byte Folded Spill
	v_and_b32_e32 v2, 0x7f800000, v1
	v_mov_b32_e32 v3, v39
	v_and_b32_e32 v38, 0x7fffff, v1
	v_cmp_ne_u64_e32 vcc, s[38:39], v[2:3]
	s_and_saveexec_b64 s[20:21], vcc
	s_xor_b64 s[52:53], exec, s[20:21]
	s_cbranch_execz .LBB6_6584
; %bb.6575:                             ;   in Loop: Header=BB6_6254 Depth=2
	v_and_b32_e32 v2, 0x7fffffff, v1
	v_mov_b32_e32 v3, v39
	v_cmp_gt_u64_e32 vcc, s[40:41], v[2:3]
	s_and_saveexec_b64 s[54:55], vcc
	s_cbranch_execz .LBB6_6583
; %bb.6576:                             ;   in Loop: Header=BB6_6254 Depth=2
	v_cmp_ne_u32_e32 vcc, 0, v1
	v_mov_b32_e32 v2, 0
	buffer_store_dword v2, off, s[0:3], s33 offset:200 ; 4-byte Folded Spill
	s_and_saveexec_b64 s[56:57], vcc
	s_cbranch_execz .LBB6_6582
; %bb.6577:                             ;   in Loop: Header=BB6_6254 Depth=2
	v_bfe_u32 v1, v1, 23, 8
	v_sub_u32_e32 v3, 0x79, v1
	v_cmp_gt_u32_e32 vcc, s70, v1
	v_add_u32_e32 v2, 0xffffff81, v1
	v_cndmask_b32_e32 v3, 0, v3, vcc
	v_cmp_eq_u32_e32 vcc, 0, v1
	v_mov_b32_e32 v1, 0xffffff82
	v_cndmask_b32_e32 v1, v2, v1, vcc
	v_mov_b32_e32 v2, 0x78
	v_or_b32_e32 v4, 0x800000, v38
	v_cndmask_b32_e32 v5, v3, v2, vcc
	v_cndmask_b32_e32 v38, v4, v38, vcc
	v_add_u32_e32 v2, 20, v5
	v_lshlrev_b64 v[2:3], v2, -1
	v_add_u32_e32 v4, 19, v5
	v_lshrrev_b64 v[8:9], v5, v[38:39]
	v_not_b32_e32 v3, v3
	v_not_b32_e32 v2, v2
	v_lshlrev_b64 v[6:7], v4, 1
	v_lshrrev_b32_e32 v4, 23, v8
	v_and_b32_e32 v3, 0, v3
	v_and_b32_e32 v2, v38, v2
	v_add3_u32 v5, v5, v1, v4
	v_bfe_u32 v1, v8, 20, 1
	v_add_u32_e32 v1, -1, v1
	v_cmp_eq_u64_e32 vcc, v[2:3], v[6:7]
	v_cndmask_b32_e32 v1, 0, v1, vcc
	v_add_u32_e32 v1, v1, v8
	v_and_b32_e32 v1, 0xfffff, v1
	v_add_co_u32_e32 v2, vcc, v1, v8
	v_add_u32_e32 v4, 6, v5
	v_addc_co_u32_e32 v3, vcc, 0, v9, vcc
	v_cmp_ne_u32_e32 vcc, 0, v4
                                        ; implicit-def: $vgpr1
	s_and_saveexec_b64 s[20:21], vcc
	s_xor_b64 s[20:21], exec, s[20:21]
; %bb.6578:                             ;   in Loop: Header=BB6_6254 Depth=2
	v_add_u32_e32 v1, 7, v5
	v_cmp_lt_u64_e32 vcc, s[44:45], v[2:3]
	v_cndmask_b32_e32 v1, v4, v1, vcc
	v_cndmask_b32_e64 v4, 0, 1, vcc
	v_lshrrev_b64 v[2:3], v4, v[2:3]
; %bb.6579:                             ;   in Loop: Header=BB6_6254 Depth=2
	s_andn2_saveexec_b64 s[20:21], s[20:21]
; %bb.6580:                             ;   in Loop: Header=BB6_6254 Depth=2
	v_bfe_u32 v1, v2, 23, 1
; %bb.6581:                             ;   in Loop: Header=BB6_6254 Depth=2
	s_or_b64 exec, exec, s[20:21]
	v_lshrrev_b64 v[2:3], 20, v[2:3]
	v_cmp_gt_i32_e32 vcc, 16, v1
	v_cndmask_b32_e32 v3, 0, v3, vcc
	v_cndmask_b32_e32 v2, 7, v2, vcc
	v_cmp_eq_u32_e32 vcc, 0, v1
	v_min_i32_e32 v1, 15, v1
	v_cmp_eq_u64_e64 s[20:21], 0, v[2:3]
	v_lshlrev_b32_e32 v1, 3, v1
	v_and_or_b32 v1, v2, 7, v1
	s_and_b64 s[20:21], vcc, s[20:21]
	v_cndmask_b32_e64 v1, v1, 0, s[20:21]
	v_or_b32_e32 v0, v1, v0
	buffer_store_dword v0, off, s[0:3], s33 offset:200 ; 4-byte Folded Spill
.LBB6_6582:                             ;   in Loop: Header=BB6_6254 Depth=2
	s_or_b64 exec, exec, s[56:57]
.LBB6_6583:                             ;   in Loop: Header=BB6_6254 Depth=2
	s_or_b64 exec, exec, s[54:55]
                                        ; implicit-def: $vgpr1
.LBB6_6584:                             ;   in Loop: Header=BB6_6254 Depth=2
	s_andn2_saveexec_b64 s[20:21], s[52:53]
	s_cbranch_execz .LBB6_6586
; %bb.6585:                             ;   in Loop: Header=BB6_6254 Depth=2
	v_or_b32_sdwa v0, v1, s68 dst_sel:DWORD dst_unused:UNUSED_PAD src0_sel:BYTE_3 src1_sel:DWORD
	buffer_load_dword v1, off, s[0:3], s33 offset:200 ; 4-byte Folded Reload
	v_cmp_eq_u64_e32 vcc, 0, v[38:39]
	s_waitcnt vmcnt(0)
	v_cndmask_b32_e32 v1, v0, v1, vcc
	buffer_store_dword v1, off, s[0:3], s33 offset:200 ; 4-byte Folded Spill
.LBB6_6586:                             ;   in Loop: Header=BB6_6254 Depth=2
	s_or_b64 exec, exec, s[20:21]
	v_lshrrev_b32_e32 v2, 16, v10
	v_cmp_ne_u16_sdwa vcc, v2, v39 src0_sel:BYTE_0 src1_sel:DWORD
	v_mov_b32_e32 v0, 0
	s_and_saveexec_b64 s[20:21], vcc
	s_cbranch_execz .LBB6_6592
; %bb.6587:                             ;   in Loop: Header=BB6_6254 Depth=2
	v_cmp_ne_u16_sdwa vcc, v2, s69 src0_sel:BYTE_0 src1_sel:DWORD
	v_bfrev_b32_e32 v0, 1
	s_and_saveexec_b64 s[52:53], vcc
	s_cbranch_execz .LBB6_6591
; %bb.6588:                             ;   in Loop: Header=BB6_6254 Depth=2
	v_bfe_u32 v1, v10, 16, 7
	v_cmp_ne_u32_e32 vcc, s68, v1
	v_mov_b32_e32 v0, 0x7f800001
	s_and_saveexec_b64 s[54:55], vcc
	s_cbranch_execz .LBB6_6590
; %bb.6589:                             ;   in Loop: Header=BB6_6254 Depth=2
	v_and_b32_e32 v0, 7, v2
	v_ffbh_u32_e32 v4, v0
	v_min_u32_e32 v6, 32, v4
	v_lshrrev_b32_e32 v3, 3, v1
	v_subrev_u32_e32 v4, 28, v6
	v_lshlrev_b64 v[4:5], v4, v[2:3]
	v_sub_u32_e32 v5, 29, v6
	v_and_b32_e32 v4, 7, v4
	v_cmp_gt_u32_e32 vcc, 8, v1
	v_cndmask_b32_e32 v1, v3, v5, vcc
	v_cndmask_b32_e32 v0, v0, v4, vcc
	v_lshlrev_b32_e32 v2, 24, v2
	v_bfrev_b32_e32 v3, 60
	v_lshlrev_b32_e32 v0, 20, v0
	v_and_b32_e32 v2, 0x80000000, v2
	v_lshl_add_u32 v1, v1, 23, v3
	v_or3_b32 v0, v2, v1, v0
.LBB6_6590:                             ;   in Loop: Header=BB6_6254 Depth=2
	s_or_b64 exec, exec, s[54:55]
.LBB6_6591:                             ;   in Loop: Header=BB6_6254 Depth=2
	s_or_b64 exec, exec, s[52:53]
.LBB6_6592:                             ;   in Loop: Header=BB6_6254 Depth=2
	s_or_b64 exec, exec, s[20:21]
	v_mul_f32_e32 v1, v16, v0
	v_and_b32_sdwa v0, v1, s69 dst_sel:DWORD dst_unused:UNUSED_PAD src0_sel:BYTE_3 src1_sel:DWORD
	v_or_b32_e32 v2, 0x7e, v0
	buffer_store_dword v2, off, s[0:3], s33 offset:204 ; 4-byte Folded Spill
	v_and_b32_e32 v2, 0x7f800000, v1
	v_mov_b32_e32 v3, v39
	v_and_b32_e32 v38, 0x7fffff, v1
	v_cmp_ne_u64_e32 vcc, s[38:39], v[2:3]
	s_and_saveexec_b64 s[20:21], vcc
	s_xor_b64 s[52:53], exec, s[20:21]
	s_cbranch_execz .LBB6_6602
; %bb.6593:                             ;   in Loop: Header=BB6_6254 Depth=2
	v_and_b32_e32 v2, 0x7fffffff, v1
	v_mov_b32_e32 v3, v39
	v_cmp_gt_u64_e32 vcc, s[40:41], v[2:3]
	s_and_saveexec_b64 s[54:55], vcc
	s_cbranch_execz .LBB6_6601
; %bb.6594:                             ;   in Loop: Header=BB6_6254 Depth=2
	v_cmp_ne_u32_e32 vcc, 0, v1
	v_mov_b32_e32 v2, 0
	buffer_store_dword v2, off, s[0:3], s33 offset:204 ; 4-byte Folded Spill
	s_and_saveexec_b64 s[56:57], vcc
	s_cbranch_execz .LBB6_6600
; %bb.6595:                             ;   in Loop: Header=BB6_6254 Depth=2
	v_bfe_u32 v1, v1, 23, 8
	v_sub_u32_e32 v3, 0x79, v1
	v_cmp_gt_u32_e32 vcc, s70, v1
	v_add_u32_e32 v2, 0xffffff81, v1
	v_cndmask_b32_e32 v3, 0, v3, vcc
	v_cmp_eq_u32_e32 vcc, 0, v1
	v_mov_b32_e32 v1, 0xffffff82
	v_cndmask_b32_e32 v1, v2, v1, vcc
	v_mov_b32_e32 v2, 0x78
	v_or_b32_e32 v4, 0x800000, v38
	v_cndmask_b32_e32 v5, v3, v2, vcc
	v_cndmask_b32_e32 v38, v4, v38, vcc
	v_add_u32_e32 v2, 20, v5
	v_lshlrev_b64 v[2:3], v2, -1
	v_add_u32_e32 v4, 19, v5
	v_lshrrev_b64 v[8:9], v5, v[38:39]
	v_not_b32_e32 v3, v3
	v_not_b32_e32 v2, v2
	v_lshlrev_b64 v[6:7], v4, 1
	v_lshrrev_b32_e32 v4, 23, v8
	v_and_b32_e32 v3, 0, v3
	v_and_b32_e32 v2, v38, v2
	v_add3_u32 v5, v5, v1, v4
	v_bfe_u32 v1, v8, 20, 1
	v_add_u32_e32 v1, -1, v1
	v_cmp_eq_u64_e32 vcc, v[2:3], v[6:7]
	v_cndmask_b32_e32 v1, 0, v1, vcc
	v_add_u32_e32 v1, v1, v8
	v_and_b32_e32 v1, 0xfffff, v1
	v_add_co_u32_e32 v2, vcc, v1, v8
	v_add_u32_e32 v4, 6, v5
	v_addc_co_u32_e32 v3, vcc, 0, v9, vcc
	v_cmp_ne_u32_e32 vcc, 0, v4
                                        ; implicit-def: $vgpr1
	s_and_saveexec_b64 s[20:21], vcc
	s_xor_b64 s[20:21], exec, s[20:21]
; %bb.6596:                             ;   in Loop: Header=BB6_6254 Depth=2
	v_add_u32_e32 v1, 7, v5
	v_cmp_lt_u64_e32 vcc, s[44:45], v[2:3]
	v_cndmask_b32_e32 v1, v4, v1, vcc
	v_cndmask_b32_e64 v4, 0, 1, vcc
	v_lshrrev_b64 v[2:3], v4, v[2:3]
; %bb.6597:                             ;   in Loop: Header=BB6_6254 Depth=2
	s_andn2_saveexec_b64 s[20:21], s[20:21]
; %bb.6598:                             ;   in Loop: Header=BB6_6254 Depth=2
	v_bfe_u32 v1, v2, 23, 1
; %bb.6599:                             ;   in Loop: Header=BB6_6254 Depth=2
	s_or_b64 exec, exec, s[20:21]
	v_lshrrev_b64 v[2:3], 20, v[2:3]
	v_cmp_gt_i32_e32 vcc, 16, v1
	v_cndmask_b32_e32 v3, 0, v3, vcc
	v_cndmask_b32_e32 v2, 7, v2, vcc
	v_cmp_eq_u32_e32 vcc, 0, v1
	v_min_i32_e32 v1, 15, v1
	v_cmp_eq_u64_e64 s[20:21], 0, v[2:3]
	v_lshlrev_b32_e32 v1, 3, v1
	v_and_or_b32 v1, v2, 7, v1
	s_and_b64 s[20:21], vcc, s[20:21]
	v_cndmask_b32_e64 v1, v1, 0, s[20:21]
	v_or_b32_e32 v0, v1, v0
	buffer_store_dword v0, off, s[0:3], s33 offset:204 ; 4-byte Folded Spill
.LBB6_6600:                             ;   in Loop: Header=BB6_6254 Depth=2
	s_or_b64 exec, exec, s[56:57]
.LBB6_6601:                             ;   in Loop: Header=BB6_6254 Depth=2
	s_or_b64 exec, exec, s[54:55]
                                        ; implicit-def: $vgpr1
.LBB6_6602:                             ;   in Loop: Header=BB6_6254 Depth=2
	s_andn2_saveexec_b64 s[20:21], s[52:53]
	s_cbranch_execz .LBB6_6604
; %bb.6603:                             ;   in Loop: Header=BB6_6254 Depth=2
	v_or_b32_sdwa v0, v1, s68 dst_sel:DWORD dst_unused:UNUSED_PAD src0_sel:BYTE_3 src1_sel:DWORD
	buffer_load_dword v1, off, s[0:3], s33 offset:204 ; 4-byte Folded Reload
	v_cmp_eq_u64_e32 vcc, 0, v[38:39]
	s_waitcnt vmcnt(0)
	v_cndmask_b32_e32 v1, v0, v1, vcc
	buffer_store_dword v1, off, s[0:3], s33 offset:204 ; 4-byte Folded Spill
.LBB6_6604:                             ;   in Loop: Header=BB6_6254 Depth=2
	s_or_b64 exec, exec, s[20:21]
	v_cmp_lt_u32_e32 vcc, s43, v10
	v_mov_b32_e32 v0, 0
	s_and_saveexec_b64 s[20:21], vcc
	s_cbranch_execz .LBB6_6610
; %bb.6605:                             ;   in Loop: Header=BB6_6254 Depth=2
	v_lshrrev_b32_e32 v2, 24, v10
	v_cmp_ne_u32_e32 vcc, s69, v2
	v_bfrev_b32_e32 v0, 1
	s_and_saveexec_b64 s[52:53], vcc
	s_cbranch_execz .LBB6_6609
; %bb.6606:                             ;   in Loop: Header=BB6_6254 Depth=2
	v_bfe_u32 v1, v10, 24, 7
	v_cmp_ne_u32_e32 vcc, s68, v1
	v_mov_b32_e32 v0, 0x7f800001
	s_and_saveexec_b64 s[54:55], vcc
	s_cbranch_execz .LBB6_6608
; %bb.6607:                             ;   in Loop: Header=BB6_6254 Depth=2
	v_and_b32_e32 v0, 7, v2
	v_ffbh_u32_e32 v4, v0
	v_min_u32_e32 v6, 32, v4
	v_lshrrev_b32_e32 v3, 3, v1
	v_subrev_u32_e32 v4, 28, v6
	v_lshlrev_b64 v[4:5], v4, v[2:3]
	v_sub_u32_e32 v5, 29, v6
	v_and_b32_e32 v4, 7, v4
	v_cmp_gt_u32_e32 vcc, 8, v1
	v_cndmask_b32_e32 v1, v3, v5, vcc
	v_cndmask_b32_e32 v0, v0, v4, vcc
	v_lshlrev_b32_e32 v2, 24, v2
	v_bfrev_b32_e32 v3, 60
	v_lshlrev_b32_e32 v0, 20, v0
	v_and_b32_e32 v2, 0x80000000, v2
	v_lshl_add_u32 v1, v1, 23, v3
	v_or3_b32 v0, v2, v1, v0
.LBB6_6608:                             ;   in Loop: Header=BB6_6254 Depth=2
	s_or_b64 exec, exec, s[54:55]
.LBB6_6609:                             ;   in Loop: Header=BB6_6254 Depth=2
	s_or_b64 exec, exec, s[52:53]
.LBB6_6610:                             ;   in Loop: Header=BB6_6254 Depth=2
	s_or_b64 exec, exec, s[20:21]
	v_mul_f32_e32 v1, v16, v0
	v_and_b32_sdwa v0, v1, s69 dst_sel:DWORD dst_unused:UNUSED_PAD src0_sel:BYTE_3 src1_sel:DWORD
	v_or_b32_e32 v2, 0x7e, v0
	buffer_store_dword v2, off, s[0:3], s33 offset:208 ; 4-byte Folded Spill
	v_and_b32_e32 v2, 0x7f800000, v1
	v_mov_b32_e32 v3, v39
	v_and_b32_e32 v38, 0x7fffff, v1
	v_cmp_ne_u64_e32 vcc, s[38:39], v[2:3]
	s_and_saveexec_b64 s[20:21], vcc
	s_xor_b64 s[52:53], exec, s[20:21]
	s_cbranch_execz .LBB6_6620
; %bb.6611:                             ;   in Loop: Header=BB6_6254 Depth=2
	v_and_b32_e32 v2, 0x7fffffff, v1
	v_mov_b32_e32 v3, v39
	v_cmp_gt_u64_e32 vcc, s[40:41], v[2:3]
	s_and_saveexec_b64 s[54:55], vcc
	s_cbranch_execz .LBB6_6619
; %bb.6612:                             ;   in Loop: Header=BB6_6254 Depth=2
	v_cmp_ne_u32_e32 vcc, 0, v1
	v_mov_b32_e32 v2, 0
	buffer_store_dword v2, off, s[0:3], s33 offset:208 ; 4-byte Folded Spill
	s_and_saveexec_b64 s[56:57], vcc
	s_cbranch_execz .LBB6_6618
; %bb.6613:                             ;   in Loop: Header=BB6_6254 Depth=2
	v_bfe_u32 v1, v1, 23, 8
	v_sub_u32_e32 v3, 0x79, v1
	v_cmp_gt_u32_e32 vcc, s70, v1
	v_add_u32_e32 v2, 0xffffff81, v1
	v_cndmask_b32_e32 v3, 0, v3, vcc
	v_cmp_eq_u32_e32 vcc, 0, v1
	v_mov_b32_e32 v1, 0xffffff82
	v_cndmask_b32_e32 v1, v2, v1, vcc
	v_mov_b32_e32 v2, 0x78
	v_or_b32_e32 v4, 0x800000, v38
	v_cndmask_b32_e32 v5, v3, v2, vcc
	v_cndmask_b32_e32 v38, v4, v38, vcc
	v_add_u32_e32 v2, 20, v5
	v_lshlrev_b64 v[2:3], v2, -1
	v_add_u32_e32 v4, 19, v5
	v_lshrrev_b64 v[8:9], v5, v[38:39]
	v_not_b32_e32 v3, v3
	v_not_b32_e32 v2, v2
	v_lshlrev_b64 v[6:7], v4, 1
	v_lshrrev_b32_e32 v4, 23, v8
	v_and_b32_e32 v3, 0, v3
	v_and_b32_e32 v2, v38, v2
	v_add3_u32 v5, v5, v1, v4
	v_bfe_u32 v1, v8, 20, 1
	v_add_u32_e32 v1, -1, v1
	v_cmp_eq_u64_e32 vcc, v[2:3], v[6:7]
	v_cndmask_b32_e32 v1, 0, v1, vcc
	v_add_u32_e32 v1, v1, v8
	v_and_b32_e32 v1, 0xfffff, v1
	v_add_co_u32_e32 v2, vcc, v1, v8
	v_add_u32_e32 v4, 6, v5
	v_addc_co_u32_e32 v3, vcc, 0, v9, vcc
	v_cmp_ne_u32_e32 vcc, 0, v4
                                        ; implicit-def: $vgpr1
	s_and_saveexec_b64 s[20:21], vcc
	s_xor_b64 s[20:21], exec, s[20:21]
; %bb.6614:                             ;   in Loop: Header=BB6_6254 Depth=2
	v_add_u32_e32 v1, 7, v5
	v_cmp_lt_u64_e32 vcc, s[44:45], v[2:3]
	v_cndmask_b32_e32 v1, v4, v1, vcc
	v_cndmask_b32_e64 v4, 0, 1, vcc
	v_lshrrev_b64 v[2:3], v4, v[2:3]
; %bb.6615:                             ;   in Loop: Header=BB6_6254 Depth=2
	s_andn2_saveexec_b64 s[20:21], s[20:21]
; %bb.6616:                             ;   in Loop: Header=BB6_6254 Depth=2
	v_bfe_u32 v1, v2, 23, 1
; %bb.6617:                             ;   in Loop: Header=BB6_6254 Depth=2
	s_or_b64 exec, exec, s[20:21]
	v_lshrrev_b64 v[2:3], 20, v[2:3]
	v_cmp_gt_i32_e32 vcc, 16, v1
	v_cndmask_b32_e32 v3, 0, v3, vcc
	v_cndmask_b32_e32 v2, 7, v2, vcc
	v_cmp_eq_u32_e32 vcc, 0, v1
	v_min_i32_e32 v1, 15, v1
	v_cmp_eq_u64_e64 s[20:21], 0, v[2:3]
	v_lshlrev_b32_e32 v1, 3, v1
	v_and_or_b32 v1, v2, 7, v1
	s_and_b64 s[20:21], vcc, s[20:21]
	v_cndmask_b32_e64 v1, v1, 0, s[20:21]
	v_or_b32_e32 v0, v1, v0
	buffer_store_dword v0, off, s[0:3], s33 offset:208 ; 4-byte Folded Spill
.LBB6_6618:                             ;   in Loop: Header=BB6_6254 Depth=2
	s_or_b64 exec, exec, s[56:57]
.LBB6_6619:                             ;   in Loop: Header=BB6_6254 Depth=2
	s_or_b64 exec, exec, s[54:55]
                                        ; implicit-def: $vgpr1
.LBB6_6620:                             ;   in Loop: Header=BB6_6254 Depth=2
	s_andn2_saveexec_b64 s[20:21], s[52:53]
	s_cbranch_execz .LBB6_6622
; %bb.6621:                             ;   in Loop: Header=BB6_6254 Depth=2
	v_or_b32_sdwa v0, v1, s68 dst_sel:DWORD dst_unused:UNUSED_PAD src0_sel:BYTE_3 src1_sel:DWORD
	buffer_load_dword v1, off, s[0:3], s33 offset:208 ; 4-byte Folded Reload
	v_cmp_eq_u64_e32 vcc, 0, v[38:39]
	s_waitcnt vmcnt(0)
	v_cndmask_b32_e32 v1, v0, v1, vcc
	buffer_store_dword v1, off, s[0:3], s33 offset:208 ; 4-byte Folded Spill
.LBB6_6622:                             ;   in Loop: Header=BB6_6254 Depth=2
	s_or_b64 exec, exec, s[20:21]
	v_mov_b32_e32 v38, v11
	v_cmp_ne_u16_sdwa vcc, v11, v39 src0_sel:BYTE_0 src1_sel:DWORD
	v_mov_b32_e32 v0, 0
	s_and_saveexec_b64 s[20:21], vcc
	s_cbranch_execz .LBB6_6628
; %bb.6623:                             ;   in Loop: Header=BB6_6254 Depth=2
	v_cmp_ne_u16_sdwa vcc, v11, s69 src0_sel:BYTE_0 src1_sel:DWORD
	v_bfrev_b32_e32 v0, 1
	s_and_saveexec_b64 s[52:53], vcc
	s_cbranch_execz .LBB6_6627
; %bb.6624:                             ;   in Loop: Header=BB6_6254 Depth=2
	v_and_b32_e32 v1, 0x7f, v11
	v_cmp_ne_u32_e32 vcc, s68, v1
	v_mov_b32_e32 v0, 0x7f800001
	s_and_saveexec_b64 s[54:55], vcc
	s_cbranch_execz .LBB6_6626
; %bb.6625:                             ;   in Loop: Header=BB6_6254 Depth=2
	v_and_b32_e32 v0, 7, v11
	v_ffbh_u32_e32 v0, v0
	v_min_u32_e32 v0, 32, v0
	v_lshrrev_b32_e32 v2, 3, v1
	v_subrev_u32_e32 v3, 28, v0
	v_sub_u32_e32 v0, 29, v0
	v_cmp_gt_u32_e32 vcc, 8, v1
	v_cndmask_b32_e32 v2, v2, v0, vcc
	v_cndmask_b32_e32 v0, 0, v3, vcc
	v_lshlrev_b64 v[0:1], v0, v[38:39]
	v_lshlrev_b32_e32 v0, 20, v0
	v_lshlrev_b32_e32 v1, 24, v38
	v_bfrev_b32_e32 v3, 60
	v_and_b32_e32 v0, 0x700000, v0
	v_and_b32_e32 v1, 0x80000000, v1
	v_lshl_add_u32 v2, v2, 23, v3
	v_or3_b32 v0, v1, v2, v0
.LBB6_6626:                             ;   in Loop: Header=BB6_6254 Depth=2
	s_or_b64 exec, exec, s[54:55]
.LBB6_6627:                             ;   in Loop: Header=BB6_6254 Depth=2
	s_or_b64 exec, exec, s[52:53]
.LBB6_6628:                             ;   in Loop: Header=BB6_6254 Depth=2
	s_or_b64 exec, exec, s[20:21]
	v_mul_f32_e32 v1, v16, v0
	v_and_b32_sdwa v0, v1, s69 dst_sel:DWORD dst_unused:UNUSED_PAD src0_sel:BYTE_3 src1_sel:DWORD
	v_and_b32_e32 v4, 0x7f800000, v1
	v_mov_b32_e32 v5, v39
	v_and_b32_e32 v2, 0x7fffff, v1
	v_mov_b32_e32 v3, v39
	v_or_b32_e32 v17, 0x7e, v0
	v_cmp_ne_u64_e32 vcc, s[38:39], v[4:5]
	s_and_saveexec_b64 s[20:21], vcc
	s_xor_b64 s[52:53], exec, s[20:21]
	s_cbranch_execz .LBB6_6638
; %bb.6629:                             ;   in Loop: Header=BB6_6254 Depth=2
	v_and_b32_e32 v4, 0x7fffffff, v1
	v_mov_b32_e32 v5, v39
	v_cmp_gt_u64_e32 vcc, s[40:41], v[4:5]
	s_and_saveexec_b64 s[54:55], vcc
	s_cbranch_execz .LBB6_6637
; %bb.6630:                             ;   in Loop: Header=BB6_6254 Depth=2
	v_cmp_ne_u32_e32 vcc, 0, v1
	v_mov_b32_e32 v17, 0
	s_and_saveexec_b64 s[56:57], vcc
	s_cbranch_execz .LBB6_6636
; %bb.6631:                             ;   in Loop: Header=BB6_6254 Depth=2
	v_bfe_u32 v1, v1, 23, 8
	v_sub_u32_e32 v5, 0x79, v1
	v_cmp_gt_u32_e32 vcc, s70, v1
	v_add_u32_e32 v4, 0xffffff81, v1
	v_cndmask_b32_e32 v5, 0, v5, vcc
	v_cmp_eq_u32_e32 vcc, 0, v1
	v_mov_b32_e32 v1, 0xffffff82
	v_cndmask_b32_e32 v1, v4, v1, vcc
	v_mov_b32_e32 v4, 0x78
	v_cndmask_b32_e32 v18, v5, v4, vcc
	v_add_u32_e32 v4, 20, v18
	v_or_b32_e32 v6, 0x800000, v2
	v_lshlrev_b64 v[4:5], v4, -1
	v_cndmask_b32_e32 v2, v6, v2, vcc
	v_not_b32_e32 v4, v4
	v_and_b32_e32 v6, v2, v4
	v_add_u32_e32 v4, 19, v18
	v_lshrrev_b64 v[2:3], v18, v[2:3]
	v_not_b32_e32 v5, v5
	v_lshlrev_b64 v[8:9], v4, 1
	v_lshrrev_b32_e32 v4, 23, v2
	v_and_b32_e32 v7, 0, v5
	v_add3_u32 v5, v18, v1, v4
	v_bfe_u32 v1, v2, 20, 1
	v_add_u32_e32 v1, -1, v1
	v_cmp_eq_u64_e32 vcc, v[6:7], v[8:9]
	v_cndmask_b32_e32 v1, 0, v1, vcc
	v_add_u32_e32 v1, v1, v2
	v_and_b32_e32 v1, 0xfffff, v1
	v_add_co_u32_e32 v2, vcc, v1, v2
	v_add_u32_e32 v4, 6, v5
	v_addc_co_u32_e32 v3, vcc, 0, v3, vcc
	v_cmp_ne_u32_e32 vcc, 0, v4
                                        ; implicit-def: $vgpr1
	s_and_saveexec_b64 s[20:21], vcc
	s_xor_b64 s[20:21], exec, s[20:21]
; %bb.6632:                             ;   in Loop: Header=BB6_6254 Depth=2
	v_add_u32_e32 v1, 7, v5
	v_cmp_lt_u64_e32 vcc, s[44:45], v[2:3]
	v_cndmask_b32_e32 v1, v4, v1, vcc
	v_cndmask_b32_e64 v4, 0, 1, vcc
	v_lshrrev_b64 v[2:3], v4, v[2:3]
; %bb.6633:                             ;   in Loop: Header=BB6_6254 Depth=2
	s_andn2_saveexec_b64 s[20:21], s[20:21]
; %bb.6634:                             ;   in Loop: Header=BB6_6254 Depth=2
	v_bfe_u32 v1, v2, 23, 1
; %bb.6635:                             ;   in Loop: Header=BB6_6254 Depth=2
	s_or_b64 exec, exec, s[20:21]
	v_lshrrev_b64 v[2:3], 20, v[2:3]
	v_cmp_gt_i32_e32 vcc, 16, v1
	v_cndmask_b32_e32 v3, 0, v3, vcc
	v_cndmask_b32_e32 v2, 7, v2, vcc
	v_cmp_eq_u32_e32 vcc, 0, v1
	v_min_i32_e32 v1, 15, v1
	v_cmp_eq_u64_e64 s[20:21], 0, v[2:3]
	v_lshlrev_b32_e32 v1, 3, v1
	v_and_or_b32 v1, v2, 7, v1
	s_and_b64 s[20:21], vcc, s[20:21]
	v_cndmask_b32_e64 v1, v1, 0, s[20:21]
	v_or_b32_e32 v17, v1, v0
.LBB6_6636:                             ;   in Loop: Header=BB6_6254 Depth=2
	s_or_b64 exec, exec, s[56:57]
.LBB6_6637:                             ;   in Loop: Header=BB6_6254 Depth=2
	s_or_b64 exec, exec, s[54:55]
                                        ; implicit-def: $vgpr1
                                        ; implicit-def: $vgpr2_vgpr3
.LBB6_6638:                             ;   in Loop: Header=BB6_6254 Depth=2
	s_andn2_saveexec_b64 s[20:21], s[52:53]
; %bb.6639:                             ;   in Loop: Header=BB6_6254 Depth=2
	v_or_b32_sdwa v0, v1, s68 dst_sel:DWORD dst_unused:UNUSED_PAD src0_sel:BYTE_3 src1_sel:DWORD
	v_cmp_eq_u64_e32 vcc, 0, v[2:3]
	v_cndmask_b32_e32 v17, v0, v17, vcc
; %bb.6640:                             ;   in Loop: Header=BB6_6254 Depth=2
	s_or_b64 exec, exec, s[20:21]
	v_lshrrev_b16_e32 v2, 8, v38
	v_cmp_ne_u16_e32 vcc, 0, v2
	v_mov_b32_e32 v0, 0
	s_and_saveexec_b64 s[20:21], vcc
	s_cbranch_execz .LBB6_6646
; %bb.6641:                             ;   in Loop: Header=BB6_6254 Depth=2
	v_cmp_ne_u16_e32 vcc, s69, v2
	v_bfrev_b32_e32 v0, 1
	s_and_saveexec_b64 s[52:53], vcc
	s_cbranch_execz .LBB6_6645
; %bb.6642:                             ;   in Loop: Header=BB6_6254 Depth=2
	v_and_b32_e32 v1, 0x7f, v2
	v_cmp_ne_u32_e32 vcc, s68, v1
	v_mov_b32_e32 v0, 0x7f800001
	s_and_saveexec_b64 s[54:55], vcc
	s_cbranch_execz .LBB6_6644
; %bb.6643:                             ;   in Loop: Header=BB6_6254 Depth=2
	v_and_b32_e32 v0, 7, v2
	v_ffbh_u32_e32 v3, v0
	v_min_u32_e32 v5, 32, v3
	v_subrev_u32_e32 v3, 28, v5
	v_lshlrev_b64 v[2:3], v3, v[2:3]
	v_lshrrev_b32_e32 v4, 3, v1
	v_sub_u32_e32 v3, 29, v5
	v_and_b32_e32 v2, 7, v2
	v_cmp_gt_u32_e32 vcc, 8, v1
	v_cndmask_b32_e32 v1, v4, v3, vcc
	v_cndmask_b32_e32 v0, v0, v2, vcc
	v_lshlrev_b32_e32 v2, 16, v38
	v_bfrev_b32_e32 v3, 60
	v_lshlrev_b32_e32 v0, 20, v0
	v_and_b32_e32 v2, 0x80000000, v2
	v_lshl_add_u32 v1, v1, 23, v3
	v_or3_b32 v0, v2, v1, v0
.LBB6_6644:                             ;   in Loop: Header=BB6_6254 Depth=2
	s_or_b64 exec, exec, s[54:55]
.LBB6_6645:                             ;   in Loop: Header=BB6_6254 Depth=2
	s_or_b64 exec, exec, s[52:53]
.LBB6_6646:                             ;   in Loop: Header=BB6_6254 Depth=2
	s_or_b64 exec, exec, s[20:21]
	v_mul_f32_e32 v1, v16, v0
	v_and_b32_sdwa v0, v1, s69 dst_sel:DWORD dst_unused:UNUSED_PAD src0_sel:BYTE_3 src1_sel:DWORD
	v_and_b32_e32 v2, 0x7f800000, v1
	v_mov_b32_e32 v3, v39
	v_and_b32_e32 v38, 0x7fffff, v1
	v_or_b32_e32 v4, 0x7e, v0
	v_cmp_ne_u64_e32 vcc, s[38:39], v[2:3]
	s_and_saveexec_b64 s[20:21], vcc
	s_xor_b64 s[52:53], exec, s[20:21]
	s_cbranch_execz .LBB6_6656
; %bb.6647:                             ;   in Loop: Header=BB6_6254 Depth=2
	v_and_b32_e32 v2, 0x7fffffff, v1
	v_mov_b32_e32 v3, v39
	v_cmp_gt_u64_e32 vcc, s[40:41], v[2:3]
	s_and_saveexec_b64 s[54:55], vcc
	s_cbranch_execz .LBB6_6655
; %bb.6648:                             ;   in Loop: Header=BB6_6254 Depth=2
	v_cmp_ne_u32_e32 vcc, 0, v1
	v_mov_b32_e32 v4, 0
	s_and_saveexec_b64 s[56:57], vcc
	s_cbranch_execz .LBB6_6654
; %bb.6649:                             ;   in Loop: Header=BB6_6254 Depth=2
	v_bfe_u32 v1, v1, 23, 8
	v_sub_u32_e32 v3, 0x79, v1
	v_cmp_gt_u32_e32 vcc, s70, v1
	v_add_u32_e32 v2, 0xffffff81, v1
	v_cndmask_b32_e32 v3, 0, v3, vcc
	v_cmp_eq_u32_e32 vcc, 0, v1
	v_mov_b32_e32 v1, 0xffffff82
	v_cndmask_b32_e32 v1, v2, v1, vcc
	v_mov_b32_e32 v2, 0x78
	v_or_b32_e32 v4, 0x800000, v38
	v_cndmask_b32_e32 v5, v3, v2, vcc
	v_cndmask_b32_e32 v38, v4, v38, vcc
	v_add_u32_e32 v2, 20, v5
	v_lshlrev_b64 v[2:3], v2, -1
	v_add_u32_e32 v4, 19, v5
	v_lshrrev_b64 v[8:9], v5, v[38:39]
	v_not_b32_e32 v3, v3
	v_not_b32_e32 v2, v2
	v_lshlrev_b64 v[6:7], v4, 1
	v_lshrrev_b32_e32 v4, 23, v8
	v_and_b32_e32 v3, 0, v3
	v_and_b32_e32 v2, v38, v2
	v_add3_u32 v5, v5, v1, v4
	v_bfe_u32 v1, v8, 20, 1
	v_add_u32_e32 v1, -1, v1
	v_cmp_eq_u64_e32 vcc, v[2:3], v[6:7]
	v_cndmask_b32_e32 v1, 0, v1, vcc
	v_add_u32_e32 v1, v1, v8
	v_and_b32_e32 v1, 0xfffff, v1
	v_add_co_u32_e32 v2, vcc, v1, v8
	v_add_u32_e32 v4, 6, v5
	v_addc_co_u32_e32 v3, vcc, 0, v9, vcc
	v_cmp_ne_u32_e32 vcc, 0, v4
                                        ; implicit-def: $vgpr1
	s_and_saveexec_b64 s[20:21], vcc
	s_xor_b64 s[20:21], exec, s[20:21]
; %bb.6650:                             ;   in Loop: Header=BB6_6254 Depth=2
	v_add_u32_e32 v1, 7, v5
	v_cmp_lt_u64_e32 vcc, s[44:45], v[2:3]
	v_cndmask_b32_e32 v1, v4, v1, vcc
	v_cndmask_b32_e64 v4, 0, 1, vcc
	v_lshrrev_b64 v[2:3], v4, v[2:3]
; %bb.6651:                             ;   in Loop: Header=BB6_6254 Depth=2
	s_andn2_saveexec_b64 s[20:21], s[20:21]
; %bb.6652:                             ;   in Loop: Header=BB6_6254 Depth=2
	v_bfe_u32 v1, v2, 23, 1
; %bb.6653:                             ;   in Loop: Header=BB6_6254 Depth=2
	s_or_b64 exec, exec, s[20:21]
	v_lshrrev_b64 v[2:3], 20, v[2:3]
	v_cmp_gt_i32_e32 vcc, 16, v1
	v_cndmask_b32_e32 v3, 0, v3, vcc
	v_cndmask_b32_e32 v2, 7, v2, vcc
	v_cmp_eq_u32_e32 vcc, 0, v1
	v_min_i32_e32 v1, 15, v1
	v_lshlrev_b32_e32 v1, 3, v1
	v_cmp_eq_u64_e64 s[20:21], 0, v[2:3]
	v_and_b32_e32 v1, 0xf8, v1
	v_and_or_b32 v1, v2, 7, v1
	s_and_b64 s[20:21], vcc, s[20:21]
	v_cndmask_b32_e64 v1, v1, 0, s[20:21]
	v_or_b32_e32 v4, v1, v0
.LBB6_6654:                             ;   in Loop: Header=BB6_6254 Depth=2
	s_or_b64 exec, exec, s[56:57]
.LBB6_6655:                             ;   in Loop: Header=BB6_6254 Depth=2
	s_or_b64 exec, exec, s[54:55]
                                        ; implicit-def: $vgpr1
.LBB6_6656:                             ;   in Loop: Header=BB6_6254 Depth=2
	s_andn2_saveexec_b64 s[20:21], s[52:53]
; %bb.6657:                             ;   in Loop: Header=BB6_6254 Depth=2
	v_or_b32_sdwa v0, v1, s68 dst_sel:DWORD dst_unused:UNUSED_PAD src0_sel:BYTE_3 src1_sel:DWORD
	v_cmp_eq_u64_e32 vcc, 0, v[38:39]
	v_cndmask_b32_e32 v4, v0, v4, vcc
; %bb.6658:                             ;   in Loop: Header=BB6_6254 Depth=2
	s_or_b64 exec, exec, s[20:21]
	v_lshrrev_b32_e32 v2, 16, v11
	v_cmp_ne_u16_sdwa vcc, v2, v39 src0_sel:BYTE_0 src1_sel:DWORD
	v_mov_b32_e32 v0, 0
	s_and_saveexec_b64 s[20:21], vcc
	s_cbranch_execz .LBB6_6664
; %bb.6659:                             ;   in Loop: Header=BB6_6254 Depth=2
	v_cmp_ne_u16_sdwa vcc, v2, s69 src0_sel:BYTE_0 src1_sel:DWORD
	v_bfrev_b32_e32 v0, 1
	s_and_saveexec_b64 s[52:53], vcc
	s_cbranch_execz .LBB6_6663
; %bb.6660:                             ;   in Loop: Header=BB6_6254 Depth=2
	v_bfe_u32 v1, v11, 16, 7
	v_cmp_ne_u32_e32 vcc, s68, v1
	v_mov_b32_e32 v0, 0x7f800001
	s_and_saveexec_b64 s[54:55], vcc
	s_cbranch_execz .LBB6_6662
; %bb.6661:                             ;   in Loop: Header=BB6_6254 Depth=2
	v_and_b32_e32 v0, 7, v2
	v_ffbh_u32_e32 v5, v0
	v_min_u32_e32 v5, 32, v5
	v_lshrrev_b32_e32 v3, 3, v1
	v_subrev_u32_e32 v6, 28, v5
	v_lshlrev_b64 v[6:7], v6, v[2:3]
	v_sub_u32_e32 v5, 29, v5
	v_and_b32_e32 v6, 7, v6
	v_cmp_gt_u32_e32 vcc, 8, v1
	v_cndmask_b32_e32 v1, v3, v5, vcc
	v_cndmask_b32_e32 v0, v0, v6, vcc
	v_lshlrev_b32_e32 v2, 24, v2
	v_bfrev_b32_e32 v3, 60
	v_lshlrev_b32_e32 v0, 20, v0
	v_and_b32_e32 v2, 0x80000000, v2
	v_lshl_add_u32 v1, v1, 23, v3
	v_or3_b32 v0, v2, v1, v0
.LBB6_6662:                             ;   in Loop: Header=BB6_6254 Depth=2
	s_or_b64 exec, exec, s[54:55]
.LBB6_6663:                             ;   in Loop: Header=BB6_6254 Depth=2
	s_or_b64 exec, exec, s[52:53]
.LBB6_6664:                             ;   in Loop: Header=BB6_6254 Depth=2
	s_or_b64 exec, exec, s[20:21]
	v_mul_f32_e32 v1, v16, v0
	v_and_b32_sdwa v0, v1, s69 dst_sel:DWORD dst_unused:UNUSED_PAD src0_sel:BYTE_3 src1_sel:DWORD
	v_and_b32_e32 v2, 0x7f800000, v1
	v_mov_b32_e32 v3, v39
	v_and_b32_e32 v38, 0x7fffff, v1
	v_or_b32_e32 v5, 0x7e, v0
	v_cmp_ne_u64_e32 vcc, s[38:39], v[2:3]
	s_and_saveexec_b64 s[20:21], vcc
	s_xor_b64 s[52:53], exec, s[20:21]
	s_cbranch_execz .LBB6_6674
; %bb.6665:                             ;   in Loop: Header=BB6_6254 Depth=2
	v_and_b32_e32 v2, 0x7fffffff, v1
	v_mov_b32_e32 v3, v39
	v_cmp_gt_u64_e32 vcc, s[40:41], v[2:3]
	s_and_saveexec_b64 s[54:55], vcc
	s_cbranch_execz .LBB6_6673
; %bb.6666:                             ;   in Loop: Header=BB6_6254 Depth=2
	v_cmp_ne_u32_e32 vcc, 0, v1
	v_mov_b32_e32 v5, 0
	s_and_saveexec_b64 s[56:57], vcc
	s_cbranch_execz .LBB6_6672
; %bb.6667:                             ;   in Loop: Header=BB6_6254 Depth=2
	v_bfe_u32 v1, v1, 23, 8
	v_sub_u32_e32 v3, 0x79, v1
	v_cmp_gt_u32_e32 vcc, s70, v1
	v_add_u32_e32 v2, 0xffffff81, v1
	v_cndmask_b32_e32 v3, 0, v3, vcc
	v_cmp_eq_u32_e32 vcc, 0, v1
	v_mov_b32_e32 v1, 0xffffff82
	v_cndmask_b32_e32 v1, v2, v1, vcc
	v_mov_b32_e32 v2, 0x78
	v_or_b32_e32 v5, 0x800000, v38
	v_cndmask_b32_e32 v6, v3, v2, vcc
	v_cndmask_b32_e32 v38, v5, v38, vcc
	v_add_u32_e32 v2, 20, v6
	v_lshlrev_b64 v[2:3], v2, -1
	v_add_u32_e32 v5, 19, v6
	v_lshrrev_b64 v[18:19], v6, v[38:39]
	v_not_b32_e32 v3, v3
	v_not_b32_e32 v2, v2
	v_lshlrev_b64 v[8:9], v5, 1
	v_lshrrev_b32_e32 v5, 23, v18
	v_and_b32_e32 v3, 0, v3
	v_and_b32_e32 v2, v38, v2
	v_add3_u32 v6, v6, v1, v5
	v_bfe_u32 v1, v18, 20, 1
	v_add_u32_e32 v1, -1, v1
	v_cmp_eq_u64_e32 vcc, v[2:3], v[8:9]
	v_cndmask_b32_e32 v1, 0, v1, vcc
	v_add_u32_e32 v1, v1, v18
	v_and_b32_e32 v1, 0xfffff, v1
	v_add_co_u32_e32 v2, vcc, v1, v18
	v_add_u32_e32 v5, 6, v6
	v_addc_co_u32_e32 v3, vcc, 0, v19, vcc
	v_cmp_ne_u32_e32 vcc, 0, v5
                                        ; implicit-def: $vgpr1
	s_and_saveexec_b64 s[20:21], vcc
	s_xor_b64 s[20:21], exec, s[20:21]
; %bb.6668:                             ;   in Loop: Header=BB6_6254 Depth=2
	v_add_u32_e32 v1, 7, v6
	v_cmp_lt_u64_e32 vcc, s[44:45], v[2:3]
	v_cndmask_b32_e32 v1, v5, v1, vcc
	v_cndmask_b32_e64 v5, 0, 1, vcc
	v_lshrrev_b64 v[2:3], v5, v[2:3]
; %bb.6669:                             ;   in Loop: Header=BB6_6254 Depth=2
	s_andn2_saveexec_b64 s[20:21], s[20:21]
; %bb.6670:                             ;   in Loop: Header=BB6_6254 Depth=2
	v_bfe_u32 v1, v2, 23, 1
; %bb.6671:                             ;   in Loop: Header=BB6_6254 Depth=2
	s_or_b64 exec, exec, s[20:21]
	v_lshrrev_b64 v[2:3], 20, v[2:3]
	v_cmp_gt_i32_e32 vcc, 16, v1
	v_cndmask_b32_e32 v3, 0, v3, vcc
	v_cndmask_b32_e32 v2, 7, v2, vcc
	v_cmp_eq_u32_e32 vcc, 0, v1
	v_min_i32_e32 v1, 15, v1
	v_lshlrev_b32_e32 v1, 3, v1
	v_cmp_eq_u64_e64 s[20:21], 0, v[2:3]
	v_and_b32_e32 v1, 0xf8, v1
	v_and_or_b32 v1, v2, 7, v1
	s_and_b64 s[20:21], vcc, s[20:21]
	v_cndmask_b32_e64 v1, v1, 0, s[20:21]
	v_or_b32_e32 v5, v1, v0
.LBB6_6672:                             ;   in Loop: Header=BB6_6254 Depth=2
	s_or_b64 exec, exec, s[56:57]
.LBB6_6673:                             ;   in Loop: Header=BB6_6254 Depth=2
	s_or_b64 exec, exec, s[54:55]
                                        ; implicit-def: $vgpr1
.LBB6_6674:                             ;   in Loop: Header=BB6_6254 Depth=2
	s_andn2_saveexec_b64 s[20:21], s[52:53]
; %bb.6675:                             ;   in Loop: Header=BB6_6254 Depth=2
	v_or_b32_sdwa v0, v1, s68 dst_sel:DWORD dst_unused:UNUSED_PAD src0_sel:BYTE_3 src1_sel:DWORD
	v_cmp_eq_u64_e32 vcc, 0, v[38:39]
	v_cndmask_b32_e32 v5, v0, v5, vcc
; %bb.6676:                             ;   in Loop: Header=BB6_6254 Depth=2
	s_or_b64 exec, exec, s[20:21]
	v_cmp_lt_u64_e32 vcc, s[42:43], v[10:11]
	v_mov_b32_e32 v0, 0
	s_and_saveexec_b64 s[20:21], vcc
	s_cbranch_execz .LBB6_6682
; %bb.6677:                             ;   in Loop: Header=BB6_6254 Depth=2
	v_lshrrev_b32_e32 v2, 24, v11
	v_cmp_ne_u32_e32 vcc, s69, v2
	v_bfrev_b32_e32 v0, 1
	s_and_saveexec_b64 s[52:53], vcc
	s_cbranch_execz .LBB6_6681
; %bb.6678:                             ;   in Loop: Header=BB6_6254 Depth=2
	v_bfe_u32 v1, v11, 24, 7
	v_cmp_ne_u32_e32 vcc, s68, v1
	v_mov_b32_e32 v0, 0x7f800001
	s_and_saveexec_b64 s[54:55], vcc
	s_cbranch_execz .LBB6_6680
; %bb.6679:                             ;   in Loop: Header=BB6_6254 Depth=2
	v_and_b32_e32 v0, 7, v2
	v_ffbh_u32_e32 v6, v0
	v_min_u32_e32 v8, 32, v6
	v_lshrrev_b32_e32 v3, 3, v1
	v_subrev_u32_e32 v6, 28, v8
	v_lshlrev_b64 v[6:7], v6, v[2:3]
	v_sub_u32_e32 v7, 29, v8
	v_and_b32_e32 v6, 7, v6
	v_cmp_gt_u32_e32 vcc, 8, v1
	v_cndmask_b32_e32 v1, v3, v7, vcc
	v_cndmask_b32_e32 v0, v0, v6, vcc
	v_lshlrev_b32_e32 v2, 24, v2
	v_bfrev_b32_e32 v3, 60
	v_lshlrev_b32_e32 v0, 20, v0
	v_and_b32_e32 v2, 0x80000000, v2
	v_lshl_add_u32 v1, v1, 23, v3
	v_or3_b32 v0, v2, v1, v0
.LBB6_6680:                             ;   in Loop: Header=BB6_6254 Depth=2
	s_or_b64 exec, exec, s[54:55]
.LBB6_6681:                             ;   in Loop: Header=BB6_6254 Depth=2
	s_or_b64 exec, exec, s[52:53]
.LBB6_6682:                             ;   in Loop: Header=BB6_6254 Depth=2
	s_or_b64 exec, exec, s[20:21]
	v_mul_f32_e32 v1, v16, v0
	v_and_b32_sdwa v0, v1, s69 dst_sel:DWORD dst_unused:UNUSED_PAD src0_sel:BYTE_3 src1_sel:DWORD
	v_and_b32_e32 v2, 0x7f800000, v1
	v_mov_b32_e32 v3, v39
	v_and_b32_e32 v38, 0x7fffff, v1
	v_or_b32_e32 v32, 0x7e, v0
	v_cmp_ne_u64_e32 vcc, s[38:39], v[2:3]
	s_and_saveexec_b64 s[20:21], vcc
	s_xor_b64 s[52:53], exec, s[20:21]
	s_cbranch_execz .LBB6_6692
; %bb.6683:                             ;   in Loop: Header=BB6_6254 Depth=2
	v_and_b32_e32 v2, 0x7fffffff, v1
	v_mov_b32_e32 v3, v39
	v_cmp_gt_u64_e32 vcc, s[40:41], v[2:3]
	s_and_saveexec_b64 s[54:55], vcc
	s_cbranch_execz .LBB6_6691
; %bb.6684:                             ;   in Loop: Header=BB6_6254 Depth=2
	v_cmp_ne_u32_e32 vcc, 0, v1
	v_mov_b32_e32 v32, 0
	s_and_saveexec_b64 s[56:57], vcc
	s_cbranch_execz .LBB6_6690
; %bb.6685:                             ;   in Loop: Header=BB6_6254 Depth=2
	v_bfe_u32 v1, v1, 23, 8
	v_sub_u32_e32 v3, 0x79, v1
	v_cmp_gt_u32_e32 vcc, s70, v1
	v_add_u32_e32 v2, 0xffffff81, v1
	v_cndmask_b32_e32 v3, 0, v3, vcc
	v_cmp_eq_u32_e32 vcc, 0, v1
	v_mov_b32_e32 v1, 0xffffff82
	v_cndmask_b32_e32 v1, v2, v1, vcc
	v_mov_b32_e32 v2, 0x78
	v_or_b32_e32 v6, 0x800000, v38
	v_cndmask_b32_e32 v7, v3, v2, vcc
	v_cndmask_b32_e32 v38, v6, v38, vcc
	v_add_u32_e32 v2, 20, v7
	v_lshlrev_b64 v[2:3], v2, -1
	v_add_u32_e32 v6, 19, v7
	v_lshrrev_b64 v[10:11], v7, v[38:39]
	v_not_b32_e32 v3, v3
	v_not_b32_e32 v2, v2
	v_lshlrev_b64 v[8:9], v6, 1
	v_lshrrev_b32_e32 v6, 23, v10
	v_and_b32_e32 v3, 0, v3
	v_and_b32_e32 v2, v38, v2
	v_add3_u32 v7, v7, v1, v6
	v_bfe_u32 v1, v10, 20, 1
	v_add_u32_e32 v1, -1, v1
	v_cmp_eq_u64_e32 vcc, v[2:3], v[8:9]
	v_cndmask_b32_e32 v1, 0, v1, vcc
	v_add_u32_e32 v1, v1, v10
	v_and_b32_e32 v1, 0xfffff, v1
	v_add_co_u32_e32 v2, vcc, v1, v10
	v_add_u32_e32 v6, 6, v7
	v_addc_co_u32_e32 v3, vcc, 0, v11, vcc
	v_cmp_ne_u32_e32 vcc, 0, v6
                                        ; implicit-def: $vgpr1
	s_and_saveexec_b64 s[20:21], vcc
	s_xor_b64 s[20:21], exec, s[20:21]
; %bb.6686:                             ;   in Loop: Header=BB6_6254 Depth=2
	v_add_u32_e32 v1, 7, v7
	v_cmp_lt_u64_e32 vcc, s[44:45], v[2:3]
	v_cndmask_b32_e32 v1, v6, v1, vcc
	v_cndmask_b32_e64 v6, 0, 1, vcc
	v_lshrrev_b64 v[2:3], v6, v[2:3]
; %bb.6687:                             ;   in Loop: Header=BB6_6254 Depth=2
	s_andn2_saveexec_b64 s[20:21], s[20:21]
; %bb.6688:                             ;   in Loop: Header=BB6_6254 Depth=2
	v_bfe_u32 v1, v2, 23, 1
; %bb.6689:                             ;   in Loop: Header=BB6_6254 Depth=2
	s_or_b64 exec, exec, s[20:21]
	v_lshrrev_b64 v[2:3], 20, v[2:3]
	v_cmp_gt_i32_e32 vcc, 16, v1
	v_cndmask_b32_e32 v3, 0, v3, vcc
	v_cndmask_b32_e32 v2, 7, v2, vcc
	v_cmp_eq_u32_e32 vcc, 0, v1
	v_min_i32_e32 v1, 15, v1
	v_lshlrev_b32_e32 v1, 3, v1
	v_cmp_eq_u64_e64 s[20:21], 0, v[2:3]
	v_and_b32_e32 v1, 0xf8, v1
	v_and_or_b32 v1, v2, 7, v1
	s_and_b64 s[20:21], vcc, s[20:21]
	v_cndmask_b32_e64 v1, v1, 0, s[20:21]
	v_or_b32_e32 v32, v1, v0
.LBB6_6690:                             ;   in Loop: Header=BB6_6254 Depth=2
	s_or_b64 exec, exec, s[56:57]
.LBB6_6691:                             ;   in Loop: Header=BB6_6254 Depth=2
	s_or_b64 exec, exec, s[54:55]
                                        ; implicit-def: $vgpr1
.LBB6_6692:                             ;   in Loop: Header=BB6_6254 Depth=2
	s_andn2_saveexec_b64 s[20:21], s[52:53]
; %bb.6693:                             ;   in Loop: Header=BB6_6254 Depth=2
	v_or_b32_sdwa v0, v1, s68 dst_sel:DWORD dst_unused:UNUSED_PAD src0_sel:BYTE_3 src1_sel:DWORD
	v_cmp_eq_u64_e32 vcc, 0, v[38:39]
	v_cndmask_b32_e32 v32, v0, v32, vcc
; %bb.6694:                             ;   in Loop: Header=BB6_6254 Depth=2
	s_or_b64 exec, exec, s[20:21]
	v_cmp_ne_u16_sdwa vcc, v12, v39 src0_sel:BYTE_0 src1_sel:DWORD
	v_mov_b32_e32 v0, 0
	s_and_saveexec_b64 s[20:21], vcc
	s_cbranch_execz .LBB6_6700
; %bb.6695:                             ;   in Loop: Header=BB6_6254 Depth=2
	v_cmp_ne_u16_sdwa vcc, v12, s69 src0_sel:BYTE_0 src1_sel:DWORD
	v_bfrev_b32_e32 v0, 1
	s_and_saveexec_b64 s[52:53], vcc
	s_cbranch_execz .LBB6_6699
; %bb.6696:                             ;   in Loop: Header=BB6_6254 Depth=2
	v_and_b32_e32 v1, 0x7f, v12
	v_cmp_ne_u32_e32 vcc, s68, v1
	v_mov_b32_e32 v0, 0x7f800001
	s_and_saveexec_b64 s[54:55], vcc
	s_cbranch_execz .LBB6_6698
; %bb.6697:                             ;   in Loop: Header=BB6_6254 Depth=2
	v_and_b32_e32 v0, 7, v12
	v_ffbh_u32_e32 v0, v0
	v_min_u32_e32 v0, 32, v0
	v_lshrrev_b32_e32 v2, 3, v1
	v_subrev_u32_e32 v3, 28, v0
	v_sub_u32_e32 v0, 29, v0
	v_cmp_gt_u32_e32 vcc, 8, v1
	v_cndmask_b32_e32 v2, v2, v0, vcc
	v_cndmask_b32_e32 v0, 0, v3, vcc
	v_lshlrev_b64 v[0:1], v0, v[12:13]
	v_lshlrev_b32_e32 v0, 20, v0
	v_lshlrev_b32_e32 v1, 24, v12
	v_bfrev_b32_e32 v3, 60
	v_and_b32_e32 v0, 0x700000, v0
	v_and_b32_e32 v1, 0x80000000, v1
	v_lshl_add_u32 v2, v2, 23, v3
	v_or3_b32 v0, v1, v2, v0
.LBB6_6698:                             ;   in Loop: Header=BB6_6254 Depth=2
	s_or_b64 exec, exec, s[54:55]
.LBB6_6699:                             ;   in Loop: Header=BB6_6254 Depth=2
	s_or_b64 exec, exec, s[52:53]
.LBB6_6700:                             ;   in Loop: Header=BB6_6254 Depth=2
	s_or_b64 exec, exec, s[20:21]
	v_mul_f32_e32 v1, v16, v0
	v_and_b32_sdwa v0, v1, s69 dst_sel:DWORD dst_unused:UNUSED_PAD src0_sel:BYTE_3 src1_sel:DWORD
	v_and_b32_e32 v2, 0x7f800000, v1
	v_mov_b32_e32 v3, v39
	v_and_b32_e32 v38, 0x7fffff, v1
	v_or_b32_e32 v33, 0x7e, v0
	v_cmp_ne_u64_e32 vcc, s[38:39], v[2:3]
	s_and_saveexec_b64 s[20:21], vcc
	s_xor_b64 s[52:53], exec, s[20:21]
	s_cbranch_execz .LBB6_6710
; %bb.6701:                             ;   in Loop: Header=BB6_6254 Depth=2
	v_and_b32_e32 v2, 0x7fffffff, v1
	v_mov_b32_e32 v3, v39
	v_cmp_gt_u64_e32 vcc, s[40:41], v[2:3]
	s_and_saveexec_b64 s[54:55], vcc
	s_cbranch_execz .LBB6_6709
; %bb.6702:                             ;   in Loop: Header=BB6_6254 Depth=2
	v_cmp_ne_u32_e32 vcc, 0, v1
	v_mov_b32_e32 v33, 0
	s_and_saveexec_b64 s[56:57], vcc
	s_cbranch_execz .LBB6_6708
; %bb.6703:                             ;   in Loop: Header=BB6_6254 Depth=2
	v_bfe_u32 v1, v1, 23, 8
	v_sub_u32_e32 v3, 0x79, v1
	v_cmp_gt_u32_e32 vcc, s70, v1
	v_add_u32_e32 v2, 0xffffff81, v1
	v_cndmask_b32_e32 v3, 0, v3, vcc
	v_cmp_eq_u32_e32 vcc, 0, v1
	v_mov_b32_e32 v1, 0xffffff82
	v_cndmask_b32_e32 v1, v2, v1, vcc
	v_mov_b32_e32 v2, 0x78
	v_or_b32_e32 v6, 0x800000, v38
	v_cndmask_b32_e32 v7, v3, v2, vcc
	v_cndmask_b32_e32 v38, v6, v38, vcc
	v_add_u32_e32 v2, 20, v7
	v_lshlrev_b64 v[2:3], v2, -1
	v_add_u32_e32 v6, 19, v7
	v_lshrrev_b64 v[10:11], v7, v[38:39]
	v_not_b32_e32 v3, v3
	v_not_b32_e32 v2, v2
	v_lshlrev_b64 v[8:9], v6, 1
	v_lshrrev_b32_e32 v6, 23, v10
	v_and_b32_e32 v3, 0, v3
	v_and_b32_e32 v2, v38, v2
	v_add3_u32 v7, v7, v1, v6
	v_bfe_u32 v1, v10, 20, 1
	v_add_u32_e32 v1, -1, v1
	v_cmp_eq_u64_e32 vcc, v[2:3], v[8:9]
	v_cndmask_b32_e32 v1, 0, v1, vcc
	v_add_u32_e32 v1, v1, v10
	v_and_b32_e32 v1, 0xfffff, v1
	v_add_co_u32_e32 v2, vcc, v1, v10
	v_add_u32_e32 v6, 6, v7
	v_addc_co_u32_e32 v3, vcc, 0, v11, vcc
	v_cmp_ne_u32_e32 vcc, 0, v6
                                        ; implicit-def: $vgpr1
	s_and_saveexec_b64 s[20:21], vcc
	s_xor_b64 s[20:21], exec, s[20:21]
; %bb.6704:                             ;   in Loop: Header=BB6_6254 Depth=2
	v_add_u32_e32 v1, 7, v7
	v_cmp_lt_u64_e32 vcc, s[44:45], v[2:3]
	v_cndmask_b32_e32 v1, v6, v1, vcc
	v_cndmask_b32_e64 v6, 0, 1, vcc
	v_lshrrev_b64 v[2:3], v6, v[2:3]
; %bb.6705:                             ;   in Loop: Header=BB6_6254 Depth=2
	s_andn2_saveexec_b64 s[20:21], s[20:21]
; %bb.6706:                             ;   in Loop: Header=BB6_6254 Depth=2
	v_bfe_u32 v1, v2, 23, 1
; %bb.6707:                             ;   in Loop: Header=BB6_6254 Depth=2
	s_or_b64 exec, exec, s[20:21]
	v_lshrrev_b64 v[2:3], 20, v[2:3]
	v_cmp_gt_i32_e32 vcc, 16, v1
	v_cndmask_b32_e32 v3, 0, v3, vcc
	v_cndmask_b32_e32 v2, 7, v2, vcc
	v_cmp_eq_u32_e32 vcc, 0, v1
	v_min_i32_e32 v1, 15, v1
	v_cmp_eq_u64_e64 s[20:21], 0, v[2:3]
	v_lshlrev_b32_e32 v1, 3, v1
	v_and_or_b32 v1, v2, 7, v1
	s_and_b64 s[20:21], vcc, s[20:21]
	v_cndmask_b32_e64 v1, v1, 0, s[20:21]
	v_or_b32_e32 v33, v1, v0
.LBB6_6708:                             ;   in Loop: Header=BB6_6254 Depth=2
	s_or_b64 exec, exec, s[56:57]
.LBB6_6709:                             ;   in Loop: Header=BB6_6254 Depth=2
	s_or_b64 exec, exec, s[54:55]
                                        ; implicit-def: $vgpr1
.LBB6_6710:                             ;   in Loop: Header=BB6_6254 Depth=2
	s_andn2_saveexec_b64 s[20:21], s[52:53]
; %bb.6711:                             ;   in Loop: Header=BB6_6254 Depth=2
	v_or_b32_sdwa v0, v1, s68 dst_sel:DWORD dst_unused:UNUSED_PAD src0_sel:BYTE_3 src1_sel:DWORD
	v_cmp_eq_u64_e32 vcc, 0, v[38:39]
	v_cndmask_b32_e32 v33, v0, v33, vcc
; %bb.6712:                             ;   in Loop: Header=BB6_6254 Depth=2
	s_or_b64 exec, exec, s[20:21]
	v_lshrrev_b16_e32 v2, 8, v12
	v_cmp_ne_u16_e32 vcc, 0, v2
	v_mov_b32_e32 v0, 0
	s_and_saveexec_b64 s[20:21], vcc
	s_cbranch_execz .LBB6_6718
; %bb.6713:                             ;   in Loop: Header=BB6_6254 Depth=2
	v_cmp_ne_u16_e32 vcc, s69, v2
	v_bfrev_b32_e32 v0, 1
	s_and_saveexec_b64 s[52:53], vcc
	s_cbranch_execz .LBB6_6717
; %bb.6714:                             ;   in Loop: Header=BB6_6254 Depth=2
	v_and_b32_e32 v1, 0x7f, v2
	v_cmp_ne_u32_e32 vcc, s68, v1
	v_mov_b32_e32 v0, 0x7f800001
	s_and_saveexec_b64 s[54:55], vcc
	s_cbranch_execz .LBB6_6716
; %bb.6715:                             ;   in Loop: Header=BB6_6254 Depth=2
	v_and_b32_e32 v0, 7, v2
	v_ffbh_u32_e32 v3, v0
	v_min_u32_e32 v7, 32, v3
	v_subrev_u32_e32 v3, 28, v7
	v_lshlrev_b64 v[2:3], v3, v[2:3]
	v_lshrrev_b32_e32 v6, 3, v1
	v_sub_u32_e32 v3, 29, v7
	v_and_b32_e32 v2, 7, v2
	v_cmp_gt_u32_e32 vcc, 8, v1
	v_cndmask_b32_e32 v1, v6, v3, vcc
	v_cndmask_b32_e32 v0, v0, v2, vcc
	v_lshlrev_b32_e32 v2, 16, v12
	v_bfrev_b32_e32 v3, 60
	v_lshlrev_b32_e32 v0, 20, v0
	v_and_b32_e32 v2, 0x80000000, v2
	v_lshl_add_u32 v1, v1, 23, v3
	v_or3_b32 v0, v2, v1, v0
.LBB6_6716:                             ;   in Loop: Header=BB6_6254 Depth=2
	s_or_b64 exec, exec, s[54:55]
.LBB6_6717:                             ;   in Loop: Header=BB6_6254 Depth=2
	s_or_b64 exec, exec, s[52:53]
.LBB6_6718:                             ;   in Loop: Header=BB6_6254 Depth=2
	s_or_b64 exec, exec, s[20:21]
	v_mul_f32_e32 v1, v16, v0
	v_and_b32_sdwa v0, v1, s69 dst_sel:DWORD dst_unused:UNUSED_PAD src0_sel:BYTE_3 src1_sel:DWORD
	v_and_b32_e32 v2, 0x7f800000, v1
	v_mov_b32_e32 v3, v39
	v_and_b32_e32 v38, 0x7fffff, v1
	v_or_b32_e32 v30, 0x7e, v0
	v_cmp_ne_u64_e32 vcc, s[38:39], v[2:3]
	s_and_saveexec_b64 s[20:21], vcc
	s_xor_b64 s[52:53], exec, s[20:21]
	s_cbranch_execz .LBB6_6728
; %bb.6719:                             ;   in Loop: Header=BB6_6254 Depth=2
	v_and_b32_e32 v2, 0x7fffffff, v1
	v_mov_b32_e32 v3, v39
	v_cmp_gt_u64_e32 vcc, s[40:41], v[2:3]
	s_and_saveexec_b64 s[54:55], vcc
	s_cbranch_execz .LBB6_6727
; %bb.6720:                             ;   in Loop: Header=BB6_6254 Depth=2
	v_cmp_ne_u32_e32 vcc, 0, v1
	v_mov_b32_e32 v30, 0
	s_and_saveexec_b64 s[56:57], vcc
	s_cbranch_execz .LBB6_6726
; %bb.6721:                             ;   in Loop: Header=BB6_6254 Depth=2
	v_bfe_u32 v1, v1, 23, 8
	v_sub_u32_e32 v3, 0x79, v1
	v_cmp_gt_u32_e32 vcc, s70, v1
	v_add_u32_e32 v2, 0xffffff81, v1
	v_cndmask_b32_e32 v3, 0, v3, vcc
	v_cmp_eq_u32_e32 vcc, 0, v1
	v_mov_b32_e32 v1, 0xffffff82
	v_cndmask_b32_e32 v1, v2, v1, vcc
	v_mov_b32_e32 v2, 0x78
	v_or_b32_e32 v6, 0x800000, v38
	v_cndmask_b32_e32 v7, v3, v2, vcc
	v_cndmask_b32_e32 v38, v6, v38, vcc
	v_add_u32_e32 v2, 20, v7
	v_lshlrev_b64 v[2:3], v2, -1
	v_add_u32_e32 v6, 19, v7
	v_lshrrev_b64 v[10:11], v7, v[38:39]
	v_not_b32_e32 v3, v3
	v_not_b32_e32 v2, v2
	v_lshlrev_b64 v[8:9], v6, 1
	v_lshrrev_b32_e32 v6, 23, v10
	v_and_b32_e32 v3, 0, v3
	v_and_b32_e32 v2, v38, v2
	v_add3_u32 v7, v7, v1, v6
	v_bfe_u32 v1, v10, 20, 1
	v_add_u32_e32 v1, -1, v1
	v_cmp_eq_u64_e32 vcc, v[2:3], v[8:9]
	v_cndmask_b32_e32 v1, 0, v1, vcc
	v_add_u32_e32 v1, v1, v10
	v_and_b32_e32 v1, 0xfffff, v1
	v_add_co_u32_e32 v2, vcc, v1, v10
	v_add_u32_e32 v6, 6, v7
	v_addc_co_u32_e32 v3, vcc, 0, v11, vcc
	v_cmp_ne_u32_e32 vcc, 0, v6
                                        ; implicit-def: $vgpr1
	s_and_saveexec_b64 s[20:21], vcc
	s_xor_b64 s[20:21], exec, s[20:21]
; %bb.6722:                             ;   in Loop: Header=BB6_6254 Depth=2
	v_add_u32_e32 v1, 7, v7
	v_cmp_lt_u64_e32 vcc, s[44:45], v[2:3]
	v_cndmask_b32_e32 v1, v6, v1, vcc
	v_cndmask_b32_e64 v6, 0, 1, vcc
	v_lshrrev_b64 v[2:3], v6, v[2:3]
; %bb.6723:                             ;   in Loop: Header=BB6_6254 Depth=2
	s_andn2_saveexec_b64 s[20:21], s[20:21]
; %bb.6724:                             ;   in Loop: Header=BB6_6254 Depth=2
	v_bfe_u32 v1, v2, 23, 1
; %bb.6725:                             ;   in Loop: Header=BB6_6254 Depth=2
	s_or_b64 exec, exec, s[20:21]
	v_lshrrev_b64 v[2:3], 20, v[2:3]
	v_cmp_gt_i32_e32 vcc, 16, v1
	v_cndmask_b32_e32 v3, 0, v3, vcc
	v_cndmask_b32_e32 v2, 7, v2, vcc
	v_cmp_eq_u32_e32 vcc, 0, v1
	v_min_i32_e32 v1, 15, v1
	v_cmp_eq_u64_e64 s[20:21], 0, v[2:3]
	v_lshlrev_b32_e32 v1, 3, v1
	v_and_or_b32 v1, v2, 7, v1
	s_and_b64 s[20:21], vcc, s[20:21]
	v_cndmask_b32_e64 v1, v1, 0, s[20:21]
	v_or_b32_e32 v30, v1, v0
.LBB6_6726:                             ;   in Loop: Header=BB6_6254 Depth=2
	s_or_b64 exec, exec, s[56:57]
.LBB6_6727:                             ;   in Loop: Header=BB6_6254 Depth=2
	s_or_b64 exec, exec, s[54:55]
                                        ; implicit-def: $vgpr1
.LBB6_6728:                             ;   in Loop: Header=BB6_6254 Depth=2
	s_andn2_saveexec_b64 s[20:21], s[52:53]
; %bb.6729:                             ;   in Loop: Header=BB6_6254 Depth=2
	v_or_b32_sdwa v0, v1, s68 dst_sel:DWORD dst_unused:UNUSED_PAD src0_sel:BYTE_3 src1_sel:DWORD
	v_cmp_eq_u64_e32 vcc, 0, v[38:39]
	v_cndmask_b32_e32 v30, v0, v30, vcc
; %bb.6730:                             ;   in Loop: Header=BB6_6254 Depth=2
	s_or_b64 exec, exec, s[20:21]
	v_lshrrev_b32_e32 v2, 16, v12
	v_cmp_ne_u16_sdwa vcc, v2, v39 src0_sel:BYTE_0 src1_sel:DWORD
	v_mov_b32_e32 v0, 0
	s_and_saveexec_b64 s[20:21], vcc
	s_cbranch_execz .LBB6_6736
; %bb.6731:                             ;   in Loop: Header=BB6_6254 Depth=2
	v_cmp_ne_u16_sdwa vcc, v2, s69 src0_sel:BYTE_0 src1_sel:DWORD
	v_bfrev_b32_e32 v0, 1
	s_and_saveexec_b64 s[52:53], vcc
	s_cbranch_execz .LBB6_6735
; %bb.6732:                             ;   in Loop: Header=BB6_6254 Depth=2
	v_bfe_u32 v1, v12, 16, 7
	v_cmp_ne_u32_e32 vcc, s68, v1
	v_mov_b32_e32 v0, 0x7f800001
	s_and_saveexec_b64 s[54:55], vcc
	s_cbranch_execz .LBB6_6734
; %bb.6733:                             ;   in Loop: Header=BB6_6254 Depth=2
	v_and_b32_e32 v0, 7, v2
	v_ffbh_u32_e32 v6, v0
	v_min_u32_e32 v8, 32, v6
	v_lshrrev_b32_e32 v3, 3, v1
	v_subrev_u32_e32 v6, 28, v8
	v_lshlrev_b64 v[6:7], v6, v[2:3]
	v_sub_u32_e32 v7, 29, v8
	v_and_b32_e32 v6, 7, v6
	v_cmp_gt_u32_e32 vcc, 8, v1
	v_cndmask_b32_e32 v1, v3, v7, vcc
	v_cndmask_b32_e32 v0, v0, v6, vcc
	v_lshlrev_b32_e32 v2, 24, v2
	v_bfrev_b32_e32 v3, 60
	v_lshlrev_b32_e32 v0, 20, v0
	v_and_b32_e32 v2, 0x80000000, v2
	v_lshl_add_u32 v1, v1, 23, v3
	v_or3_b32 v0, v2, v1, v0
.LBB6_6734:                             ;   in Loop: Header=BB6_6254 Depth=2
	s_or_b64 exec, exec, s[54:55]
.LBB6_6735:                             ;   in Loop: Header=BB6_6254 Depth=2
	s_or_b64 exec, exec, s[52:53]
.LBB6_6736:                             ;   in Loop: Header=BB6_6254 Depth=2
	s_or_b64 exec, exec, s[20:21]
	v_mul_f32_e32 v1, v16, v0
	v_and_b32_sdwa v0, v1, s69 dst_sel:DWORD dst_unused:UNUSED_PAD src0_sel:BYTE_3 src1_sel:DWORD
	v_and_b32_e32 v2, 0x7f800000, v1
	v_mov_b32_e32 v3, v39
	v_and_b32_e32 v38, 0x7fffff, v1
	v_or_b32_e32 v31, 0x7e, v0
	v_cmp_ne_u64_e32 vcc, s[38:39], v[2:3]
	s_and_saveexec_b64 s[20:21], vcc
	s_xor_b64 s[52:53], exec, s[20:21]
	s_cbranch_execz .LBB6_6746
; %bb.6737:                             ;   in Loop: Header=BB6_6254 Depth=2
	v_and_b32_e32 v2, 0x7fffffff, v1
	v_mov_b32_e32 v3, v39
	v_cmp_gt_u64_e32 vcc, s[40:41], v[2:3]
	s_and_saveexec_b64 s[54:55], vcc
	s_cbranch_execz .LBB6_6745
; %bb.6738:                             ;   in Loop: Header=BB6_6254 Depth=2
	v_cmp_ne_u32_e32 vcc, 0, v1
	v_mov_b32_e32 v31, 0
	s_and_saveexec_b64 s[56:57], vcc
	s_cbranch_execz .LBB6_6744
; %bb.6739:                             ;   in Loop: Header=BB6_6254 Depth=2
	v_bfe_u32 v1, v1, 23, 8
	v_sub_u32_e32 v3, 0x79, v1
	v_cmp_gt_u32_e32 vcc, s70, v1
	v_add_u32_e32 v2, 0xffffff81, v1
	v_cndmask_b32_e32 v3, 0, v3, vcc
	v_cmp_eq_u32_e32 vcc, 0, v1
	v_mov_b32_e32 v1, 0xffffff82
	v_cndmask_b32_e32 v1, v2, v1, vcc
	v_mov_b32_e32 v2, 0x78
	v_or_b32_e32 v6, 0x800000, v38
	v_cndmask_b32_e32 v7, v3, v2, vcc
	v_cndmask_b32_e32 v38, v6, v38, vcc
	v_add_u32_e32 v2, 20, v7
	v_lshlrev_b64 v[2:3], v2, -1
	v_add_u32_e32 v6, 19, v7
	v_lshrrev_b64 v[10:11], v7, v[38:39]
	v_not_b32_e32 v3, v3
	v_not_b32_e32 v2, v2
	v_lshlrev_b64 v[8:9], v6, 1
	v_lshrrev_b32_e32 v6, 23, v10
	v_and_b32_e32 v3, 0, v3
	v_and_b32_e32 v2, v38, v2
	v_add3_u32 v7, v7, v1, v6
	v_bfe_u32 v1, v10, 20, 1
	v_add_u32_e32 v1, -1, v1
	v_cmp_eq_u64_e32 vcc, v[2:3], v[8:9]
	v_cndmask_b32_e32 v1, 0, v1, vcc
	v_add_u32_e32 v1, v1, v10
	v_and_b32_e32 v1, 0xfffff, v1
	v_add_co_u32_e32 v2, vcc, v1, v10
	v_add_u32_e32 v6, 6, v7
	v_addc_co_u32_e32 v3, vcc, 0, v11, vcc
	v_cmp_ne_u32_e32 vcc, 0, v6
                                        ; implicit-def: $vgpr1
	s_and_saveexec_b64 s[20:21], vcc
	s_xor_b64 s[20:21], exec, s[20:21]
; %bb.6740:                             ;   in Loop: Header=BB6_6254 Depth=2
	v_add_u32_e32 v1, 7, v7
	v_cmp_lt_u64_e32 vcc, s[44:45], v[2:3]
	v_cndmask_b32_e32 v1, v6, v1, vcc
	v_cndmask_b32_e64 v6, 0, 1, vcc
	v_lshrrev_b64 v[2:3], v6, v[2:3]
; %bb.6741:                             ;   in Loop: Header=BB6_6254 Depth=2
	s_andn2_saveexec_b64 s[20:21], s[20:21]
; %bb.6742:                             ;   in Loop: Header=BB6_6254 Depth=2
	v_bfe_u32 v1, v2, 23, 1
; %bb.6743:                             ;   in Loop: Header=BB6_6254 Depth=2
	s_or_b64 exec, exec, s[20:21]
	v_lshrrev_b64 v[2:3], 20, v[2:3]
	v_cmp_gt_i32_e32 vcc, 16, v1
	v_cndmask_b32_e32 v3, 0, v3, vcc
	v_cndmask_b32_e32 v2, 7, v2, vcc
	v_cmp_eq_u32_e32 vcc, 0, v1
	v_min_i32_e32 v1, 15, v1
	v_cmp_eq_u64_e64 s[20:21], 0, v[2:3]
	v_lshlrev_b32_e32 v1, 3, v1
	v_and_or_b32 v1, v2, 7, v1
	s_and_b64 s[20:21], vcc, s[20:21]
	v_cndmask_b32_e64 v1, v1, 0, s[20:21]
	v_or_b32_e32 v31, v1, v0
.LBB6_6744:                             ;   in Loop: Header=BB6_6254 Depth=2
	s_or_b64 exec, exec, s[56:57]
.LBB6_6745:                             ;   in Loop: Header=BB6_6254 Depth=2
	s_or_b64 exec, exec, s[54:55]
                                        ; implicit-def: $vgpr1
.LBB6_6746:                             ;   in Loop: Header=BB6_6254 Depth=2
	s_andn2_saveexec_b64 s[20:21], s[52:53]
; %bb.6747:                             ;   in Loop: Header=BB6_6254 Depth=2
	v_or_b32_sdwa v0, v1, s68 dst_sel:DWORD dst_unused:UNUSED_PAD src0_sel:BYTE_3 src1_sel:DWORD
	v_cmp_eq_u64_e32 vcc, 0, v[38:39]
	v_cndmask_b32_e32 v31, v0, v31, vcc
; %bb.6748:                             ;   in Loop: Header=BB6_6254 Depth=2
	s_or_b64 exec, exec, s[20:21]
	v_cmp_lt_u32_e32 vcc, s43, v12
	v_mov_b32_e32 v0, 0
	s_and_saveexec_b64 s[20:21], vcc
	s_cbranch_execz .LBB6_6754
; %bb.6749:                             ;   in Loop: Header=BB6_6254 Depth=2
	v_lshrrev_b32_e32 v2, 24, v12
	v_cmp_ne_u32_e32 vcc, s69, v2
	v_bfrev_b32_e32 v0, 1
	s_and_saveexec_b64 s[52:53], vcc
	s_cbranch_execz .LBB6_6753
; %bb.6750:                             ;   in Loop: Header=BB6_6254 Depth=2
	v_bfe_u32 v1, v12, 24, 7
	v_cmp_ne_u32_e32 vcc, s68, v1
	v_mov_b32_e32 v0, 0x7f800001
	s_and_saveexec_b64 s[54:55], vcc
	s_cbranch_execz .LBB6_6752
; %bb.6751:                             ;   in Loop: Header=BB6_6254 Depth=2
	v_and_b32_e32 v0, 7, v2
	v_ffbh_u32_e32 v6, v0
	v_min_u32_e32 v8, 32, v6
	v_lshrrev_b32_e32 v3, 3, v1
	v_subrev_u32_e32 v6, 28, v8
	v_lshlrev_b64 v[6:7], v6, v[2:3]
	v_sub_u32_e32 v7, 29, v8
	v_and_b32_e32 v6, 7, v6
	v_cmp_gt_u32_e32 vcc, 8, v1
	v_cndmask_b32_e32 v1, v3, v7, vcc
	v_cndmask_b32_e32 v0, v0, v6, vcc
	v_lshlrev_b32_e32 v2, 24, v2
	v_bfrev_b32_e32 v3, 60
	v_lshlrev_b32_e32 v0, 20, v0
	v_and_b32_e32 v2, 0x80000000, v2
	v_lshl_add_u32 v1, v1, 23, v3
	v_or3_b32 v0, v2, v1, v0
.LBB6_6752:                             ;   in Loop: Header=BB6_6254 Depth=2
	s_or_b64 exec, exec, s[54:55]
.LBB6_6753:                             ;   in Loop: Header=BB6_6254 Depth=2
	s_or_b64 exec, exec, s[52:53]
.LBB6_6754:                             ;   in Loop: Header=BB6_6254 Depth=2
	s_or_b64 exec, exec, s[20:21]
	v_mul_f32_e32 v1, v16, v0
	v_and_b32_sdwa v0, v1, s69 dst_sel:DWORD dst_unused:UNUSED_PAD src0_sel:BYTE_3 src1_sel:DWORD
	v_and_b32_e32 v2, 0x7f800000, v1
	v_mov_b32_e32 v3, v39
	v_and_b32_e32 v38, 0x7fffff, v1
	v_or_b32_e32 v36, 0x7e, v0
	v_cmp_ne_u64_e32 vcc, s[38:39], v[2:3]
	s_and_saveexec_b64 s[20:21], vcc
	s_xor_b64 s[52:53], exec, s[20:21]
	s_cbranch_execz .LBB6_6764
; %bb.6755:                             ;   in Loop: Header=BB6_6254 Depth=2
	v_and_b32_e32 v2, 0x7fffffff, v1
	v_mov_b32_e32 v3, v39
	v_cmp_gt_u64_e32 vcc, s[40:41], v[2:3]
	s_and_saveexec_b64 s[54:55], vcc
	s_cbranch_execz .LBB6_6763
; %bb.6756:                             ;   in Loop: Header=BB6_6254 Depth=2
	v_cmp_ne_u32_e32 vcc, 0, v1
	v_mov_b32_e32 v36, 0
	s_and_saveexec_b64 s[56:57], vcc
	s_cbranch_execz .LBB6_6762
; %bb.6757:                             ;   in Loop: Header=BB6_6254 Depth=2
	v_bfe_u32 v1, v1, 23, 8
	v_sub_u32_e32 v3, 0x79, v1
	v_cmp_gt_u32_e32 vcc, s70, v1
	v_add_u32_e32 v2, 0xffffff81, v1
	v_cndmask_b32_e32 v3, 0, v3, vcc
	v_cmp_eq_u32_e32 vcc, 0, v1
	v_mov_b32_e32 v1, 0xffffff82
	v_cndmask_b32_e32 v1, v2, v1, vcc
	v_mov_b32_e32 v2, 0x78
	v_or_b32_e32 v6, 0x800000, v38
	v_cndmask_b32_e32 v7, v3, v2, vcc
	v_cndmask_b32_e32 v38, v6, v38, vcc
	v_add_u32_e32 v2, 20, v7
	v_lshlrev_b64 v[2:3], v2, -1
	v_add_u32_e32 v6, 19, v7
	v_lshrrev_b64 v[10:11], v7, v[38:39]
	v_not_b32_e32 v3, v3
	v_not_b32_e32 v2, v2
	v_lshlrev_b64 v[8:9], v6, 1
	v_lshrrev_b32_e32 v6, 23, v10
	v_and_b32_e32 v3, 0, v3
	v_and_b32_e32 v2, v38, v2
	v_add3_u32 v7, v7, v1, v6
	v_bfe_u32 v1, v10, 20, 1
	v_add_u32_e32 v1, -1, v1
	v_cmp_eq_u64_e32 vcc, v[2:3], v[8:9]
	v_cndmask_b32_e32 v1, 0, v1, vcc
	v_add_u32_e32 v1, v1, v10
	v_and_b32_e32 v1, 0xfffff, v1
	v_add_co_u32_e32 v2, vcc, v1, v10
	v_add_u32_e32 v6, 6, v7
	v_addc_co_u32_e32 v3, vcc, 0, v11, vcc
	v_cmp_ne_u32_e32 vcc, 0, v6
                                        ; implicit-def: $vgpr1
	s_and_saveexec_b64 s[20:21], vcc
	s_xor_b64 s[20:21], exec, s[20:21]
; %bb.6758:                             ;   in Loop: Header=BB6_6254 Depth=2
	v_add_u32_e32 v1, 7, v7
	v_cmp_lt_u64_e32 vcc, s[44:45], v[2:3]
	v_cndmask_b32_e32 v1, v6, v1, vcc
	v_cndmask_b32_e64 v6, 0, 1, vcc
	v_lshrrev_b64 v[2:3], v6, v[2:3]
; %bb.6759:                             ;   in Loop: Header=BB6_6254 Depth=2
	s_andn2_saveexec_b64 s[20:21], s[20:21]
; %bb.6760:                             ;   in Loop: Header=BB6_6254 Depth=2
	v_bfe_u32 v1, v2, 23, 1
; %bb.6761:                             ;   in Loop: Header=BB6_6254 Depth=2
	s_or_b64 exec, exec, s[20:21]
	v_lshrrev_b64 v[2:3], 20, v[2:3]
	v_cmp_gt_i32_e32 vcc, 16, v1
	v_cndmask_b32_e32 v3, 0, v3, vcc
	v_cndmask_b32_e32 v2, 7, v2, vcc
	v_cmp_eq_u32_e32 vcc, 0, v1
	v_min_i32_e32 v1, 15, v1
	v_cmp_eq_u64_e64 s[20:21], 0, v[2:3]
	v_lshlrev_b32_e32 v1, 3, v1
	v_and_or_b32 v1, v2, 7, v1
	s_and_b64 s[20:21], vcc, s[20:21]
	v_cndmask_b32_e64 v1, v1, 0, s[20:21]
	v_or_b32_e32 v36, v1, v0
.LBB6_6762:                             ;   in Loop: Header=BB6_6254 Depth=2
	s_or_b64 exec, exec, s[56:57]
.LBB6_6763:                             ;   in Loop: Header=BB6_6254 Depth=2
	s_or_b64 exec, exec, s[54:55]
                                        ; implicit-def: $vgpr1
.LBB6_6764:                             ;   in Loop: Header=BB6_6254 Depth=2
	s_andn2_saveexec_b64 s[20:21], s[52:53]
; %bb.6765:                             ;   in Loop: Header=BB6_6254 Depth=2
	v_or_b32_sdwa v0, v1, s68 dst_sel:DWORD dst_unused:UNUSED_PAD src0_sel:BYTE_3 src1_sel:DWORD
	v_cmp_eq_u64_e32 vcc, 0, v[38:39]
	v_cndmask_b32_e32 v36, v0, v36, vcc
; %bb.6766:                             ;   in Loop: Header=BB6_6254 Depth=2
	s_or_b64 exec, exec, s[20:21]
	v_mov_b32_e32 v38, v13
	v_cmp_ne_u16_sdwa vcc, v13, v39 src0_sel:BYTE_0 src1_sel:DWORD
	v_mov_b32_e32 v0, 0
	s_and_saveexec_b64 s[20:21], vcc
	s_cbranch_execz .LBB6_6772
; %bb.6767:                             ;   in Loop: Header=BB6_6254 Depth=2
	v_cmp_ne_u16_sdwa vcc, v13, s69 src0_sel:BYTE_0 src1_sel:DWORD
	v_bfrev_b32_e32 v0, 1
	s_and_saveexec_b64 s[52:53], vcc
	s_cbranch_execz .LBB6_6771
; %bb.6768:                             ;   in Loop: Header=BB6_6254 Depth=2
	v_and_b32_e32 v1, 0x7f, v13
	v_cmp_ne_u32_e32 vcc, s68, v1
	v_mov_b32_e32 v0, 0x7f800001
	s_and_saveexec_b64 s[54:55], vcc
	s_cbranch_execz .LBB6_6770
; %bb.6769:                             ;   in Loop: Header=BB6_6254 Depth=2
	v_and_b32_e32 v0, 7, v13
	v_ffbh_u32_e32 v0, v0
	v_min_u32_e32 v0, 32, v0
	v_lshrrev_b32_e32 v2, 3, v1
	v_subrev_u32_e32 v3, 28, v0
	v_sub_u32_e32 v0, 29, v0
	v_cmp_gt_u32_e32 vcc, 8, v1
	v_cndmask_b32_e32 v2, v2, v0, vcc
	v_cndmask_b32_e32 v0, 0, v3, vcc
	v_lshlrev_b64 v[0:1], v0, v[38:39]
	v_lshlrev_b32_e32 v0, 20, v0
	v_lshlrev_b32_e32 v1, 24, v38
	v_bfrev_b32_e32 v3, 60
	v_and_b32_e32 v0, 0x700000, v0
	v_and_b32_e32 v1, 0x80000000, v1
	v_lshl_add_u32 v2, v2, 23, v3
	v_or3_b32 v0, v1, v2, v0
.LBB6_6770:                             ;   in Loop: Header=BB6_6254 Depth=2
	s_or_b64 exec, exec, s[54:55]
.LBB6_6771:                             ;   in Loop: Header=BB6_6254 Depth=2
	s_or_b64 exec, exec, s[52:53]
.LBB6_6772:                             ;   in Loop: Header=BB6_6254 Depth=2
	s_or_b64 exec, exec, s[20:21]
	v_mul_f32_e32 v1, v16, v0
	v_and_b32_sdwa v0, v1, s69 dst_sel:DWORD dst_unused:UNUSED_PAD src0_sel:BYTE_3 src1_sel:DWORD
	v_and_b32_e32 v6, 0x7f800000, v1
	v_mov_b32_e32 v7, v39
	v_and_b32_e32 v2, 0x7fffff, v1
	v_mov_b32_e32 v3, v39
	v_or_b32_e32 v54, 0x7e, v0
	v_cmp_ne_u64_e32 vcc, s[38:39], v[6:7]
	s_and_saveexec_b64 s[20:21], vcc
	s_xor_b64 s[52:53], exec, s[20:21]
	s_cbranch_execz .LBB6_6782
; %bb.6773:                             ;   in Loop: Header=BB6_6254 Depth=2
	v_and_b32_e32 v6, 0x7fffffff, v1
	v_mov_b32_e32 v7, v39
	v_cmp_gt_u64_e32 vcc, s[40:41], v[6:7]
	s_and_saveexec_b64 s[54:55], vcc
	s_cbranch_execz .LBB6_6781
; %bb.6774:                             ;   in Loop: Header=BB6_6254 Depth=2
	v_cmp_ne_u32_e32 vcc, 0, v1
	v_mov_b32_e32 v54, 0
	s_and_saveexec_b64 s[56:57], vcc
	s_cbranch_execz .LBB6_6780
; %bb.6775:                             ;   in Loop: Header=BB6_6254 Depth=2
	v_bfe_u32 v1, v1, 23, 8
	v_sub_u32_e32 v7, 0x79, v1
	v_cmp_gt_u32_e32 vcc, s70, v1
	v_add_u32_e32 v6, 0xffffff81, v1
	v_cndmask_b32_e32 v7, 0, v7, vcc
	v_cmp_eq_u32_e32 vcc, 0, v1
	v_mov_b32_e32 v1, 0xffffff82
	v_cndmask_b32_e32 v1, v6, v1, vcc
	v_mov_b32_e32 v6, 0x78
	v_cndmask_b32_e32 v18, v7, v6, vcc
	v_add_u32_e32 v6, 20, v18
	v_or_b32_e32 v8, 0x800000, v2
	v_lshlrev_b64 v[6:7], v6, -1
	v_cndmask_b32_e32 v2, v8, v2, vcc
	v_not_b32_e32 v6, v6
	v_and_b32_e32 v8, v2, v6
	v_add_u32_e32 v6, 19, v18
	v_lshrrev_b64 v[2:3], v18, v[2:3]
	v_not_b32_e32 v7, v7
	v_lshlrev_b64 v[10:11], v6, 1
	v_lshrrev_b32_e32 v6, 23, v2
	v_and_b32_e32 v9, 0, v7
	v_add3_u32 v7, v18, v1, v6
	v_bfe_u32 v1, v2, 20, 1
	v_add_u32_e32 v1, -1, v1
	v_cmp_eq_u64_e32 vcc, v[8:9], v[10:11]
	v_cndmask_b32_e32 v1, 0, v1, vcc
	v_add_u32_e32 v1, v1, v2
	v_and_b32_e32 v1, 0xfffff, v1
	v_add_co_u32_e32 v2, vcc, v1, v2
	v_add_u32_e32 v6, 6, v7
	v_addc_co_u32_e32 v3, vcc, 0, v3, vcc
	v_cmp_ne_u32_e32 vcc, 0, v6
                                        ; implicit-def: $vgpr1
	s_and_saveexec_b64 s[20:21], vcc
	s_xor_b64 s[20:21], exec, s[20:21]
; %bb.6776:                             ;   in Loop: Header=BB6_6254 Depth=2
	v_add_u32_e32 v1, 7, v7
	v_cmp_lt_u64_e32 vcc, s[44:45], v[2:3]
	v_cndmask_b32_e32 v1, v6, v1, vcc
	v_cndmask_b32_e64 v6, 0, 1, vcc
	v_lshrrev_b64 v[2:3], v6, v[2:3]
; %bb.6777:                             ;   in Loop: Header=BB6_6254 Depth=2
	s_andn2_saveexec_b64 s[20:21], s[20:21]
; %bb.6778:                             ;   in Loop: Header=BB6_6254 Depth=2
	v_bfe_u32 v1, v2, 23, 1
; %bb.6779:                             ;   in Loop: Header=BB6_6254 Depth=2
	s_or_b64 exec, exec, s[20:21]
	v_lshrrev_b64 v[2:3], 20, v[2:3]
	v_cmp_gt_i32_e32 vcc, 16, v1
	v_cndmask_b32_e32 v3, 0, v3, vcc
	v_cndmask_b32_e32 v2, 7, v2, vcc
	v_cmp_eq_u32_e32 vcc, 0, v1
	v_min_i32_e32 v1, 15, v1
	v_cmp_eq_u64_e64 s[20:21], 0, v[2:3]
	v_lshlrev_b32_e32 v1, 3, v1
	v_and_or_b32 v1, v2, 7, v1
	s_and_b64 s[20:21], vcc, s[20:21]
	v_cndmask_b32_e64 v1, v1, 0, s[20:21]
	v_or_b32_e32 v54, v1, v0
.LBB6_6780:                             ;   in Loop: Header=BB6_6254 Depth=2
	s_or_b64 exec, exec, s[56:57]
.LBB6_6781:                             ;   in Loop: Header=BB6_6254 Depth=2
	s_or_b64 exec, exec, s[54:55]
                                        ; implicit-def: $vgpr1
                                        ; implicit-def: $vgpr2_vgpr3
.LBB6_6782:                             ;   in Loop: Header=BB6_6254 Depth=2
	s_andn2_saveexec_b64 s[20:21], s[52:53]
; %bb.6783:                             ;   in Loop: Header=BB6_6254 Depth=2
	v_or_b32_sdwa v0, v1, s68 dst_sel:DWORD dst_unused:UNUSED_PAD src0_sel:BYTE_3 src1_sel:DWORD
	v_cmp_eq_u64_e32 vcc, 0, v[2:3]
	v_cndmask_b32_e32 v54, v0, v54, vcc
; %bb.6784:                             ;   in Loop: Header=BB6_6254 Depth=2
	s_or_b64 exec, exec, s[20:21]
	v_lshrrev_b16_e32 v2, 8, v38
	v_cmp_ne_u16_e32 vcc, 0, v2
	v_mov_b32_e32 v0, 0
	s_and_saveexec_b64 s[20:21], vcc
	s_cbranch_execz .LBB6_6790
; %bb.6785:                             ;   in Loop: Header=BB6_6254 Depth=2
	v_cmp_ne_u16_e32 vcc, s69, v2
	v_bfrev_b32_e32 v0, 1
	s_and_saveexec_b64 s[52:53], vcc
	s_cbranch_execz .LBB6_6789
; %bb.6786:                             ;   in Loop: Header=BB6_6254 Depth=2
	v_and_b32_e32 v1, 0x7f, v2
	v_cmp_ne_u32_e32 vcc, s68, v1
	v_mov_b32_e32 v0, 0x7f800001
	s_and_saveexec_b64 s[54:55], vcc
	s_cbranch_execz .LBB6_6788
; %bb.6787:                             ;   in Loop: Header=BB6_6254 Depth=2
	v_and_b32_e32 v0, 7, v2
	v_ffbh_u32_e32 v3, v0
	v_min_u32_e32 v7, 32, v3
	v_subrev_u32_e32 v3, 28, v7
	v_lshlrev_b64 v[2:3], v3, v[2:3]
	v_lshrrev_b32_e32 v6, 3, v1
	v_sub_u32_e32 v3, 29, v7
	v_and_b32_e32 v2, 7, v2
	v_cmp_gt_u32_e32 vcc, 8, v1
	v_cndmask_b32_e32 v1, v6, v3, vcc
	v_cndmask_b32_e32 v0, v0, v2, vcc
	v_lshlrev_b32_e32 v2, 16, v38
	v_bfrev_b32_e32 v3, 60
	v_lshlrev_b32_e32 v0, 20, v0
	v_and_b32_e32 v2, 0x80000000, v2
	v_lshl_add_u32 v1, v1, 23, v3
	v_or3_b32 v0, v2, v1, v0
.LBB6_6788:                             ;   in Loop: Header=BB6_6254 Depth=2
	s_or_b64 exec, exec, s[54:55]
.LBB6_6789:                             ;   in Loop: Header=BB6_6254 Depth=2
	s_or_b64 exec, exec, s[52:53]
.LBB6_6790:                             ;   in Loop: Header=BB6_6254 Depth=2
	s_or_b64 exec, exec, s[20:21]
	v_mul_f32_e32 v1, v16, v0
	v_and_b32_sdwa v0, v1, s69 dst_sel:DWORD dst_unused:UNUSED_PAD src0_sel:BYTE_3 src1_sel:DWORD
	v_and_b32_e32 v2, 0x7f800000, v1
	v_mov_b32_e32 v3, v39
	v_and_b32_e32 v38, 0x7fffff, v1
	v_or_b32_e32 v40, 0x7e, v0
	v_cmp_ne_u64_e32 vcc, s[38:39], v[2:3]
	s_and_saveexec_b64 s[20:21], vcc
	s_xor_b64 s[52:53], exec, s[20:21]
	s_cbranch_execz .LBB6_6800
; %bb.6791:                             ;   in Loop: Header=BB6_6254 Depth=2
	v_and_b32_e32 v2, 0x7fffffff, v1
	v_mov_b32_e32 v3, v39
	v_cmp_gt_u64_e32 vcc, s[40:41], v[2:3]
	s_and_saveexec_b64 s[54:55], vcc
	s_cbranch_execz .LBB6_6799
; %bb.6792:                             ;   in Loop: Header=BB6_6254 Depth=2
	v_cmp_ne_u32_e32 vcc, 0, v1
	v_mov_b32_e32 v40, 0
	s_and_saveexec_b64 s[56:57], vcc
	s_cbranch_execz .LBB6_6798
; %bb.6793:                             ;   in Loop: Header=BB6_6254 Depth=2
	v_bfe_u32 v1, v1, 23, 8
	v_sub_u32_e32 v3, 0x79, v1
	v_cmp_gt_u32_e32 vcc, s70, v1
	v_add_u32_e32 v2, 0xffffff81, v1
	v_cndmask_b32_e32 v3, 0, v3, vcc
	v_cmp_eq_u32_e32 vcc, 0, v1
	v_mov_b32_e32 v1, 0xffffff82
	v_cndmask_b32_e32 v1, v2, v1, vcc
	v_mov_b32_e32 v2, 0x78
	v_or_b32_e32 v6, 0x800000, v38
	v_cndmask_b32_e32 v7, v3, v2, vcc
	v_cndmask_b32_e32 v38, v6, v38, vcc
	v_add_u32_e32 v2, 20, v7
	v_lshlrev_b64 v[2:3], v2, -1
	v_add_u32_e32 v6, 19, v7
	v_lshrrev_b64 v[10:11], v7, v[38:39]
	v_not_b32_e32 v3, v3
	v_not_b32_e32 v2, v2
	v_lshlrev_b64 v[8:9], v6, 1
	v_lshrrev_b32_e32 v6, 23, v10
	v_and_b32_e32 v3, 0, v3
	v_and_b32_e32 v2, v38, v2
	v_add3_u32 v7, v7, v1, v6
	v_bfe_u32 v1, v10, 20, 1
	v_add_u32_e32 v1, -1, v1
	v_cmp_eq_u64_e32 vcc, v[2:3], v[8:9]
	v_cndmask_b32_e32 v1, 0, v1, vcc
	v_add_u32_e32 v1, v1, v10
	v_and_b32_e32 v1, 0xfffff, v1
	v_add_co_u32_e32 v2, vcc, v1, v10
	v_add_u32_e32 v6, 6, v7
	v_addc_co_u32_e32 v3, vcc, 0, v11, vcc
	v_cmp_ne_u32_e32 vcc, 0, v6
                                        ; implicit-def: $vgpr1
	s_and_saveexec_b64 s[20:21], vcc
	s_xor_b64 s[20:21], exec, s[20:21]
; %bb.6794:                             ;   in Loop: Header=BB6_6254 Depth=2
	v_add_u32_e32 v1, 7, v7
	v_cmp_lt_u64_e32 vcc, s[44:45], v[2:3]
	v_cndmask_b32_e32 v1, v6, v1, vcc
	v_cndmask_b32_e64 v6, 0, 1, vcc
	v_lshrrev_b64 v[2:3], v6, v[2:3]
; %bb.6795:                             ;   in Loop: Header=BB6_6254 Depth=2
	s_andn2_saveexec_b64 s[20:21], s[20:21]
; %bb.6796:                             ;   in Loop: Header=BB6_6254 Depth=2
	v_bfe_u32 v1, v2, 23, 1
; %bb.6797:                             ;   in Loop: Header=BB6_6254 Depth=2
	s_or_b64 exec, exec, s[20:21]
	v_lshrrev_b64 v[2:3], 20, v[2:3]
	v_cmp_gt_i32_e32 vcc, 16, v1
	v_cndmask_b32_e32 v3, 0, v3, vcc
	v_cndmask_b32_e32 v2, 7, v2, vcc
	v_cmp_eq_u32_e32 vcc, 0, v1
	v_min_i32_e32 v1, 15, v1
	v_lshlrev_b32_e32 v1, 3, v1
	v_cmp_eq_u64_e64 s[20:21], 0, v[2:3]
	v_and_b32_e32 v1, 0xf8, v1
	v_and_or_b32 v1, v2, 7, v1
	s_and_b64 s[20:21], vcc, s[20:21]
	v_cndmask_b32_e64 v1, v1, 0, s[20:21]
	v_or_b32_e32 v40, v1, v0
.LBB6_6798:                             ;   in Loop: Header=BB6_6254 Depth=2
	s_or_b64 exec, exec, s[56:57]
.LBB6_6799:                             ;   in Loop: Header=BB6_6254 Depth=2
	s_or_b64 exec, exec, s[54:55]
                                        ; implicit-def: $vgpr1
.LBB6_6800:                             ;   in Loop: Header=BB6_6254 Depth=2
	s_andn2_saveexec_b64 s[20:21], s[52:53]
; %bb.6801:                             ;   in Loop: Header=BB6_6254 Depth=2
	v_or_b32_sdwa v0, v1, s68 dst_sel:DWORD dst_unused:UNUSED_PAD src0_sel:BYTE_3 src1_sel:DWORD
	v_cmp_eq_u64_e32 vcc, 0, v[38:39]
	v_cndmask_b32_e32 v40, v0, v40, vcc
; %bb.6802:                             ;   in Loop: Header=BB6_6254 Depth=2
	s_or_b64 exec, exec, s[20:21]
	v_lshrrev_b32_e32 v2, 16, v13
	v_cmp_ne_u16_sdwa vcc, v2, v39 src0_sel:BYTE_0 src1_sel:DWORD
	v_mov_b32_e32 v0, 0
	s_and_saveexec_b64 s[20:21], vcc
	s_cbranch_execz .LBB6_6808
; %bb.6803:                             ;   in Loop: Header=BB6_6254 Depth=2
	v_cmp_ne_u16_sdwa vcc, v2, s69 src0_sel:BYTE_0 src1_sel:DWORD
	v_bfrev_b32_e32 v0, 1
	s_and_saveexec_b64 s[52:53], vcc
	s_cbranch_execz .LBB6_6807
; %bb.6804:                             ;   in Loop: Header=BB6_6254 Depth=2
	v_bfe_u32 v1, v13, 16, 7
	v_cmp_ne_u32_e32 vcc, s68, v1
	v_mov_b32_e32 v0, 0x7f800001
	s_and_saveexec_b64 s[54:55], vcc
	s_cbranch_execz .LBB6_6806
; %bb.6805:                             ;   in Loop: Header=BB6_6254 Depth=2
	v_and_b32_e32 v0, 7, v2
	v_ffbh_u32_e32 v6, v0
	v_min_u32_e32 v8, 32, v6
	v_lshrrev_b32_e32 v3, 3, v1
	v_subrev_u32_e32 v6, 28, v8
	v_lshlrev_b64 v[6:7], v6, v[2:3]
	v_sub_u32_e32 v7, 29, v8
	v_and_b32_e32 v6, 7, v6
	v_cmp_gt_u32_e32 vcc, 8, v1
	v_cndmask_b32_e32 v1, v3, v7, vcc
	v_cndmask_b32_e32 v0, v0, v6, vcc
	v_lshlrev_b32_e32 v2, 24, v2
	v_bfrev_b32_e32 v3, 60
	v_lshlrev_b32_e32 v0, 20, v0
	v_and_b32_e32 v2, 0x80000000, v2
	v_lshl_add_u32 v1, v1, 23, v3
	v_or3_b32 v0, v2, v1, v0
.LBB6_6806:                             ;   in Loop: Header=BB6_6254 Depth=2
	s_or_b64 exec, exec, s[54:55]
.LBB6_6807:                             ;   in Loop: Header=BB6_6254 Depth=2
	s_or_b64 exec, exec, s[52:53]
.LBB6_6808:                             ;   in Loop: Header=BB6_6254 Depth=2
	s_or_b64 exec, exec, s[20:21]
	v_mul_f32_e32 v1, v16, v0
	v_and_b32_sdwa v0, v1, s69 dst_sel:DWORD dst_unused:UNUSED_PAD src0_sel:BYTE_3 src1_sel:DWORD
	v_and_b32_e32 v2, 0x7f800000, v1
	v_mov_b32_e32 v3, v39
	v_and_b32_e32 v38, 0x7fffff, v1
	v_or_b32_e32 v6, 0x7e, v0
	v_cmp_ne_u64_e32 vcc, s[38:39], v[2:3]
	s_and_saveexec_b64 s[20:21], vcc
	s_xor_b64 s[52:53], exec, s[20:21]
	s_cbranch_execz .LBB6_6818
; %bb.6809:                             ;   in Loop: Header=BB6_6254 Depth=2
	v_and_b32_e32 v2, 0x7fffffff, v1
	v_mov_b32_e32 v3, v39
	v_cmp_gt_u64_e32 vcc, s[40:41], v[2:3]
	s_and_saveexec_b64 s[54:55], vcc
	s_cbranch_execz .LBB6_6817
; %bb.6810:                             ;   in Loop: Header=BB6_6254 Depth=2
	v_cmp_ne_u32_e32 vcc, 0, v1
	v_mov_b32_e32 v6, 0
	s_and_saveexec_b64 s[56:57], vcc
	s_cbranch_execz .LBB6_6816
; %bb.6811:                             ;   in Loop: Header=BB6_6254 Depth=2
	v_bfe_u32 v1, v1, 23, 8
	v_sub_u32_e32 v3, 0x79, v1
	v_cmp_gt_u32_e32 vcc, s70, v1
	v_add_u32_e32 v2, 0xffffff81, v1
	v_cndmask_b32_e32 v3, 0, v3, vcc
	v_cmp_eq_u32_e32 vcc, 0, v1
	v_mov_b32_e32 v1, 0xffffff82
	v_cndmask_b32_e32 v1, v2, v1, vcc
	v_mov_b32_e32 v2, 0x78
	v_or_b32_e32 v6, 0x800000, v38
	v_cndmask_b32_e32 v7, v3, v2, vcc
	v_cndmask_b32_e32 v38, v6, v38, vcc
	v_add_u32_e32 v2, 20, v7
	v_lshlrev_b64 v[2:3], v2, -1
	v_add_u32_e32 v6, 19, v7
	v_lshrrev_b64 v[10:11], v7, v[38:39]
	v_not_b32_e32 v3, v3
	v_not_b32_e32 v2, v2
	v_lshlrev_b64 v[8:9], v6, 1
	v_lshrrev_b32_e32 v6, 23, v10
	v_and_b32_e32 v3, 0, v3
	v_and_b32_e32 v2, v38, v2
	v_add3_u32 v7, v7, v1, v6
	v_bfe_u32 v1, v10, 20, 1
	v_add_u32_e32 v1, -1, v1
	v_cmp_eq_u64_e32 vcc, v[2:3], v[8:9]
	v_cndmask_b32_e32 v1, 0, v1, vcc
	v_add_u32_e32 v1, v1, v10
	v_and_b32_e32 v1, 0xfffff, v1
	v_add_co_u32_e32 v2, vcc, v1, v10
	v_add_u32_e32 v6, 6, v7
	v_addc_co_u32_e32 v3, vcc, 0, v11, vcc
	v_cmp_ne_u32_e32 vcc, 0, v6
                                        ; implicit-def: $vgpr1
	s_and_saveexec_b64 s[20:21], vcc
	s_xor_b64 s[20:21], exec, s[20:21]
; %bb.6812:                             ;   in Loop: Header=BB6_6254 Depth=2
	v_add_u32_e32 v1, 7, v7
	v_cmp_lt_u64_e32 vcc, s[44:45], v[2:3]
	v_cndmask_b32_e32 v1, v6, v1, vcc
	v_cndmask_b32_e64 v6, 0, 1, vcc
	v_lshrrev_b64 v[2:3], v6, v[2:3]
; %bb.6813:                             ;   in Loop: Header=BB6_6254 Depth=2
	s_andn2_saveexec_b64 s[20:21], s[20:21]
; %bb.6814:                             ;   in Loop: Header=BB6_6254 Depth=2
	v_bfe_u32 v1, v2, 23, 1
; %bb.6815:                             ;   in Loop: Header=BB6_6254 Depth=2
	s_or_b64 exec, exec, s[20:21]
	v_lshrrev_b64 v[2:3], 20, v[2:3]
	v_cmp_gt_i32_e32 vcc, 16, v1
	v_cndmask_b32_e32 v3, 0, v3, vcc
	v_cndmask_b32_e32 v2, 7, v2, vcc
	v_cmp_eq_u32_e32 vcc, 0, v1
	v_min_i32_e32 v1, 15, v1
	v_lshlrev_b32_e32 v1, 3, v1
	v_cmp_eq_u64_e64 s[20:21], 0, v[2:3]
	v_and_b32_e32 v1, 0xf8, v1
	v_and_or_b32 v1, v2, 7, v1
	s_and_b64 s[20:21], vcc, s[20:21]
	v_cndmask_b32_e64 v1, v1, 0, s[20:21]
	v_or_b32_e32 v6, v1, v0
.LBB6_6816:                             ;   in Loop: Header=BB6_6254 Depth=2
	s_or_b64 exec, exec, s[56:57]
.LBB6_6817:                             ;   in Loop: Header=BB6_6254 Depth=2
	s_or_b64 exec, exec, s[54:55]
                                        ; implicit-def: $vgpr1
.LBB6_6818:                             ;   in Loop: Header=BB6_6254 Depth=2
	s_andn2_saveexec_b64 s[20:21], s[52:53]
; %bb.6819:                             ;   in Loop: Header=BB6_6254 Depth=2
	v_or_b32_sdwa v0, v1, s68 dst_sel:DWORD dst_unused:UNUSED_PAD src0_sel:BYTE_3 src1_sel:DWORD
	v_cmp_eq_u64_e32 vcc, 0, v[38:39]
	v_cndmask_b32_e32 v6, v0, v6, vcc
; %bb.6820:                             ;   in Loop: Header=BB6_6254 Depth=2
	s_or_b64 exec, exec, s[20:21]
	v_cmp_lt_u64_e32 vcc, s[42:43], v[12:13]
	v_mov_b32_e32 v0, 0
	s_and_saveexec_b64 s[20:21], vcc
	s_cbranch_execz .LBB6_6826
; %bb.6821:                             ;   in Loop: Header=BB6_6254 Depth=2
	v_lshrrev_b32_e32 v2, 24, v13
	v_cmp_ne_u32_e32 vcc, s69, v2
	v_bfrev_b32_e32 v0, 1
	s_and_saveexec_b64 s[52:53], vcc
	s_cbranch_execz .LBB6_6825
; %bb.6822:                             ;   in Loop: Header=BB6_6254 Depth=2
	v_bfe_u32 v1, v13, 24, 7
	v_cmp_ne_u32_e32 vcc, s68, v1
	v_mov_b32_e32 v0, 0x7f800001
	s_and_saveexec_b64 s[54:55], vcc
	s_cbranch_execz .LBB6_6824
; %bb.6823:                             ;   in Loop: Header=BB6_6254 Depth=2
	v_and_b32_e32 v0, 7, v2
	v_ffbh_u32_e32 v7, v0
	v_min_u32_e32 v7, 32, v7
	v_lshrrev_b32_e32 v3, 3, v1
	v_subrev_u32_e32 v8, 28, v7
	v_lshlrev_b64 v[8:9], v8, v[2:3]
	v_sub_u32_e32 v7, 29, v7
	v_and_b32_e32 v8, 7, v8
	v_cmp_gt_u32_e32 vcc, 8, v1
	v_cndmask_b32_e32 v1, v3, v7, vcc
	v_cndmask_b32_e32 v0, v0, v8, vcc
	v_lshlrev_b32_e32 v2, 24, v2
	v_bfrev_b32_e32 v3, 60
	v_lshlrev_b32_e32 v0, 20, v0
	v_and_b32_e32 v2, 0x80000000, v2
	v_lshl_add_u32 v1, v1, 23, v3
	v_or3_b32 v0, v2, v1, v0
.LBB6_6824:                             ;   in Loop: Header=BB6_6254 Depth=2
	s_or_b64 exec, exec, s[54:55]
.LBB6_6825:                             ;   in Loop: Header=BB6_6254 Depth=2
	s_or_b64 exec, exec, s[52:53]
.LBB6_6826:                             ;   in Loop: Header=BB6_6254 Depth=2
	s_or_b64 exec, exec, s[20:21]
	v_mul_f32_e32 v1, v16, v0
	v_and_b32_sdwa v0, v1, s69 dst_sel:DWORD dst_unused:UNUSED_PAD src0_sel:BYTE_3 src1_sel:DWORD
	v_and_b32_e32 v2, 0x7f800000, v1
	v_mov_b32_e32 v3, v39
	v_and_b32_e32 v38, 0x7fffff, v1
	v_or_b32_e32 v7, 0x7e, v0
	v_cmp_ne_u64_e32 vcc, s[38:39], v[2:3]
	s_and_saveexec_b64 s[20:21], vcc
	s_xor_b64 s[52:53], exec, s[20:21]
	s_cbranch_execz .LBB6_6836
; %bb.6827:                             ;   in Loop: Header=BB6_6254 Depth=2
	v_and_b32_e32 v2, 0x7fffffff, v1
	v_mov_b32_e32 v3, v39
	v_cmp_gt_u64_e32 vcc, s[40:41], v[2:3]
	s_and_saveexec_b64 s[54:55], vcc
	s_cbranch_execz .LBB6_6835
; %bb.6828:                             ;   in Loop: Header=BB6_6254 Depth=2
	v_cmp_ne_u32_e32 vcc, 0, v1
	v_mov_b32_e32 v7, 0
	s_and_saveexec_b64 s[56:57], vcc
	s_cbranch_execz .LBB6_6834
; %bb.6829:                             ;   in Loop: Header=BB6_6254 Depth=2
	v_bfe_u32 v1, v1, 23, 8
	v_sub_u32_e32 v3, 0x79, v1
	v_cmp_gt_u32_e32 vcc, s70, v1
	v_add_u32_e32 v2, 0xffffff81, v1
	v_cndmask_b32_e32 v3, 0, v3, vcc
	v_cmp_eq_u32_e32 vcc, 0, v1
	v_mov_b32_e32 v1, 0xffffff82
	v_cndmask_b32_e32 v1, v2, v1, vcc
	v_mov_b32_e32 v2, 0x78
	v_or_b32_e32 v7, 0x800000, v38
	v_cndmask_b32_e32 v8, v3, v2, vcc
	v_cndmask_b32_e32 v38, v7, v38, vcc
	v_add_u32_e32 v2, 20, v8
	v_lshlrev_b64 v[2:3], v2, -1
	v_add_u32_e32 v7, 19, v8
	v_lshrrev_b64 v[12:13], v8, v[38:39]
	v_not_b32_e32 v3, v3
	v_not_b32_e32 v2, v2
	v_lshlrev_b64 v[10:11], v7, 1
	v_lshrrev_b32_e32 v7, 23, v12
	v_and_b32_e32 v3, 0, v3
	v_and_b32_e32 v2, v38, v2
	v_add3_u32 v8, v8, v1, v7
	v_bfe_u32 v1, v12, 20, 1
	v_add_u32_e32 v1, -1, v1
	v_cmp_eq_u64_e32 vcc, v[2:3], v[10:11]
	v_cndmask_b32_e32 v1, 0, v1, vcc
	v_add_u32_e32 v1, v1, v12
	v_and_b32_e32 v1, 0xfffff, v1
	v_add_co_u32_e32 v2, vcc, v1, v12
	v_add_u32_e32 v7, 6, v8
	v_addc_co_u32_e32 v3, vcc, 0, v13, vcc
	v_cmp_ne_u32_e32 vcc, 0, v7
                                        ; implicit-def: $vgpr1
	s_and_saveexec_b64 s[20:21], vcc
	s_xor_b64 s[20:21], exec, s[20:21]
; %bb.6830:                             ;   in Loop: Header=BB6_6254 Depth=2
	v_add_u32_e32 v1, 7, v8
	v_cmp_lt_u64_e32 vcc, s[44:45], v[2:3]
	v_cndmask_b32_e32 v1, v7, v1, vcc
	v_cndmask_b32_e64 v7, 0, 1, vcc
	v_lshrrev_b64 v[2:3], v7, v[2:3]
; %bb.6831:                             ;   in Loop: Header=BB6_6254 Depth=2
	s_andn2_saveexec_b64 s[20:21], s[20:21]
; %bb.6832:                             ;   in Loop: Header=BB6_6254 Depth=2
	v_bfe_u32 v1, v2, 23, 1
; %bb.6833:                             ;   in Loop: Header=BB6_6254 Depth=2
	s_or_b64 exec, exec, s[20:21]
	v_lshrrev_b64 v[2:3], 20, v[2:3]
	v_cmp_gt_i32_e32 vcc, 16, v1
	v_cndmask_b32_e32 v3, 0, v3, vcc
	v_cndmask_b32_e32 v2, 7, v2, vcc
	v_cmp_eq_u32_e32 vcc, 0, v1
	v_min_i32_e32 v1, 15, v1
	v_lshlrev_b32_e32 v1, 3, v1
	v_cmp_eq_u64_e64 s[20:21], 0, v[2:3]
	v_and_b32_e32 v1, 0xf8, v1
	v_and_or_b32 v1, v2, 7, v1
	s_and_b64 s[20:21], vcc, s[20:21]
	v_cndmask_b32_e64 v1, v1, 0, s[20:21]
	v_or_b32_e32 v7, v1, v0
.LBB6_6834:                             ;   in Loop: Header=BB6_6254 Depth=2
	s_or_b64 exec, exec, s[56:57]
.LBB6_6835:                             ;   in Loop: Header=BB6_6254 Depth=2
	s_or_b64 exec, exec, s[54:55]
                                        ; implicit-def: $vgpr1
.LBB6_6836:                             ;   in Loop: Header=BB6_6254 Depth=2
	s_andn2_saveexec_b64 s[20:21], s[52:53]
; %bb.6837:                             ;   in Loop: Header=BB6_6254 Depth=2
	v_or_b32_sdwa v0, v1, s68 dst_sel:DWORD dst_unused:UNUSED_PAD src0_sel:BYTE_3 src1_sel:DWORD
	v_cmp_eq_u64_e32 vcc, 0, v[38:39]
	v_cndmask_b32_e32 v7, v0, v7, vcc
; %bb.6838:                             ;   in Loop: Header=BB6_6254 Depth=2
	s_or_b64 exec, exec, s[20:21]
	global_load_dwordx4 v[10:13], v[14:15], off offset:2048 glc slc
	v_mov_b32_e32 v0, 0
	s_waitcnt vmcnt(0)
	v_cmp_ne_u16_sdwa vcc, v10, v39 src0_sel:BYTE_0 src1_sel:DWORD
	s_and_saveexec_b64 s[20:21], vcc
	s_cbranch_execz .LBB6_6844
; %bb.6839:                             ;   in Loop: Header=BB6_6254 Depth=2
	v_cmp_ne_u16_sdwa vcc, v10, s69 src0_sel:BYTE_0 src1_sel:DWORD
	v_bfrev_b32_e32 v0, 1
	s_and_saveexec_b64 s[52:53], vcc
	s_cbranch_execz .LBB6_6843
; %bb.6840:                             ;   in Loop: Header=BB6_6254 Depth=2
	v_and_b32_e32 v1, 0x7f, v10
	v_cmp_ne_u32_e32 vcc, s68, v1
	v_mov_b32_e32 v0, 0x7f800001
	s_and_saveexec_b64 s[54:55], vcc
	s_cbranch_execz .LBB6_6842
; %bb.6841:                             ;   in Loop: Header=BB6_6254 Depth=2
	v_and_b32_e32 v0, 7, v10
	v_ffbh_u32_e32 v0, v0
	v_min_u32_e32 v0, 32, v0
	v_lshrrev_b32_e32 v2, 3, v1
	v_subrev_u32_e32 v3, 28, v0
	v_sub_u32_e32 v0, 29, v0
	v_cmp_gt_u32_e32 vcc, 8, v1
	v_cndmask_b32_e32 v2, v2, v0, vcc
	v_cndmask_b32_e32 v0, 0, v3, vcc
	v_lshlrev_b64 v[0:1], v0, v[10:11]
	v_lshlrev_b32_e32 v0, 20, v0
	v_lshlrev_b32_e32 v1, 24, v10
	v_bfrev_b32_e32 v3, 60
	v_and_b32_e32 v0, 0x700000, v0
	v_and_b32_e32 v1, 0x80000000, v1
	v_lshl_add_u32 v2, v2, 23, v3
	v_or3_b32 v0, v1, v2, v0
.LBB6_6842:                             ;   in Loop: Header=BB6_6254 Depth=2
	s_or_b64 exec, exec, s[54:55]
.LBB6_6843:                             ;   in Loop: Header=BB6_6254 Depth=2
	s_or_b64 exec, exec, s[52:53]
.LBB6_6844:                             ;   in Loop: Header=BB6_6254 Depth=2
	s_or_b64 exec, exec, s[20:21]
	v_mul_f32_e32 v1, v16, v0
	v_and_b32_sdwa v0, v1, s69 dst_sel:DWORD dst_unused:UNUSED_PAD src0_sel:BYTE_3 src1_sel:DWORD
	v_and_b32_e32 v2, 0x7f800000, v1
	v_mov_b32_e32 v3, v39
	v_and_b32_e32 v38, 0x7fffff, v1
	v_or_b32_e32 v8, 0x7e, v0
	v_cmp_ne_u64_e32 vcc, s[38:39], v[2:3]
	s_and_saveexec_b64 s[20:21], vcc
	s_xor_b64 s[52:53], exec, s[20:21]
	s_cbranch_execz .LBB6_6854
; %bb.6845:                             ;   in Loop: Header=BB6_6254 Depth=2
	v_and_b32_e32 v2, 0x7fffffff, v1
	v_mov_b32_e32 v3, v39
	v_cmp_gt_u64_e32 vcc, s[40:41], v[2:3]
	s_and_saveexec_b64 s[54:55], vcc
	s_cbranch_execz .LBB6_6853
; %bb.6846:                             ;   in Loop: Header=BB6_6254 Depth=2
	v_cmp_ne_u32_e32 vcc, 0, v1
	v_mov_b32_e32 v8, 0
	s_and_saveexec_b64 s[56:57], vcc
	s_cbranch_execz .LBB6_6852
; %bb.6847:                             ;   in Loop: Header=BB6_6254 Depth=2
	v_bfe_u32 v1, v1, 23, 8
	v_sub_u32_e32 v3, 0x79, v1
	v_cmp_gt_u32_e32 vcc, s70, v1
	v_add_u32_e32 v2, 0xffffff81, v1
	v_cndmask_b32_e32 v3, 0, v3, vcc
	v_cmp_eq_u32_e32 vcc, 0, v1
	v_mov_b32_e32 v1, 0xffffff82
	v_cndmask_b32_e32 v1, v2, v1, vcc
	v_mov_b32_e32 v2, 0x78
	v_or_b32_e32 v8, 0x800000, v38
	v_cndmask_b32_e32 v9, v3, v2, vcc
	v_cndmask_b32_e32 v38, v8, v38, vcc
	v_add_u32_e32 v2, 20, v9
	v_lshlrev_b64 v[2:3], v2, -1
	v_add_u32_e32 v8, 19, v9
	v_lshrrev_b64 v[20:21], v9, v[38:39]
	v_not_b32_e32 v3, v3
	v_not_b32_e32 v2, v2
	v_lshlrev_b64 v[18:19], v8, 1
	v_lshrrev_b32_e32 v8, 23, v20
	v_and_b32_e32 v3, 0, v3
	v_and_b32_e32 v2, v38, v2
	v_add3_u32 v9, v9, v1, v8
	v_bfe_u32 v1, v20, 20, 1
	v_add_u32_e32 v1, -1, v1
	v_cmp_eq_u64_e32 vcc, v[2:3], v[18:19]
	v_cndmask_b32_e32 v1, 0, v1, vcc
	v_add_u32_e32 v1, v1, v20
	v_and_b32_e32 v1, 0xfffff, v1
	v_add_co_u32_e32 v2, vcc, v1, v20
	v_add_u32_e32 v8, 6, v9
	v_addc_co_u32_e32 v3, vcc, 0, v21, vcc
	v_cmp_ne_u32_e32 vcc, 0, v8
                                        ; implicit-def: $vgpr1
	s_and_saveexec_b64 s[20:21], vcc
	s_xor_b64 s[20:21], exec, s[20:21]
; %bb.6848:                             ;   in Loop: Header=BB6_6254 Depth=2
	v_add_u32_e32 v1, 7, v9
	v_cmp_lt_u64_e32 vcc, s[44:45], v[2:3]
	v_cndmask_b32_e32 v1, v8, v1, vcc
	v_cndmask_b32_e64 v8, 0, 1, vcc
	v_lshrrev_b64 v[2:3], v8, v[2:3]
; %bb.6849:                             ;   in Loop: Header=BB6_6254 Depth=2
	s_andn2_saveexec_b64 s[20:21], s[20:21]
; %bb.6850:                             ;   in Loop: Header=BB6_6254 Depth=2
	v_bfe_u32 v1, v2, 23, 1
; %bb.6851:                             ;   in Loop: Header=BB6_6254 Depth=2
	s_or_b64 exec, exec, s[20:21]
	v_lshrrev_b64 v[2:3], 20, v[2:3]
	v_cmp_gt_i32_e32 vcc, 16, v1
	v_cndmask_b32_e32 v3, 0, v3, vcc
	v_cndmask_b32_e32 v2, 7, v2, vcc
	v_cmp_eq_u32_e32 vcc, 0, v1
	v_min_i32_e32 v1, 15, v1
	v_cmp_eq_u64_e64 s[20:21], 0, v[2:3]
	v_lshlrev_b32_e32 v1, 3, v1
	v_and_or_b32 v1, v2, 7, v1
	s_and_b64 s[20:21], vcc, s[20:21]
	v_cndmask_b32_e64 v1, v1, 0, s[20:21]
	v_or_b32_e32 v8, v1, v0
.LBB6_6852:                             ;   in Loop: Header=BB6_6254 Depth=2
	s_or_b64 exec, exec, s[56:57]
.LBB6_6853:                             ;   in Loop: Header=BB6_6254 Depth=2
	s_or_b64 exec, exec, s[54:55]
                                        ; implicit-def: $vgpr1
.LBB6_6854:                             ;   in Loop: Header=BB6_6254 Depth=2
	s_andn2_saveexec_b64 s[20:21], s[52:53]
; %bb.6855:                             ;   in Loop: Header=BB6_6254 Depth=2
	v_or_b32_sdwa v0, v1, s68 dst_sel:DWORD dst_unused:UNUSED_PAD src0_sel:BYTE_3 src1_sel:DWORD
	v_cmp_eq_u64_e32 vcc, 0, v[38:39]
	v_cndmask_b32_e32 v8, v0, v8, vcc
; %bb.6856:                             ;   in Loop: Header=BB6_6254 Depth=2
	s_or_b64 exec, exec, s[20:21]
	v_lshrrev_b16_e32 v2, 8, v10
	v_cmp_ne_u16_e32 vcc, 0, v2
	v_mov_b32_e32 v0, 0
	s_and_saveexec_b64 s[20:21], vcc
	s_cbranch_execz .LBB6_6862
; %bb.6857:                             ;   in Loop: Header=BB6_6254 Depth=2
	v_cmp_ne_u16_e32 vcc, s69, v2
	v_bfrev_b32_e32 v0, 1
	s_and_saveexec_b64 s[52:53], vcc
	s_cbranch_execz .LBB6_6861
; %bb.6858:                             ;   in Loop: Header=BB6_6254 Depth=2
	v_and_b32_e32 v1, 0x7f, v2
	v_cmp_ne_u32_e32 vcc, s68, v1
	v_mov_b32_e32 v0, 0x7f800001
	s_and_saveexec_b64 s[54:55], vcc
	s_cbranch_execz .LBB6_6860
; %bb.6859:                             ;   in Loop: Header=BB6_6254 Depth=2
	v_and_b32_e32 v0, 7, v2
	v_ffbh_u32_e32 v3, v0
	v_min_u32_e32 v18, 32, v3
	v_subrev_u32_e32 v3, 28, v18
	v_lshlrev_b64 v[2:3], v3, v[2:3]
	v_lshrrev_b32_e32 v9, 3, v1
	v_sub_u32_e32 v3, 29, v18
	v_and_b32_e32 v2, 7, v2
	v_cmp_gt_u32_e32 vcc, 8, v1
	v_cndmask_b32_e32 v1, v9, v3, vcc
	v_cndmask_b32_e32 v0, v0, v2, vcc
	v_lshlrev_b32_e32 v2, 16, v10
	v_bfrev_b32_e32 v3, 60
	v_lshlrev_b32_e32 v0, 20, v0
	v_and_b32_e32 v2, 0x80000000, v2
	v_lshl_add_u32 v1, v1, 23, v3
	v_or3_b32 v0, v2, v1, v0
.LBB6_6860:                             ;   in Loop: Header=BB6_6254 Depth=2
	s_or_b64 exec, exec, s[54:55]
.LBB6_6861:                             ;   in Loop: Header=BB6_6254 Depth=2
	s_or_b64 exec, exec, s[52:53]
.LBB6_6862:                             ;   in Loop: Header=BB6_6254 Depth=2
	s_or_b64 exec, exec, s[20:21]
	v_mul_f32_e32 v1, v16, v0
	v_and_b32_sdwa v0, v1, s69 dst_sel:DWORD dst_unused:UNUSED_PAD src0_sel:BYTE_3 src1_sel:DWORD
	v_and_b32_e32 v2, 0x7f800000, v1
	v_mov_b32_e32 v3, v39
	v_and_b32_e32 v38, 0x7fffff, v1
	v_or_b32_e32 v9, 0x7e, v0
	v_cmp_ne_u64_e32 vcc, s[38:39], v[2:3]
	s_and_saveexec_b64 s[20:21], vcc
	s_xor_b64 s[52:53], exec, s[20:21]
	s_cbranch_execz .LBB6_6872
; %bb.6863:                             ;   in Loop: Header=BB6_6254 Depth=2
	v_and_b32_e32 v2, 0x7fffffff, v1
	v_mov_b32_e32 v3, v39
	v_cmp_gt_u64_e32 vcc, s[40:41], v[2:3]
	s_and_saveexec_b64 s[54:55], vcc
	s_cbranch_execz .LBB6_6871
; %bb.6864:                             ;   in Loop: Header=BB6_6254 Depth=2
	v_cmp_ne_u32_e32 vcc, 0, v1
	v_mov_b32_e32 v9, 0
	s_and_saveexec_b64 s[56:57], vcc
	s_cbranch_execz .LBB6_6870
; %bb.6865:                             ;   in Loop: Header=BB6_6254 Depth=2
	v_bfe_u32 v1, v1, 23, 8
	v_sub_u32_e32 v3, 0x79, v1
	v_cmp_gt_u32_e32 vcc, s70, v1
	v_add_u32_e32 v2, 0xffffff81, v1
	v_cndmask_b32_e32 v3, 0, v3, vcc
	v_cmp_eq_u32_e32 vcc, 0, v1
	v_mov_b32_e32 v1, 0xffffff82
	v_cndmask_b32_e32 v1, v2, v1, vcc
	v_mov_b32_e32 v2, 0x78
	v_or_b32_e32 v9, 0x800000, v38
	v_cndmask_b32_e32 v18, v3, v2, vcc
	v_cndmask_b32_e32 v38, v9, v38, vcc
	v_add_u32_e32 v2, 20, v18
	v_lshlrev_b64 v[2:3], v2, -1
	v_add_u32_e32 v9, 19, v18
	v_lshrrev_b64 v[22:23], v18, v[38:39]
	v_not_b32_e32 v3, v3
	v_not_b32_e32 v2, v2
	v_lshlrev_b64 v[20:21], v9, 1
	v_lshrrev_b32_e32 v9, 23, v22
	v_and_b32_e32 v3, 0, v3
	v_and_b32_e32 v2, v38, v2
	v_add3_u32 v18, v18, v1, v9
	v_bfe_u32 v1, v22, 20, 1
	v_add_u32_e32 v1, -1, v1
	v_cmp_eq_u64_e32 vcc, v[2:3], v[20:21]
	v_cndmask_b32_e32 v1, 0, v1, vcc
	v_add_u32_e32 v1, v1, v22
	v_and_b32_e32 v1, 0xfffff, v1
	v_add_co_u32_e32 v2, vcc, v1, v22
	v_add_u32_e32 v9, 6, v18
	v_addc_co_u32_e32 v3, vcc, 0, v23, vcc
	v_cmp_ne_u32_e32 vcc, 0, v9
                                        ; implicit-def: $vgpr1
	s_and_saveexec_b64 s[20:21], vcc
	s_xor_b64 s[20:21], exec, s[20:21]
; %bb.6866:                             ;   in Loop: Header=BB6_6254 Depth=2
	v_add_u32_e32 v1, 7, v18
	v_cmp_lt_u64_e32 vcc, s[44:45], v[2:3]
	v_cndmask_b32_e32 v1, v9, v1, vcc
	v_cndmask_b32_e64 v9, 0, 1, vcc
	v_lshrrev_b64 v[2:3], v9, v[2:3]
; %bb.6867:                             ;   in Loop: Header=BB6_6254 Depth=2
	s_andn2_saveexec_b64 s[20:21], s[20:21]
; %bb.6868:                             ;   in Loop: Header=BB6_6254 Depth=2
	v_bfe_u32 v1, v2, 23, 1
; %bb.6869:                             ;   in Loop: Header=BB6_6254 Depth=2
	s_or_b64 exec, exec, s[20:21]
	v_lshrrev_b64 v[2:3], 20, v[2:3]
	v_cmp_gt_i32_e32 vcc, 16, v1
	v_cndmask_b32_e32 v3, 0, v3, vcc
	v_cndmask_b32_e32 v2, 7, v2, vcc
	v_cmp_eq_u32_e32 vcc, 0, v1
	v_min_i32_e32 v1, 15, v1
	v_cmp_eq_u64_e64 s[20:21], 0, v[2:3]
	v_lshlrev_b32_e32 v1, 3, v1
	v_and_or_b32 v1, v2, 7, v1
	s_and_b64 s[20:21], vcc, s[20:21]
	v_cndmask_b32_e64 v1, v1, 0, s[20:21]
	v_or_b32_e32 v9, v1, v0
.LBB6_6870:                             ;   in Loop: Header=BB6_6254 Depth=2
	s_or_b64 exec, exec, s[56:57]
.LBB6_6871:                             ;   in Loop: Header=BB6_6254 Depth=2
	s_or_b64 exec, exec, s[54:55]
                                        ; implicit-def: $vgpr1
.LBB6_6872:                             ;   in Loop: Header=BB6_6254 Depth=2
	s_andn2_saveexec_b64 s[20:21], s[52:53]
; %bb.6873:                             ;   in Loop: Header=BB6_6254 Depth=2
	v_or_b32_sdwa v0, v1, s68 dst_sel:DWORD dst_unused:UNUSED_PAD src0_sel:BYTE_3 src1_sel:DWORD
	v_cmp_eq_u64_e32 vcc, 0, v[38:39]
	v_cndmask_b32_e32 v9, v0, v9, vcc
; %bb.6874:                             ;   in Loop: Header=BB6_6254 Depth=2
	s_or_b64 exec, exec, s[20:21]
	v_lshrrev_b32_e32 v2, 16, v10
	v_cmp_ne_u16_sdwa vcc, v2, v39 src0_sel:BYTE_0 src1_sel:DWORD
	v_mov_b32_e32 v0, 0
	s_and_saveexec_b64 s[20:21], vcc
	s_cbranch_execz .LBB6_6880
; %bb.6875:                             ;   in Loop: Header=BB6_6254 Depth=2
	v_cmp_ne_u16_sdwa vcc, v2, s69 src0_sel:BYTE_0 src1_sel:DWORD
	v_bfrev_b32_e32 v0, 1
	s_and_saveexec_b64 s[52:53], vcc
	s_cbranch_execz .LBB6_6879
; %bb.6876:                             ;   in Loop: Header=BB6_6254 Depth=2
	v_bfe_u32 v1, v10, 16, 7
	v_cmp_ne_u32_e32 vcc, s68, v1
	v_mov_b32_e32 v0, 0x7f800001
	s_and_saveexec_b64 s[54:55], vcc
	s_cbranch_execz .LBB6_6878
; %bb.6877:                             ;   in Loop: Header=BB6_6254 Depth=2
	v_and_b32_e32 v0, 7, v2
	v_ffbh_u32_e32 v18, v0
	v_min_u32_e32 v20, 32, v18
	v_lshrrev_b32_e32 v3, 3, v1
	v_subrev_u32_e32 v18, 28, v20
	v_lshlrev_b64 v[18:19], v18, v[2:3]
	v_sub_u32_e32 v19, 29, v20
	v_and_b32_e32 v18, 7, v18
	v_cmp_gt_u32_e32 vcc, 8, v1
	v_cndmask_b32_e32 v1, v3, v19, vcc
	v_cndmask_b32_e32 v0, v0, v18, vcc
	v_lshlrev_b32_e32 v2, 24, v2
	v_bfrev_b32_e32 v3, 60
	v_lshlrev_b32_e32 v0, 20, v0
	v_and_b32_e32 v2, 0x80000000, v2
	v_lshl_add_u32 v1, v1, 23, v3
	v_or3_b32 v0, v2, v1, v0
.LBB6_6878:                             ;   in Loop: Header=BB6_6254 Depth=2
	s_or_b64 exec, exec, s[54:55]
.LBB6_6879:                             ;   in Loop: Header=BB6_6254 Depth=2
	s_or_b64 exec, exec, s[52:53]
.LBB6_6880:                             ;   in Loop: Header=BB6_6254 Depth=2
	s_or_b64 exec, exec, s[20:21]
	v_mul_f32_e32 v1, v16, v0
	v_and_b32_sdwa v0, v1, s69 dst_sel:DWORD dst_unused:UNUSED_PAD src0_sel:BYTE_3 src1_sel:DWORD
	v_and_b32_e32 v2, 0x7f800000, v1
	v_mov_b32_e32 v3, v39
	v_and_b32_e32 v38, 0x7fffff, v1
	v_or_b32_e32 v57, 0x7e, v0
	v_cmp_ne_u64_e32 vcc, s[38:39], v[2:3]
	s_and_saveexec_b64 s[20:21], vcc
	s_xor_b64 s[52:53], exec, s[20:21]
	s_cbranch_execz .LBB6_6890
; %bb.6881:                             ;   in Loop: Header=BB6_6254 Depth=2
	v_and_b32_e32 v2, 0x7fffffff, v1
	v_mov_b32_e32 v3, v39
	v_cmp_gt_u64_e32 vcc, s[40:41], v[2:3]
	s_and_saveexec_b64 s[54:55], vcc
	s_cbranch_execz .LBB6_6889
; %bb.6882:                             ;   in Loop: Header=BB6_6254 Depth=2
	v_cmp_ne_u32_e32 vcc, 0, v1
	v_mov_b32_e32 v57, 0
	s_and_saveexec_b64 s[56:57], vcc
	s_cbranch_execz .LBB6_6888
; %bb.6883:                             ;   in Loop: Header=BB6_6254 Depth=2
	v_bfe_u32 v1, v1, 23, 8
	v_sub_u32_e32 v3, 0x79, v1
	v_cmp_gt_u32_e32 vcc, s70, v1
	v_add_u32_e32 v2, 0xffffff81, v1
	v_cndmask_b32_e32 v3, 0, v3, vcc
	v_cmp_eq_u32_e32 vcc, 0, v1
	v_mov_b32_e32 v1, 0xffffff82
	v_cndmask_b32_e32 v1, v2, v1, vcc
	v_mov_b32_e32 v2, 0x78
	v_or_b32_e32 v18, 0x800000, v38
	v_cndmask_b32_e32 v19, v3, v2, vcc
	v_cndmask_b32_e32 v38, v18, v38, vcc
	v_add_u32_e32 v2, 20, v19
	v_lshlrev_b64 v[2:3], v2, -1
	v_add_u32_e32 v18, 19, v19
	v_lshrrev_b64 v[22:23], v19, v[38:39]
	v_not_b32_e32 v3, v3
	v_not_b32_e32 v2, v2
	v_lshlrev_b64 v[20:21], v18, 1
	v_lshrrev_b32_e32 v18, 23, v22
	v_and_b32_e32 v3, 0, v3
	v_and_b32_e32 v2, v38, v2
	v_add3_u32 v19, v19, v1, v18
	v_bfe_u32 v1, v22, 20, 1
	v_add_u32_e32 v1, -1, v1
	v_cmp_eq_u64_e32 vcc, v[2:3], v[20:21]
	v_cndmask_b32_e32 v1, 0, v1, vcc
	v_add_u32_e32 v1, v1, v22
	v_and_b32_e32 v1, 0xfffff, v1
	v_add_co_u32_e32 v2, vcc, v1, v22
	v_add_u32_e32 v18, 6, v19
	v_addc_co_u32_e32 v3, vcc, 0, v23, vcc
	v_cmp_ne_u32_e32 vcc, 0, v18
                                        ; implicit-def: $vgpr1
	s_and_saveexec_b64 s[20:21], vcc
	s_xor_b64 s[20:21], exec, s[20:21]
; %bb.6884:                             ;   in Loop: Header=BB6_6254 Depth=2
	v_add_u32_e32 v1, 7, v19
	v_cmp_lt_u64_e32 vcc, s[44:45], v[2:3]
	v_cndmask_b32_e32 v1, v18, v1, vcc
	v_cndmask_b32_e64 v18, 0, 1, vcc
	v_lshrrev_b64 v[2:3], v18, v[2:3]
; %bb.6885:                             ;   in Loop: Header=BB6_6254 Depth=2
	s_andn2_saveexec_b64 s[20:21], s[20:21]
; %bb.6886:                             ;   in Loop: Header=BB6_6254 Depth=2
	v_bfe_u32 v1, v2, 23, 1
; %bb.6887:                             ;   in Loop: Header=BB6_6254 Depth=2
	s_or_b64 exec, exec, s[20:21]
	v_lshrrev_b64 v[2:3], 20, v[2:3]
	v_cmp_gt_i32_e32 vcc, 16, v1
	v_cndmask_b32_e32 v3, 0, v3, vcc
	v_cndmask_b32_e32 v2, 7, v2, vcc
	v_cmp_eq_u32_e32 vcc, 0, v1
	v_min_i32_e32 v1, 15, v1
	v_cmp_eq_u64_e64 s[20:21], 0, v[2:3]
	v_lshlrev_b32_e32 v1, 3, v1
	v_and_or_b32 v1, v2, 7, v1
	s_and_b64 s[20:21], vcc, s[20:21]
	v_cndmask_b32_e64 v1, v1, 0, s[20:21]
	v_or_b32_e32 v57, v1, v0
.LBB6_6888:                             ;   in Loop: Header=BB6_6254 Depth=2
	s_or_b64 exec, exec, s[56:57]
.LBB6_6889:                             ;   in Loop: Header=BB6_6254 Depth=2
	s_or_b64 exec, exec, s[54:55]
                                        ; implicit-def: $vgpr1
.LBB6_6890:                             ;   in Loop: Header=BB6_6254 Depth=2
	s_andn2_saveexec_b64 s[20:21], s[52:53]
; %bb.6891:                             ;   in Loop: Header=BB6_6254 Depth=2
	v_or_b32_sdwa v0, v1, s68 dst_sel:DWORD dst_unused:UNUSED_PAD src0_sel:BYTE_3 src1_sel:DWORD
	v_cmp_eq_u64_e32 vcc, 0, v[38:39]
	v_cndmask_b32_e32 v57, v0, v57, vcc
; %bb.6892:                             ;   in Loop: Header=BB6_6254 Depth=2
	s_or_b64 exec, exec, s[20:21]
	v_cmp_lt_u32_e32 vcc, s43, v10
	v_mov_b32_e32 v0, 0
	s_and_saveexec_b64 s[20:21], vcc
	s_cbranch_execz .LBB6_6898
; %bb.6893:                             ;   in Loop: Header=BB6_6254 Depth=2
	v_lshrrev_b32_e32 v2, 24, v10
	v_cmp_ne_u32_e32 vcc, s69, v2
	v_bfrev_b32_e32 v0, 1
	s_and_saveexec_b64 s[52:53], vcc
	s_cbranch_execz .LBB6_6897
; %bb.6894:                             ;   in Loop: Header=BB6_6254 Depth=2
	v_bfe_u32 v1, v10, 24, 7
	v_cmp_ne_u32_e32 vcc, s68, v1
	v_mov_b32_e32 v0, 0x7f800001
	s_and_saveexec_b64 s[54:55], vcc
	s_cbranch_execz .LBB6_6896
; %bb.6895:                             ;   in Loop: Header=BB6_6254 Depth=2
	v_and_b32_e32 v0, 7, v2
	v_ffbh_u32_e32 v18, v0
	v_min_u32_e32 v20, 32, v18
	v_lshrrev_b32_e32 v3, 3, v1
	v_subrev_u32_e32 v18, 28, v20
	v_lshlrev_b64 v[18:19], v18, v[2:3]
	v_sub_u32_e32 v19, 29, v20
	v_and_b32_e32 v18, 7, v18
	v_cmp_gt_u32_e32 vcc, 8, v1
	v_cndmask_b32_e32 v1, v3, v19, vcc
	v_cndmask_b32_e32 v0, v0, v18, vcc
	v_lshlrev_b32_e32 v2, 24, v2
	v_bfrev_b32_e32 v3, 60
	v_lshlrev_b32_e32 v0, 20, v0
	v_and_b32_e32 v2, 0x80000000, v2
	v_lshl_add_u32 v1, v1, 23, v3
	v_or3_b32 v0, v2, v1, v0
.LBB6_6896:                             ;   in Loop: Header=BB6_6254 Depth=2
	s_or_b64 exec, exec, s[54:55]
.LBB6_6897:                             ;   in Loop: Header=BB6_6254 Depth=2
	s_or_b64 exec, exec, s[52:53]
.LBB6_6898:                             ;   in Loop: Header=BB6_6254 Depth=2
	s_or_b64 exec, exec, s[20:21]
	v_mul_f32_e32 v1, v16, v0
	v_and_b32_sdwa v0, v1, s69 dst_sel:DWORD dst_unused:UNUSED_PAD src0_sel:BYTE_3 src1_sel:DWORD
	v_and_b32_e32 v2, 0x7f800000, v1
	v_mov_b32_e32 v3, v39
	v_and_b32_e32 v38, 0x7fffff, v1
	v_or_b32_e32 v58, 0x7e, v0
	v_cmp_ne_u64_e32 vcc, s[38:39], v[2:3]
	s_and_saveexec_b64 s[20:21], vcc
	s_xor_b64 s[52:53], exec, s[20:21]
	s_cbranch_execz .LBB6_6908
; %bb.6899:                             ;   in Loop: Header=BB6_6254 Depth=2
	v_and_b32_e32 v2, 0x7fffffff, v1
	v_mov_b32_e32 v3, v39
	v_cmp_gt_u64_e32 vcc, s[40:41], v[2:3]
	s_and_saveexec_b64 s[54:55], vcc
	s_cbranch_execz .LBB6_6907
; %bb.6900:                             ;   in Loop: Header=BB6_6254 Depth=2
	v_cmp_ne_u32_e32 vcc, 0, v1
	v_mov_b32_e32 v58, 0
	s_and_saveexec_b64 s[56:57], vcc
	s_cbranch_execz .LBB6_6906
; %bb.6901:                             ;   in Loop: Header=BB6_6254 Depth=2
	v_bfe_u32 v1, v1, 23, 8
	v_sub_u32_e32 v3, 0x79, v1
	v_cmp_gt_u32_e32 vcc, s70, v1
	v_add_u32_e32 v2, 0xffffff81, v1
	v_cndmask_b32_e32 v3, 0, v3, vcc
	v_cmp_eq_u32_e32 vcc, 0, v1
	v_mov_b32_e32 v1, 0xffffff82
	v_cndmask_b32_e32 v1, v2, v1, vcc
	v_mov_b32_e32 v2, 0x78
	v_or_b32_e32 v18, 0x800000, v38
	v_cndmask_b32_e32 v19, v3, v2, vcc
	v_cndmask_b32_e32 v38, v18, v38, vcc
	v_add_u32_e32 v2, 20, v19
	v_lshlrev_b64 v[2:3], v2, -1
	v_add_u32_e32 v18, 19, v19
	v_lshrrev_b64 v[22:23], v19, v[38:39]
	v_not_b32_e32 v3, v3
	v_not_b32_e32 v2, v2
	v_lshlrev_b64 v[20:21], v18, 1
	v_lshrrev_b32_e32 v18, 23, v22
	v_and_b32_e32 v3, 0, v3
	v_and_b32_e32 v2, v38, v2
	v_add3_u32 v19, v19, v1, v18
	v_bfe_u32 v1, v22, 20, 1
	v_add_u32_e32 v1, -1, v1
	v_cmp_eq_u64_e32 vcc, v[2:3], v[20:21]
	v_cndmask_b32_e32 v1, 0, v1, vcc
	v_add_u32_e32 v1, v1, v22
	v_and_b32_e32 v1, 0xfffff, v1
	v_add_co_u32_e32 v2, vcc, v1, v22
	v_add_u32_e32 v18, 6, v19
	v_addc_co_u32_e32 v3, vcc, 0, v23, vcc
	v_cmp_ne_u32_e32 vcc, 0, v18
                                        ; implicit-def: $vgpr1
	s_and_saveexec_b64 s[20:21], vcc
	s_xor_b64 s[20:21], exec, s[20:21]
; %bb.6902:                             ;   in Loop: Header=BB6_6254 Depth=2
	v_add_u32_e32 v1, 7, v19
	v_cmp_lt_u64_e32 vcc, s[44:45], v[2:3]
	v_cndmask_b32_e32 v1, v18, v1, vcc
	v_cndmask_b32_e64 v18, 0, 1, vcc
	v_lshrrev_b64 v[2:3], v18, v[2:3]
; %bb.6903:                             ;   in Loop: Header=BB6_6254 Depth=2
	s_andn2_saveexec_b64 s[20:21], s[20:21]
; %bb.6904:                             ;   in Loop: Header=BB6_6254 Depth=2
	v_bfe_u32 v1, v2, 23, 1
; %bb.6905:                             ;   in Loop: Header=BB6_6254 Depth=2
	s_or_b64 exec, exec, s[20:21]
	v_lshrrev_b64 v[2:3], 20, v[2:3]
	v_cmp_gt_i32_e32 vcc, 16, v1
	v_cndmask_b32_e32 v3, 0, v3, vcc
	v_cndmask_b32_e32 v2, 7, v2, vcc
	v_cmp_eq_u32_e32 vcc, 0, v1
	v_min_i32_e32 v1, 15, v1
	v_cmp_eq_u64_e64 s[20:21], 0, v[2:3]
	v_lshlrev_b32_e32 v1, 3, v1
	v_and_or_b32 v1, v2, 7, v1
	s_and_b64 s[20:21], vcc, s[20:21]
	v_cndmask_b32_e64 v1, v1, 0, s[20:21]
	v_or_b32_e32 v58, v1, v0
.LBB6_6906:                             ;   in Loop: Header=BB6_6254 Depth=2
	s_or_b64 exec, exec, s[56:57]
.LBB6_6907:                             ;   in Loop: Header=BB6_6254 Depth=2
	s_or_b64 exec, exec, s[54:55]
                                        ; implicit-def: $vgpr1
.LBB6_6908:                             ;   in Loop: Header=BB6_6254 Depth=2
	s_andn2_saveexec_b64 s[20:21], s[52:53]
; %bb.6909:                             ;   in Loop: Header=BB6_6254 Depth=2
	v_or_b32_sdwa v0, v1, s68 dst_sel:DWORD dst_unused:UNUSED_PAD src0_sel:BYTE_3 src1_sel:DWORD
	v_cmp_eq_u64_e32 vcc, 0, v[38:39]
	v_cndmask_b32_e32 v58, v0, v58, vcc
; %bb.6910:                             ;   in Loop: Header=BB6_6254 Depth=2
	s_or_b64 exec, exec, s[20:21]
	v_mov_b32_e32 v38, v11
	v_cmp_ne_u16_sdwa vcc, v11, v39 src0_sel:BYTE_0 src1_sel:DWORD
	v_mov_b32_e32 v0, 0
	s_and_saveexec_b64 s[20:21], vcc
	s_cbranch_execz .LBB6_6916
; %bb.6911:                             ;   in Loop: Header=BB6_6254 Depth=2
	v_cmp_ne_u16_sdwa vcc, v11, s69 src0_sel:BYTE_0 src1_sel:DWORD
	v_bfrev_b32_e32 v0, 1
	s_and_saveexec_b64 s[52:53], vcc
	s_cbranch_execz .LBB6_6915
; %bb.6912:                             ;   in Loop: Header=BB6_6254 Depth=2
	v_and_b32_e32 v1, 0x7f, v11
	v_cmp_ne_u32_e32 vcc, s68, v1
	v_mov_b32_e32 v0, 0x7f800001
	s_and_saveexec_b64 s[54:55], vcc
	s_cbranch_execz .LBB6_6914
; %bb.6913:                             ;   in Loop: Header=BB6_6254 Depth=2
	v_and_b32_e32 v0, 7, v11
	v_ffbh_u32_e32 v0, v0
	v_min_u32_e32 v0, 32, v0
	v_lshrrev_b32_e32 v2, 3, v1
	v_subrev_u32_e32 v3, 28, v0
	v_sub_u32_e32 v0, 29, v0
	v_cmp_gt_u32_e32 vcc, 8, v1
	v_cndmask_b32_e32 v2, v2, v0, vcc
	v_cndmask_b32_e32 v0, 0, v3, vcc
	v_lshlrev_b64 v[0:1], v0, v[38:39]
	v_lshlrev_b32_e32 v0, 20, v0
	v_lshlrev_b32_e32 v1, 24, v38
	v_bfrev_b32_e32 v3, 60
	v_and_b32_e32 v0, 0x700000, v0
	v_and_b32_e32 v1, 0x80000000, v1
	v_lshl_add_u32 v2, v2, 23, v3
	v_or3_b32 v0, v1, v2, v0
.LBB6_6914:                             ;   in Loop: Header=BB6_6254 Depth=2
	s_or_b64 exec, exec, s[54:55]
.LBB6_6915:                             ;   in Loop: Header=BB6_6254 Depth=2
	s_or_b64 exec, exec, s[52:53]
.LBB6_6916:                             ;   in Loop: Header=BB6_6254 Depth=2
	s_or_b64 exec, exec, s[20:21]
	v_mul_f32_e32 v1, v16, v0
	v_and_b32_sdwa v0, v1, s69 dst_sel:DWORD dst_unused:UNUSED_PAD src0_sel:BYTE_3 src1_sel:DWORD
	v_and_b32_e32 v18, 0x7f800000, v1
	v_mov_b32_e32 v19, v39
	v_and_b32_e32 v2, 0x7fffff, v1
	v_mov_b32_e32 v3, v39
	v_or_b32_e32 v22, 0x7e, v0
	v_cmp_ne_u64_e32 vcc, s[38:39], v[18:19]
	s_and_saveexec_b64 s[20:21], vcc
	s_xor_b64 s[52:53], exec, s[20:21]
	s_cbranch_execz .LBB6_6926
; %bb.6917:                             ;   in Loop: Header=BB6_6254 Depth=2
	v_and_b32_e32 v18, 0x7fffffff, v1
	v_mov_b32_e32 v19, v39
	v_cmp_gt_u64_e32 vcc, s[40:41], v[18:19]
	s_and_saveexec_b64 s[54:55], vcc
	s_cbranch_execz .LBB6_6925
; %bb.6918:                             ;   in Loop: Header=BB6_6254 Depth=2
	v_cmp_ne_u32_e32 vcc, 0, v1
	v_mov_b32_e32 v22, 0
	s_and_saveexec_b64 s[56:57], vcc
	s_cbranch_execz .LBB6_6924
; %bb.6919:                             ;   in Loop: Header=BB6_6254 Depth=2
	v_bfe_u32 v1, v1, 23, 8
	v_sub_u32_e32 v19, 0x79, v1
	v_cmp_gt_u32_e32 vcc, s70, v1
	v_add_u32_e32 v18, 0xffffff81, v1
	v_cndmask_b32_e32 v19, 0, v19, vcc
	v_cmp_eq_u32_e32 vcc, 0, v1
	v_mov_b32_e32 v1, 0xffffff82
	v_cndmask_b32_e32 v1, v18, v1, vcc
	v_mov_b32_e32 v18, 0x78
	v_cndmask_b32_e32 v25, v19, v18, vcc
	v_add_u32_e32 v18, 20, v25
	v_or_b32_e32 v20, 0x800000, v2
	v_lshlrev_b64 v[18:19], v18, -1
	v_cndmask_b32_e32 v2, v20, v2, vcc
	v_not_b32_e32 v18, v18
	v_and_b32_e32 v20, v2, v18
	v_add_u32_e32 v18, 19, v25
	v_lshrrev_b64 v[2:3], v25, v[2:3]
	v_not_b32_e32 v19, v19
	v_lshlrev_b64 v[22:23], v18, 1
	v_lshrrev_b32_e32 v18, 23, v2
	v_and_b32_e32 v21, 0, v19
	v_add3_u32 v19, v25, v1, v18
	v_bfe_u32 v1, v2, 20, 1
	v_add_u32_e32 v1, -1, v1
	v_cmp_eq_u64_e32 vcc, v[20:21], v[22:23]
	v_cndmask_b32_e32 v1, 0, v1, vcc
	v_add_u32_e32 v1, v1, v2
	v_and_b32_e32 v1, 0xfffff, v1
	v_add_co_u32_e32 v2, vcc, v1, v2
	v_add_u32_e32 v18, 6, v19
	v_addc_co_u32_e32 v3, vcc, 0, v3, vcc
	v_cmp_ne_u32_e32 vcc, 0, v18
                                        ; implicit-def: $vgpr1
	s_and_saveexec_b64 s[20:21], vcc
	s_xor_b64 s[20:21], exec, s[20:21]
; %bb.6920:                             ;   in Loop: Header=BB6_6254 Depth=2
	v_add_u32_e32 v1, 7, v19
	v_cmp_lt_u64_e32 vcc, s[44:45], v[2:3]
	v_cndmask_b32_e32 v1, v18, v1, vcc
	v_cndmask_b32_e64 v18, 0, 1, vcc
	v_lshrrev_b64 v[2:3], v18, v[2:3]
; %bb.6921:                             ;   in Loop: Header=BB6_6254 Depth=2
	s_andn2_saveexec_b64 s[20:21], s[20:21]
; %bb.6922:                             ;   in Loop: Header=BB6_6254 Depth=2
	v_bfe_u32 v1, v2, 23, 1
; %bb.6923:                             ;   in Loop: Header=BB6_6254 Depth=2
	s_or_b64 exec, exec, s[20:21]
	v_lshrrev_b64 v[2:3], 20, v[2:3]
	v_cmp_gt_i32_e32 vcc, 16, v1
	v_cndmask_b32_e32 v3, 0, v3, vcc
	v_cndmask_b32_e32 v2, 7, v2, vcc
	v_cmp_eq_u32_e32 vcc, 0, v1
	v_min_i32_e32 v1, 15, v1
	v_cmp_eq_u64_e64 s[20:21], 0, v[2:3]
	v_lshlrev_b32_e32 v1, 3, v1
	v_and_or_b32 v1, v2, 7, v1
	s_and_b64 s[20:21], vcc, s[20:21]
	v_cndmask_b32_e64 v1, v1, 0, s[20:21]
	v_or_b32_e32 v22, v1, v0
.LBB6_6924:                             ;   in Loop: Header=BB6_6254 Depth=2
	s_or_b64 exec, exec, s[56:57]
.LBB6_6925:                             ;   in Loop: Header=BB6_6254 Depth=2
	s_or_b64 exec, exec, s[54:55]
                                        ; implicit-def: $vgpr1
                                        ; implicit-def: $vgpr2_vgpr3
.LBB6_6926:                             ;   in Loop: Header=BB6_6254 Depth=2
	s_andn2_saveexec_b64 s[20:21], s[52:53]
; %bb.6927:                             ;   in Loop: Header=BB6_6254 Depth=2
	v_or_b32_sdwa v0, v1, s68 dst_sel:DWORD dst_unused:UNUSED_PAD src0_sel:BYTE_3 src1_sel:DWORD
	v_cmp_eq_u64_e32 vcc, 0, v[2:3]
	v_cndmask_b32_e32 v22, v0, v22, vcc
; %bb.6928:                             ;   in Loop: Header=BB6_6254 Depth=2
	s_or_b64 exec, exec, s[20:21]
	v_lshrrev_b16_e32 v2, 8, v38
	v_cmp_ne_u16_e32 vcc, 0, v2
	v_mov_b32_e32 v0, 0
	s_and_saveexec_b64 s[20:21], vcc
	s_cbranch_execz .LBB6_6934
; %bb.6929:                             ;   in Loop: Header=BB6_6254 Depth=2
	v_cmp_ne_u16_e32 vcc, s69, v2
	v_bfrev_b32_e32 v0, 1
	s_and_saveexec_b64 s[52:53], vcc
	s_cbranch_execz .LBB6_6933
; %bb.6930:                             ;   in Loop: Header=BB6_6254 Depth=2
	v_and_b32_e32 v1, 0x7f, v2
	v_cmp_ne_u32_e32 vcc, s68, v1
	v_mov_b32_e32 v0, 0x7f800001
	s_and_saveexec_b64 s[54:55], vcc
	s_cbranch_execz .LBB6_6932
; %bb.6931:                             ;   in Loop: Header=BB6_6254 Depth=2
	v_and_b32_e32 v0, 7, v2
	v_ffbh_u32_e32 v3, v0
	v_min_u32_e32 v19, 32, v3
	v_subrev_u32_e32 v3, 28, v19
	v_lshlrev_b64 v[2:3], v3, v[2:3]
	v_lshrrev_b32_e32 v18, 3, v1
	v_sub_u32_e32 v3, 29, v19
	v_and_b32_e32 v2, 7, v2
	v_cmp_gt_u32_e32 vcc, 8, v1
	v_cndmask_b32_e32 v1, v18, v3, vcc
	v_cndmask_b32_e32 v0, v0, v2, vcc
	v_lshlrev_b32_e32 v2, 16, v38
	v_bfrev_b32_e32 v3, 60
	v_lshlrev_b32_e32 v0, 20, v0
	v_and_b32_e32 v2, 0x80000000, v2
	v_lshl_add_u32 v1, v1, 23, v3
	v_or3_b32 v0, v2, v1, v0
.LBB6_6932:                             ;   in Loop: Header=BB6_6254 Depth=2
	s_or_b64 exec, exec, s[54:55]
.LBB6_6933:                             ;   in Loop: Header=BB6_6254 Depth=2
	s_or_b64 exec, exec, s[52:53]
.LBB6_6934:                             ;   in Loop: Header=BB6_6254 Depth=2
	s_or_b64 exec, exec, s[20:21]
	v_mul_f32_e32 v1, v16, v0
	v_and_b32_sdwa v0, v1, s69 dst_sel:DWORD dst_unused:UNUSED_PAD src0_sel:BYTE_3 src1_sel:DWORD
	v_and_b32_e32 v2, 0x7f800000, v1
	v_mov_b32_e32 v3, v39
	v_and_b32_e32 v38, 0x7fffff, v1
	v_or_b32_e32 v23, 0x7e, v0
	v_cmp_ne_u64_e32 vcc, s[38:39], v[2:3]
	s_and_saveexec_b64 s[20:21], vcc
	s_xor_b64 s[52:53], exec, s[20:21]
	s_cbranch_execz .LBB6_6944
; %bb.6935:                             ;   in Loop: Header=BB6_6254 Depth=2
	v_and_b32_e32 v2, 0x7fffffff, v1
	v_mov_b32_e32 v3, v39
	v_cmp_gt_u64_e32 vcc, s[40:41], v[2:3]
	s_and_saveexec_b64 s[54:55], vcc
	s_cbranch_execz .LBB6_6943
; %bb.6936:                             ;   in Loop: Header=BB6_6254 Depth=2
	v_cmp_ne_u32_e32 vcc, 0, v1
	v_mov_b32_e32 v23, 0
	s_and_saveexec_b64 s[56:57], vcc
	s_cbranch_execz .LBB6_6942
; %bb.6937:                             ;   in Loop: Header=BB6_6254 Depth=2
	v_bfe_u32 v1, v1, 23, 8
	v_sub_u32_e32 v3, 0x79, v1
	v_cmp_gt_u32_e32 vcc, s70, v1
	v_add_u32_e32 v2, 0xffffff81, v1
	v_cndmask_b32_e32 v3, 0, v3, vcc
	v_cmp_eq_u32_e32 vcc, 0, v1
	v_mov_b32_e32 v1, 0xffffff82
	v_cndmask_b32_e32 v1, v2, v1, vcc
	v_mov_b32_e32 v2, 0x78
	v_or_b32_e32 v18, 0x800000, v38
	v_cndmask_b32_e32 v19, v3, v2, vcc
	v_cndmask_b32_e32 v38, v18, v38, vcc
	v_add_u32_e32 v2, 20, v19
	v_lshlrev_b64 v[2:3], v2, -1
	v_add_u32_e32 v18, 19, v19
	v_lshrrev_b64 v[26:27], v19, v[38:39]
	v_not_b32_e32 v3, v3
	v_not_b32_e32 v2, v2
	v_lshlrev_b64 v[20:21], v18, 1
	v_lshrrev_b32_e32 v18, 23, v26
	v_and_b32_e32 v3, 0, v3
	v_and_b32_e32 v2, v38, v2
	v_add3_u32 v19, v19, v1, v18
	v_bfe_u32 v1, v26, 20, 1
	v_add_u32_e32 v1, -1, v1
	v_cmp_eq_u64_e32 vcc, v[2:3], v[20:21]
	v_cndmask_b32_e32 v1, 0, v1, vcc
	v_add_u32_e32 v1, v1, v26
	v_and_b32_e32 v1, 0xfffff, v1
	v_add_co_u32_e32 v2, vcc, v1, v26
	v_add_u32_e32 v18, 6, v19
	v_addc_co_u32_e32 v3, vcc, 0, v27, vcc
	v_cmp_ne_u32_e32 vcc, 0, v18
                                        ; implicit-def: $vgpr1
	s_and_saveexec_b64 s[20:21], vcc
	s_xor_b64 s[20:21], exec, s[20:21]
; %bb.6938:                             ;   in Loop: Header=BB6_6254 Depth=2
	v_add_u32_e32 v1, 7, v19
	v_cmp_lt_u64_e32 vcc, s[44:45], v[2:3]
	v_cndmask_b32_e32 v1, v18, v1, vcc
	v_cndmask_b32_e64 v18, 0, 1, vcc
	v_lshrrev_b64 v[2:3], v18, v[2:3]
; %bb.6939:                             ;   in Loop: Header=BB6_6254 Depth=2
	s_andn2_saveexec_b64 s[20:21], s[20:21]
; %bb.6940:                             ;   in Loop: Header=BB6_6254 Depth=2
	v_bfe_u32 v1, v2, 23, 1
; %bb.6941:                             ;   in Loop: Header=BB6_6254 Depth=2
	s_or_b64 exec, exec, s[20:21]
	v_lshrrev_b64 v[2:3], 20, v[2:3]
	v_cmp_gt_i32_e32 vcc, 16, v1
	v_cndmask_b32_e32 v3, 0, v3, vcc
	v_cndmask_b32_e32 v2, 7, v2, vcc
	v_cmp_eq_u32_e32 vcc, 0, v1
	v_min_i32_e32 v1, 15, v1
	v_lshlrev_b32_e32 v1, 3, v1
	v_cmp_eq_u64_e64 s[20:21], 0, v[2:3]
	v_and_b32_e32 v1, 0xf8, v1
	v_and_or_b32 v1, v2, 7, v1
	s_and_b64 s[20:21], vcc, s[20:21]
	v_cndmask_b32_e64 v1, v1, 0, s[20:21]
	v_or_b32_e32 v23, v1, v0
.LBB6_6942:                             ;   in Loop: Header=BB6_6254 Depth=2
	s_or_b64 exec, exec, s[56:57]
.LBB6_6943:                             ;   in Loop: Header=BB6_6254 Depth=2
	s_or_b64 exec, exec, s[54:55]
                                        ; implicit-def: $vgpr1
.LBB6_6944:                             ;   in Loop: Header=BB6_6254 Depth=2
	s_andn2_saveexec_b64 s[20:21], s[52:53]
; %bb.6945:                             ;   in Loop: Header=BB6_6254 Depth=2
	v_or_b32_sdwa v0, v1, s68 dst_sel:DWORD dst_unused:UNUSED_PAD src0_sel:BYTE_3 src1_sel:DWORD
	v_cmp_eq_u64_e32 vcc, 0, v[38:39]
	v_cndmask_b32_e32 v23, v0, v23, vcc
; %bb.6946:                             ;   in Loop: Header=BB6_6254 Depth=2
	s_or_b64 exec, exec, s[20:21]
	v_lshrrev_b32_e32 v2, 16, v11
	v_cmp_ne_u16_sdwa vcc, v2, v39 src0_sel:BYTE_0 src1_sel:DWORD
	v_mov_b32_e32 v0, 0
	s_and_saveexec_b64 s[20:21], vcc
	s_cbranch_execz .LBB6_6952
; %bb.6947:                             ;   in Loop: Header=BB6_6254 Depth=2
	v_cmp_ne_u16_sdwa vcc, v2, s69 src0_sel:BYTE_0 src1_sel:DWORD
	v_bfrev_b32_e32 v0, 1
	s_and_saveexec_b64 s[52:53], vcc
	s_cbranch_execz .LBB6_6951
; %bb.6948:                             ;   in Loop: Header=BB6_6254 Depth=2
	v_bfe_u32 v1, v11, 16, 7
	v_cmp_ne_u32_e32 vcc, s68, v1
	v_mov_b32_e32 v0, 0x7f800001
	s_and_saveexec_b64 s[54:55], vcc
	s_cbranch_execz .LBB6_6950
; %bb.6949:                             ;   in Loop: Header=BB6_6254 Depth=2
	v_and_b32_e32 v0, 7, v2
	v_ffbh_u32_e32 v18, v0
	v_min_u32_e32 v20, 32, v18
	v_lshrrev_b32_e32 v3, 3, v1
	v_subrev_u32_e32 v18, 28, v20
	v_lshlrev_b64 v[18:19], v18, v[2:3]
	v_sub_u32_e32 v19, 29, v20
	v_and_b32_e32 v18, 7, v18
	v_cmp_gt_u32_e32 vcc, 8, v1
	v_cndmask_b32_e32 v1, v3, v19, vcc
	v_cndmask_b32_e32 v0, v0, v18, vcc
	v_lshlrev_b32_e32 v2, 24, v2
	v_bfrev_b32_e32 v3, 60
	v_lshlrev_b32_e32 v0, 20, v0
	v_and_b32_e32 v2, 0x80000000, v2
	v_lshl_add_u32 v1, v1, 23, v3
	v_or3_b32 v0, v2, v1, v0
.LBB6_6950:                             ;   in Loop: Header=BB6_6254 Depth=2
	s_or_b64 exec, exec, s[54:55]
.LBB6_6951:                             ;   in Loop: Header=BB6_6254 Depth=2
	s_or_b64 exec, exec, s[52:53]
.LBB6_6952:                             ;   in Loop: Header=BB6_6254 Depth=2
	s_or_b64 exec, exec, s[20:21]
	v_mul_f32_e32 v1, v16, v0
	v_and_b32_sdwa v0, v1, s69 dst_sel:DWORD dst_unused:UNUSED_PAD src0_sel:BYTE_3 src1_sel:DWORD
	v_and_b32_e32 v2, 0x7f800000, v1
	v_mov_b32_e32 v3, v39
	v_and_b32_e32 v38, 0x7fffff, v1
	v_or_b32_e32 v42, 0x7e, v0
	v_cmp_ne_u64_e32 vcc, s[38:39], v[2:3]
	s_and_saveexec_b64 s[20:21], vcc
	s_xor_b64 s[52:53], exec, s[20:21]
	s_cbranch_execz .LBB6_6962
; %bb.6953:                             ;   in Loop: Header=BB6_6254 Depth=2
	v_and_b32_e32 v2, 0x7fffffff, v1
	v_mov_b32_e32 v3, v39
	v_cmp_gt_u64_e32 vcc, s[40:41], v[2:3]
	s_and_saveexec_b64 s[54:55], vcc
	s_cbranch_execz .LBB6_6961
; %bb.6954:                             ;   in Loop: Header=BB6_6254 Depth=2
	v_cmp_ne_u32_e32 vcc, 0, v1
	v_mov_b32_e32 v42, 0
	s_and_saveexec_b64 s[56:57], vcc
	s_cbranch_execz .LBB6_6960
; %bb.6955:                             ;   in Loop: Header=BB6_6254 Depth=2
	v_bfe_u32 v1, v1, 23, 8
	v_sub_u32_e32 v3, 0x79, v1
	v_cmp_gt_u32_e32 vcc, s70, v1
	v_add_u32_e32 v2, 0xffffff81, v1
	v_cndmask_b32_e32 v3, 0, v3, vcc
	v_cmp_eq_u32_e32 vcc, 0, v1
	v_mov_b32_e32 v1, 0xffffff82
	v_cndmask_b32_e32 v1, v2, v1, vcc
	v_mov_b32_e32 v2, 0x78
	v_or_b32_e32 v18, 0x800000, v38
	v_cndmask_b32_e32 v19, v3, v2, vcc
	v_cndmask_b32_e32 v38, v18, v38, vcc
	v_add_u32_e32 v2, 20, v19
	v_lshlrev_b64 v[2:3], v2, -1
	v_add_u32_e32 v18, 19, v19
	v_lshrrev_b64 v[26:27], v19, v[38:39]
	v_not_b32_e32 v3, v3
	v_not_b32_e32 v2, v2
	v_lshlrev_b64 v[20:21], v18, 1
	v_lshrrev_b32_e32 v18, 23, v26
	v_and_b32_e32 v3, 0, v3
	v_and_b32_e32 v2, v38, v2
	v_add3_u32 v19, v19, v1, v18
	v_bfe_u32 v1, v26, 20, 1
	v_add_u32_e32 v1, -1, v1
	v_cmp_eq_u64_e32 vcc, v[2:3], v[20:21]
	v_cndmask_b32_e32 v1, 0, v1, vcc
	v_add_u32_e32 v1, v1, v26
	v_and_b32_e32 v1, 0xfffff, v1
	v_add_co_u32_e32 v2, vcc, v1, v26
	v_add_u32_e32 v18, 6, v19
	v_addc_co_u32_e32 v3, vcc, 0, v27, vcc
	v_cmp_ne_u32_e32 vcc, 0, v18
                                        ; implicit-def: $vgpr1
	s_and_saveexec_b64 s[20:21], vcc
	s_xor_b64 s[20:21], exec, s[20:21]
; %bb.6956:                             ;   in Loop: Header=BB6_6254 Depth=2
	v_add_u32_e32 v1, 7, v19
	v_cmp_lt_u64_e32 vcc, s[44:45], v[2:3]
	v_cndmask_b32_e32 v1, v18, v1, vcc
	v_cndmask_b32_e64 v18, 0, 1, vcc
	v_lshrrev_b64 v[2:3], v18, v[2:3]
; %bb.6957:                             ;   in Loop: Header=BB6_6254 Depth=2
	s_andn2_saveexec_b64 s[20:21], s[20:21]
; %bb.6958:                             ;   in Loop: Header=BB6_6254 Depth=2
	v_bfe_u32 v1, v2, 23, 1
; %bb.6959:                             ;   in Loop: Header=BB6_6254 Depth=2
	s_or_b64 exec, exec, s[20:21]
	v_lshrrev_b64 v[2:3], 20, v[2:3]
	v_cmp_gt_i32_e32 vcc, 16, v1
	v_cndmask_b32_e32 v3, 0, v3, vcc
	v_cndmask_b32_e32 v2, 7, v2, vcc
	v_cmp_eq_u32_e32 vcc, 0, v1
	v_min_i32_e32 v1, 15, v1
	v_lshlrev_b32_e32 v1, 3, v1
	v_cmp_eq_u64_e64 s[20:21], 0, v[2:3]
	v_and_b32_e32 v1, 0xf8, v1
	v_and_or_b32 v1, v2, 7, v1
	s_and_b64 s[20:21], vcc, s[20:21]
	v_cndmask_b32_e64 v1, v1, 0, s[20:21]
	v_or_b32_e32 v42, v1, v0
.LBB6_6960:                             ;   in Loop: Header=BB6_6254 Depth=2
	s_or_b64 exec, exec, s[56:57]
.LBB6_6961:                             ;   in Loop: Header=BB6_6254 Depth=2
	s_or_b64 exec, exec, s[54:55]
                                        ; implicit-def: $vgpr1
.LBB6_6962:                             ;   in Loop: Header=BB6_6254 Depth=2
	s_andn2_saveexec_b64 s[20:21], s[52:53]
; %bb.6963:                             ;   in Loop: Header=BB6_6254 Depth=2
	v_or_b32_sdwa v0, v1, s68 dst_sel:DWORD dst_unused:UNUSED_PAD src0_sel:BYTE_3 src1_sel:DWORD
	v_cmp_eq_u64_e32 vcc, 0, v[38:39]
	v_cndmask_b32_e32 v42, v0, v42, vcc
; %bb.6964:                             ;   in Loop: Header=BB6_6254 Depth=2
	s_or_b64 exec, exec, s[20:21]
	v_cmp_lt_u64_e32 vcc, s[42:43], v[10:11]
	v_mov_b32_e32 v0, 0
	s_and_saveexec_b64 s[20:21], vcc
	s_cbranch_execz .LBB6_6970
; %bb.6965:                             ;   in Loop: Header=BB6_6254 Depth=2
	v_lshrrev_b32_e32 v2, 24, v11
	v_cmp_ne_u32_e32 vcc, s69, v2
	v_bfrev_b32_e32 v0, 1
	s_and_saveexec_b64 s[52:53], vcc
	s_cbranch_execz .LBB6_6969
; %bb.6966:                             ;   in Loop: Header=BB6_6254 Depth=2
	v_bfe_u32 v1, v11, 24, 7
	v_cmp_ne_u32_e32 vcc, s68, v1
	v_mov_b32_e32 v0, 0x7f800001
	s_and_saveexec_b64 s[54:55], vcc
	s_cbranch_execz .LBB6_6968
; %bb.6967:                             ;   in Loop: Header=BB6_6254 Depth=2
	v_and_b32_e32 v0, 7, v2
	v_ffbh_u32_e32 v10, v0
	v_min_u32_e32 v18, 32, v10
	v_lshrrev_b32_e32 v3, 3, v1
	v_subrev_u32_e32 v10, 28, v18
	v_lshlrev_b64 v[10:11], v10, v[2:3]
	v_sub_u32_e32 v11, 29, v18
	v_and_b32_e32 v10, 7, v10
	v_cmp_gt_u32_e32 vcc, 8, v1
	v_cndmask_b32_e32 v1, v3, v11, vcc
	v_cndmask_b32_e32 v0, v0, v10, vcc
	v_lshlrev_b32_e32 v2, 24, v2
	v_bfrev_b32_e32 v3, 60
	v_lshlrev_b32_e32 v0, 20, v0
	v_and_b32_e32 v2, 0x80000000, v2
	v_lshl_add_u32 v1, v1, 23, v3
	v_or3_b32 v0, v2, v1, v0
.LBB6_6968:                             ;   in Loop: Header=BB6_6254 Depth=2
	s_or_b64 exec, exec, s[54:55]
.LBB6_6969:                             ;   in Loop: Header=BB6_6254 Depth=2
	s_or_b64 exec, exec, s[52:53]
.LBB6_6970:                             ;   in Loop: Header=BB6_6254 Depth=2
	s_or_b64 exec, exec, s[20:21]
	v_mul_f32_e32 v1, v16, v0
	v_and_b32_sdwa v0, v1, s69 dst_sel:DWORD dst_unused:UNUSED_PAD src0_sel:BYTE_3 src1_sel:DWORD
	v_and_b32_e32 v2, 0x7f800000, v1
	v_mov_b32_e32 v3, v39
	v_and_b32_e32 v38, 0x7fffff, v1
	v_or_b32_e32 v59, 0x7e, v0
	v_cmp_ne_u64_e32 vcc, s[38:39], v[2:3]
	s_and_saveexec_b64 s[20:21], vcc
	s_xor_b64 s[52:53], exec, s[20:21]
	s_cbranch_execz .LBB6_6980
; %bb.6971:                             ;   in Loop: Header=BB6_6254 Depth=2
	v_and_b32_e32 v2, 0x7fffffff, v1
	v_mov_b32_e32 v3, v39
	v_cmp_gt_u64_e32 vcc, s[40:41], v[2:3]
	s_and_saveexec_b64 s[54:55], vcc
	s_cbranch_execz .LBB6_6979
; %bb.6972:                             ;   in Loop: Header=BB6_6254 Depth=2
	v_cmp_ne_u32_e32 vcc, 0, v1
	v_mov_b32_e32 v59, 0
	s_and_saveexec_b64 s[56:57], vcc
	s_cbranch_execz .LBB6_6978
; %bb.6973:                             ;   in Loop: Header=BB6_6254 Depth=2
	v_bfe_u32 v1, v1, 23, 8
	v_sub_u32_e32 v3, 0x79, v1
	v_cmp_gt_u32_e32 vcc, s70, v1
	v_add_u32_e32 v2, 0xffffff81, v1
	v_cndmask_b32_e32 v3, 0, v3, vcc
	v_cmp_eq_u32_e32 vcc, 0, v1
	v_mov_b32_e32 v1, 0xffffff82
	v_cndmask_b32_e32 v1, v2, v1, vcc
	v_mov_b32_e32 v2, 0x78
	v_or_b32_e32 v10, 0x800000, v38
	v_cndmask_b32_e32 v11, v3, v2, vcc
	v_cndmask_b32_e32 v38, v10, v38, vcc
	v_add_u32_e32 v2, 20, v11
	v_lshlrev_b64 v[2:3], v2, -1
	v_add_u32_e32 v10, 19, v11
	v_lshrrev_b64 v[20:21], v11, v[38:39]
	v_not_b32_e32 v3, v3
	v_not_b32_e32 v2, v2
	v_lshlrev_b64 v[18:19], v10, 1
	v_lshrrev_b32_e32 v10, 23, v20
	v_and_b32_e32 v3, 0, v3
	v_and_b32_e32 v2, v38, v2
	v_add3_u32 v11, v11, v1, v10
	v_bfe_u32 v1, v20, 20, 1
	v_add_u32_e32 v1, -1, v1
	v_cmp_eq_u64_e32 vcc, v[2:3], v[18:19]
	v_cndmask_b32_e32 v1, 0, v1, vcc
	v_add_u32_e32 v1, v1, v20
	v_and_b32_e32 v1, 0xfffff, v1
	v_add_co_u32_e32 v2, vcc, v1, v20
	v_add_u32_e32 v10, 6, v11
	v_addc_co_u32_e32 v3, vcc, 0, v21, vcc
	v_cmp_ne_u32_e32 vcc, 0, v10
                                        ; implicit-def: $vgpr1
	s_and_saveexec_b64 s[20:21], vcc
	s_xor_b64 s[20:21], exec, s[20:21]
; %bb.6974:                             ;   in Loop: Header=BB6_6254 Depth=2
	v_add_u32_e32 v1, 7, v11
	v_cmp_lt_u64_e32 vcc, s[44:45], v[2:3]
	v_cndmask_b32_e32 v1, v10, v1, vcc
	v_cndmask_b32_e64 v10, 0, 1, vcc
	v_lshrrev_b64 v[2:3], v10, v[2:3]
; %bb.6975:                             ;   in Loop: Header=BB6_6254 Depth=2
	s_andn2_saveexec_b64 s[20:21], s[20:21]
; %bb.6976:                             ;   in Loop: Header=BB6_6254 Depth=2
	v_bfe_u32 v1, v2, 23, 1
; %bb.6977:                             ;   in Loop: Header=BB6_6254 Depth=2
	s_or_b64 exec, exec, s[20:21]
	v_lshrrev_b64 v[2:3], 20, v[2:3]
	v_cmp_gt_i32_e32 vcc, 16, v1
	v_cndmask_b32_e32 v3, 0, v3, vcc
	v_cndmask_b32_e32 v2, 7, v2, vcc
	v_cmp_eq_u32_e32 vcc, 0, v1
	v_min_i32_e32 v1, 15, v1
	v_lshlrev_b32_e32 v1, 3, v1
	v_cmp_eq_u64_e64 s[20:21], 0, v[2:3]
	v_and_b32_e32 v1, 0xf8, v1
	v_and_or_b32 v1, v2, 7, v1
	s_and_b64 s[20:21], vcc, s[20:21]
	v_cndmask_b32_e64 v1, v1, 0, s[20:21]
	v_or_b32_e32 v59, v1, v0
.LBB6_6978:                             ;   in Loop: Header=BB6_6254 Depth=2
	s_or_b64 exec, exec, s[56:57]
.LBB6_6979:                             ;   in Loop: Header=BB6_6254 Depth=2
	s_or_b64 exec, exec, s[54:55]
                                        ; implicit-def: $vgpr1
.LBB6_6980:                             ;   in Loop: Header=BB6_6254 Depth=2
	s_andn2_saveexec_b64 s[20:21], s[52:53]
; %bb.6981:                             ;   in Loop: Header=BB6_6254 Depth=2
	v_or_b32_sdwa v0, v1, s68 dst_sel:DWORD dst_unused:UNUSED_PAD src0_sel:BYTE_3 src1_sel:DWORD
	v_cmp_eq_u64_e32 vcc, 0, v[38:39]
	v_cndmask_b32_e32 v59, v0, v59, vcc
; %bb.6982:                             ;   in Loop: Header=BB6_6254 Depth=2
	s_or_b64 exec, exec, s[20:21]
	v_cmp_ne_u16_sdwa vcc, v12, v39 src0_sel:BYTE_0 src1_sel:DWORD
	v_mov_b32_e32 v0, 0
	s_and_saveexec_b64 s[20:21], vcc
	s_cbranch_execz .LBB6_6988
; %bb.6983:                             ;   in Loop: Header=BB6_6254 Depth=2
	v_cmp_ne_u16_sdwa vcc, v12, s69 src0_sel:BYTE_0 src1_sel:DWORD
	v_bfrev_b32_e32 v0, 1
	s_and_saveexec_b64 s[52:53], vcc
	s_cbranch_execz .LBB6_6987
; %bb.6984:                             ;   in Loop: Header=BB6_6254 Depth=2
	v_and_b32_e32 v1, 0x7f, v12
	v_cmp_ne_u32_e32 vcc, s68, v1
	v_mov_b32_e32 v0, 0x7f800001
	s_and_saveexec_b64 s[54:55], vcc
	s_cbranch_execz .LBB6_6986
; %bb.6985:                             ;   in Loop: Header=BB6_6254 Depth=2
	v_and_b32_e32 v0, 7, v12
	v_ffbh_u32_e32 v0, v0
	v_min_u32_e32 v0, 32, v0
	v_lshrrev_b32_e32 v2, 3, v1
	v_subrev_u32_e32 v3, 28, v0
	v_sub_u32_e32 v0, 29, v0
	v_cmp_gt_u32_e32 vcc, 8, v1
	v_cndmask_b32_e32 v2, v2, v0, vcc
	v_cndmask_b32_e32 v0, 0, v3, vcc
	v_lshlrev_b64 v[0:1], v0, v[12:13]
	v_lshlrev_b32_e32 v0, 20, v0
	v_lshlrev_b32_e32 v1, 24, v12
	v_bfrev_b32_e32 v3, 60
	v_and_b32_e32 v0, 0x700000, v0
	v_and_b32_e32 v1, 0x80000000, v1
	v_lshl_add_u32 v2, v2, 23, v3
	v_or3_b32 v0, v1, v2, v0
.LBB6_6986:                             ;   in Loop: Header=BB6_6254 Depth=2
	s_or_b64 exec, exec, s[54:55]
.LBB6_6987:                             ;   in Loop: Header=BB6_6254 Depth=2
	s_or_b64 exec, exec, s[52:53]
.LBB6_6988:                             ;   in Loop: Header=BB6_6254 Depth=2
	s_or_b64 exec, exec, s[20:21]
	v_mul_f32_e32 v1, v16, v0
	v_and_b32_sdwa v0, v1, s69 dst_sel:DWORD dst_unused:UNUSED_PAD src0_sel:BYTE_3 src1_sel:DWORD
	v_and_b32_e32 v2, 0x7f800000, v1
	v_mov_b32_e32 v3, v39
	v_and_b32_e32 v38, 0x7fffff, v1
	v_or_b32_e32 v43, 0x7e, v0
	v_cmp_ne_u64_e32 vcc, s[38:39], v[2:3]
	s_and_saveexec_b64 s[20:21], vcc
	s_xor_b64 s[52:53], exec, s[20:21]
	s_cbranch_execz .LBB6_6998
; %bb.6989:                             ;   in Loop: Header=BB6_6254 Depth=2
	v_and_b32_e32 v2, 0x7fffffff, v1
	v_mov_b32_e32 v3, v39
	v_cmp_gt_u64_e32 vcc, s[40:41], v[2:3]
	s_and_saveexec_b64 s[54:55], vcc
	s_cbranch_execz .LBB6_6997
; %bb.6990:                             ;   in Loop: Header=BB6_6254 Depth=2
	v_cmp_ne_u32_e32 vcc, 0, v1
	v_mov_b32_e32 v43, 0
	s_and_saveexec_b64 s[56:57], vcc
	s_cbranch_execz .LBB6_6996
; %bb.6991:                             ;   in Loop: Header=BB6_6254 Depth=2
	v_bfe_u32 v1, v1, 23, 8
	v_sub_u32_e32 v3, 0x79, v1
	v_cmp_gt_u32_e32 vcc, s70, v1
	v_add_u32_e32 v2, 0xffffff81, v1
	v_cndmask_b32_e32 v3, 0, v3, vcc
	v_cmp_eq_u32_e32 vcc, 0, v1
	v_mov_b32_e32 v1, 0xffffff82
	v_cndmask_b32_e32 v1, v2, v1, vcc
	v_mov_b32_e32 v2, 0x78
	v_or_b32_e32 v10, 0x800000, v38
	v_cndmask_b32_e32 v11, v3, v2, vcc
	v_cndmask_b32_e32 v38, v10, v38, vcc
	v_add_u32_e32 v2, 20, v11
	v_lshlrev_b64 v[2:3], v2, -1
	v_add_u32_e32 v10, 19, v11
	v_lshrrev_b64 v[20:21], v11, v[38:39]
	v_not_b32_e32 v3, v3
	v_not_b32_e32 v2, v2
	v_lshlrev_b64 v[18:19], v10, 1
	v_lshrrev_b32_e32 v10, 23, v20
	v_and_b32_e32 v3, 0, v3
	v_and_b32_e32 v2, v38, v2
	v_add3_u32 v11, v11, v1, v10
	v_bfe_u32 v1, v20, 20, 1
	v_add_u32_e32 v1, -1, v1
	v_cmp_eq_u64_e32 vcc, v[2:3], v[18:19]
	v_cndmask_b32_e32 v1, 0, v1, vcc
	v_add_u32_e32 v1, v1, v20
	v_and_b32_e32 v1, 0xfffff, v1
	v_add_co_u32_e32 v2, vcc, v1, v20
	v_add_u32_e32 v10, 6, v11
	v_addc_co_u32_e32 v3, vcc, 0, v21, vcc
	v_cmp_ne_u32_e32 vcc, 0, v10
                                        ; implicit-def: $vgpr1
	s_and_saveexec_b64 s[20:21], vcc
	s_xor_b64 s[20:21], exec, s[20:21]
; %bb.6992:                             ;   in Loop: Header=BB6_6254 Depth=2
	v_add_u32_e32 v1, 7, v11
	v_cmp_lt_u64_e32 vcc, s[44:45], v[2:3]
	v_cndmask_b32_e32 v1, v10, v1, vcc
	v_cndmask_b32_e64 v10, 0, 1, vcc
	v_lshrrev_b64 v[2:3], v10, v[2:3]
; %bb.6993:                             ;   in Loop: Header=BB6_6254 Depth=2
	s_andn2_saveexec_b64 s[20:21], s[20:21]
; %bb.6994:                             ;   in Loop: Header=BB6_6254 Depth=2
	v_bfe_u32 v1, v2, 23, 1
; %bb.6995:                             ;   in Loop: Header=BB6_6254 Depth=2
	s_or_b64 exec, exec, s[20:21]
	v_lshrrev_b64 v[2:3], 20, v[2:3]
	v_cmp_gt_i32_e32 vcc, 16, v1
	v_cndmask_b32_e32 v3, 0, v3, vcc
	v_cndmask_b32_e32 v2, 7, v2, vcc
	v_cmp_eq_u32_e32 vcc, 0, v1
	v_min_i32_e32 v1, 15, v1
	v_cmp_eq_u64_e64 s[20:21], 0, v[2:3]
	v_lshlrev_b32_e32 v1, 3, v1
	v_and_or_b32 v1, v2, 7, v1
	s_and_b64 s[20:21], vcc, s[20:21]
	v_cndmask_b32_e64 v1, v1, 0, s[20:21]
	v_or_b32_e32 v43, v1, v0
.LBB6_6996:                             ;   in Loop: Header=BB6_6254 Depth=2
	s_or_b64 exec, exec, s[56:57]
.LBB6_6997:                             ;   in Loop: Header=BB6_6254 Depth=2
	s_or_b64 exec, exec, s[54:55]
                                        ; implicit-def: $vgpr1
.LBB6_6998:                             ;   in Loop: Header=BB6_6254 Depth=2
	s_andn2_saveexec_b64 s[20:21], s[52:53]
; %bb.6999:                             ;   in Loop: Header=BB6_6254 Depth=2
	v_or_b32_sdwa v0, v1, s68 dst_sel:DWORD dst_unused:UNUSED_PAD src0_sel:BYTE_3 src1_sel:DWORD
	v_cmp_eq_u64_e32 vcc, 0, v[38:39]
	v_cndmask_b32_e32 v43, v0, v43, vcc
; %bb.7000:                             ;   in Loop: Header=BB6_6254 Depth=2
	s_or_b64 exec, exec, s[20:21]
	v_lshrrev_b16_e32 v2, 8, v12
	v_cmp_ne_u16_e32 vcc, 0, v2
	v_mov_b32_e32 v0, 0
	s_and_saveexec_b64 s[20:21], vcc
	s_cbranch_execz .LBB6_7006
; %bb.7001:                             ;   in Loop: Header=BB6_6254 Depth=2
	v_cmp_ne_u16_e32 vcc, s69, v2
	v_bfrev_b32_e32 v0, 1
	s_and_saveexec_b64 s[52:53], vcc
	s_cbranch_execz .LBB6_7005
; %bb.7002:                             ;   in Loop: Header=BB6_6254 Depth=2
	v_and_b32_e32 v1, 0x7f, v2
	v_cmp_ne_u32_e32 vcc, s68, v1
	v_mov_b32_e32 v0, 0x7f800001
	s_and_saveexec_b64 s[54:55], vcc
	s_cbranch_execz .LBB6_7004
; %bb.7003:                             ;   in Loop: Header=BB6_6254 Depth=2
	v_and_b32_e32 v0, 7, v2
	v_ffbh_u32_e32 v3, v0
	v_min_u32_e32 v11, 32, v3
	v_subrev_u32_e32 v3, 28, v11
	v_lshlrev_b64 v[2:3], v3, v[2:3]
	v_lshrrev_b32_e32 v10, 3, v1
	v_sub_u32_e32 v3, 29, v11
	v_and_b32_e32 v2, 7, v2
	v_cmp_gt_u32_e32 vcc, 8, v1
	v_cndmask_b32_e32 v1, v10, v3, vcc
	v_cndmask_b32_e32 v0, v0, v2, vcc
	v_lshlrev_b32_e32 v2, 16, v12
	v_bfrev_b32_e32 v3, 60
	v_lshlrev_b32_e32 v0, 20, v0
	v_and_b32_e32 v2, 0x80000000, v2
	v_lshl_add_u32 v1, v1, 23, v3
	v_or3_b32 v0, v2, v1, v0
.LBB6_7004:                             ;   in Loop: Header=BB6_6254 Depth=2
	s_or_b64 exec, exec, s[54:55]
.LBB6_7005:                             ;   in Loop: Header=BB6_6254 Depth=2
	s_or_b64 exec, exec, s[52:53]
.LBB6_7006:                             ;   in Loop: Header=BB6_6254 Depth=2
	s_or_b64 exec, exec, s[20:21]
	v_mul_f32_e32 v1, v16, v0
	v_and_b32_sdwa v0, v1, s69 dst_sel:DWORD dst_unused:UNUSED_PAD src0_sel:BYTE_3 src1_sel:DWORD
	v_and_b32_e32 v2, 0x7f800000, v1
	v_mov_b32_e32 v3, v39
	v_and_b32_e32 v38, 0x7fffff, v1
	v_or_b32_e32 v60, 0x7e, v0
	v_cmp_ne_u64_e32 vcc, s[38:39], v[2:3]
	s_and_saveexec_b64 s[20:21], vcc
	s_xor_b64 s[52:53], exec, s[20:21]
	s_cbranch_execz .LBB6_7016
; %bb.7007:                             ;   in Loop: Header=BB6_6254 Depth=2
	v_and_b32_e32 v2, 0x7fffffff, v1
	v_mov_b32_e32 v3, v39
	v_cmp_gt_u64_e32 vcc, s[40:41], v[2:3]
	s_and_saveexec_b64 s[54:55], vcc
	s_cbranch_execz .LBB6_7015
; %bb.7008:                             ;   in Loop: Header=BB6_6254 Depth=2
	v_cmp_ne_u32_e32 vcc, 0, v1
	v_mov_b32_e32 v60, 0
	s_and_saveexec_b64 s[56:57], vcc
	s_cbranch_execz .LBB6_7014
; %bb.7009:                             ;   in Loop: Header=BB6_6254 Depth=2
	v_bfe_u32 v1, v1, 23, 8
	v_sub_u32_e32 v3, 0x79, v1
	v_cmp_gt_u32_e32 vcc, s70, v1
	v_add_u32_e32 v2, 0xffffff81, v1
	v_cndmask_b32_e32 v3, 0, v3, vcc
	v_cmp_eq_u32_e32 vcc, 0, v1
	v_mov_b32_e32 v1, 0xffffff82
	v_cndmask_b32_e32 v1, v2, v1, vcc
	v_mov_b32_e32 v2, 0x78
	v_or_b32_e32 v10, 0x800000, v38
	v_cndmask_b32_e32 v11, v3, v2, vcc
	v_cndmask_b32_e32 v38, v10, v38, vcc
	v_add_u32_e32 v2, 20, v11
	v_lshlrev_b64 v[2:3], v2, -1
	v_add_u32_e32 v10, 19, v11
	v_lshrrev_b64 v[20:21], v11, v[38:39]
	v_not_b32_e32 v3, v3
	v_not_b32_e32 v2, v2
	v_lshlrev_b64 v[18:19], v10, 1
	v_lshrrev_b32_e32 v10, 23, v20
	v_and_b32_e32 v3, 0, v3
	v_and_b32_e32 v2, v38, v2
	v_add3_u32 v11, v11, v1, v10
	v_bfe_u32 v1, v20, 20, 1
	v_add_u32_e32 v1, -1, v1
	v_cmp_eq_u64_e32 vcc, v[2:3], v[18:19]
	v_cndmask_b32_e32 v1, 0, v1, vcc
	v_add_u32_e32 v1, v1, v20
	v_and_b32_e32 v1, 0xfffff, v1
	v_add_co_u32_e32 v2, vcc, v1, v20
	v_add_u32_e32 v10, 6, v11
	v_addc_co_u32_e32 v3, vcc, 0, v21, vcc
	v_cmp_ne_u32_e32 vcc, 0, v10
                                        ; implicit-def: $vgpr1
	s_and_saveexec_b64 s[20:21], vcc
	s_xor_b64 s[20:21], exec, s[20:21]
; %bb.7010:                             ;   in Loop: Header=BB6_6254 Depth=2
	v_add_u32_e32 v1, 7, v11
	v_cmp_lt_u64_e32 vcc, s[44:45], v[2:3]
	v_cndmask_b32_e32 v1, v10, v1, vcc
	v_cndmask_b32_e64 v10, 0, 1, vcc
	v_lshrrev_b64 v[2:3], v10, v[2:3]
; %bb.7011:                             ;   in Loop: Header=BB6_6254 Depth=2
	s_andn2_saveexec_b64 s[20:21], s[20:21]
; %bb.7012:                             ;   in Loop: Header=BB6_6254 Depth=2
	v_bfe_u32 v1, v2, 23, 1
; %bb.7013:                             ;   in Loop: Header=BB6_6254 Depth=2
	s_or_b64 exec, exec, s[20:21]
	v_lshrrev_b64 v[2:3], 20, v[2:3]
	v_cmp_gt_i32_e32 vcc, 16, v1
	v_cndmask_b32_e32 v3, 0, v3, vcc
	v_cndmask_b32_e32 v2, 7, v2, vcc
	v_cmp_eq_u32_e32 vcc, 0, v1
	v_min_i32_e32 v1, 15, v1
	v_cmp_eq_u64_e64 s[20:21], 0, v[2:3]
	v_lshlrev_b32_e32 v1, 3, v1
	v_and_or_b32 v1, v2, 7, v1
	s_and_b64 s[20:21], vcc, s[20:21]
	v_cndmask_b32_e64 v1, v1, 0, s[20:21]
	v_or_b32_e32 v60, v1, v0
.LBB6_7014:                             ;   in Loop: Header=BB6_6254 Depth=2
	s_or_b64 exec, exec, s[56:57]
.LBB6_7015:                             ;   in Loop: Header=BB6_6254 Depth=2
	s_or_b64 exec, exec, s[54:55]
                                        ; implicit-def: $vgpr1
.LBB6_7016:                             ;   in Loop: Header=BB6_6254 Depth=2
	s_andn2_saveexec_b64 s[20:21], s[52:53]
; %bb.7017:                             ;   in Loop: Header=BB6_6254 Depth=2
	v_or_b32_sdwa v0, v1, s68 dst_sel:DWORD dst_unused:UNUSED_PAD src0_sel:BYTE_3 src1_sel:DWORD
	v_cmp_eq_u64_e32 vcc, 0, v[38:39]
	v_cndmask_b32_e32 v60, v0, v60, vcc
; %bb.7018:                             ;   in Loop: Header=BB6_6254 Depth=2
	s_or_b64 exec, exec, s[20:21]
	v_lshrrev_b32_e32 v2, 16, v12
	v_cmp_ne_u16_sdwa vcc, v2, v39 src0_sel:BYTE_0 src1_sel:DWORD
	v_mov_b32_e32 v0, 0
	s_and_saveexec_b64 s[20:21], vcc
	s_cbranch_execz .LBB6_7024
; %bb.7019:                             ;   in Loop: Header=BB6_6254 Depth=2
	v_cmp_ne_u16_sdwa vcc, v2, s69 src0_sel:BYTE_0 src1_sel:DWORD
	v_bfrev_b32_e32 v0, 1
	s_and_saveexec_b64 s[52:53], vcc
	s_cbranch_execz .LBB6_7023
; %bb.7020:                             ;   in Loop: Header=BB6_6254 Depth=2
	v_bfe_u32 v1, v12, 16, 7
	v_cmp_ne_u32_e32 vcc, s68, v1
	v_mov_b32_e32 v0, 0x7f800001
	s_and_saveexec_b64 s[54:55], vcc
	s_cbranch_execz .LBB6_7022
; %bb.7021:                             ;   in Loop: Header=BB6_6254 Depth=2
	v_and_b32_e32 v0, 7, v2
	v_ffbh_u32_e32 v10, v0
	v_min_u32_e32 v18, 32, v10
	v_lshrrev_b32_e32 v3, 3, v1
	v_subrev_u32_e32 v10, 28, v18
	v_lshlrev_b64 v[10:11], v10, v[2:3]
	v_sub_u32_e32 v11, 29, v18
	v_and_b32_e32 v10, 7, v10
	v_cmp_gt_u32_e32 vcc, 8, v1
	v_cndmask_b32_e32 v1, v3, v11, vcc
	v_cndmask_b32_e32 v0, v0, v10, vcc
	v_lshlrev_b32_e32 v2, 24, v2
	v_bfrev_b32_e32 v3, 60
	v_lshlrev_b32_e32 v0, 20, v0
	v_and_b32_e32 v2, 0x80000000, v2
	v_lshl_add_u32 v1, v1, 23, v3
	v_or3_b32 v0, v2, v1, v0
.LBB6_7022:                             ;   in Loop: Header=BB6_6254 Depth=2
	s_or_b64 exec, exec, s[54:55]
.LBB6_7023:                             ;   in Loop: Header=BB6_6254 Depth=2
	s_or_b64 exec, exec, s[52:53]
.LBB6_7024:                             ;   in Loop: Header=BB6_6254 Depth=2
	s_or_b64 exec, exec, s[20:21]
	v_mul_f32_e32 v1, v16, v0
	v_and_b32_sdwa v0, v1, s69 dst_sel:DWORD dst_unused:UNUSED_PAD src0_sel:BYTE_3 src1_sel:DWORD
	v_and_b32_e32 v2, 0x7f800000, v1
	v_mov_b32_e32 v3, v39
	v_and_b32_e32 v38, 0x7fffff, v1
	v_or_b32_e32 v21, 0x7e, v0
	v_cmp_ne_u64_e32 vcc, s[38:39], v[2:3]
	s_and_saveexec_b64 s[20:21], vcc
	s_xor_b64 s[52:53], exec, s[20:21]
	s_cbranch_execz .LBB6_7034
; %bb.7025:                             ;   in Loop: Header=BB6_6254 Depth=2
	v_and_b32_e32 v2, 0x7fffffff, v1
	v_mov_b32_e32 v3, v39
	v_cmp_gt_u64_e32 vcc, s[40:41], v[2:3]
	s_and_saveexec_b64 s[54:55], vcc
	s_cbranch_execz .LBB6_7033
; %bb.7026:                             ;   in Loop: Header=BB6_6254 Depth=2
	v_cmp_ne_u32_e32 vcc, 0, v1
	v_mov_b32_e32 v21, 0
	s_and_saveexec_b64 s[56:57], vcc
	s_cbranch_execz .LBB6_7032
; %bb.7027:                             ;   in Loop: Header=BB6_6254 Depth=2
	v_bfe_u32 v1, v1, 23, 8
	v_sub_u32_e32 v3, 0x79, v1
	v_cmp_gt_u32_e32 vcc, s70, v1
	v_add_u32_e32 v2, 0xffffff81, v1
	v_cndmask_b32_e32 v3, 0, v3, vcc
	v_cmp_eq_u32_e32 vcc, 0, v1
	v_mov_b32_e32 v1, 0xffffff82
	v_cndmask_b32_e32 v1, v2, v1, vcc
	v_mov_b32_e32 v2, 0x78
	v_or_b32_e32 v10, 0x800000, v38
	v_cndmask_b32_e32 v11, v3, v2, vcc
	v_cndmask_b32_e32 v38, v10, v38, vcc
	v_add_u32_e32 v2, 20, v11
	v_lshlrev_b64 v[2:3], v2, -1
	v_add_u32_e32 v10, 19, v11
	v_lshrrev_b64 v[20:21], v11, v[38:39]
	v_not_b32_e32 v3, v3
	v_not_b32_e32 v2, v2
	v_lshlrev_b64 v[18:19], v10, 1
	v_lshrrev_b32_e32 v10, 23, v20
	v_and_b32_e32 v3, 0, v3
	v_and_b32_e32 v2, v38, v2
	v_add3_u32 v11, v11, v1, v10
	v_bfe_u32 v1, v20, 20, 1
	v_add_u32_e32 v1, -1, v1
	v_cmp_eq_u64_e32 vcc, v[2:3], v[18:19]
	v_cndmask_b32_e32 v1, 0, v1, vcc
	v_add_u32_e32 v1, v1, v20
	v_and_b32_e32 v1, 0xfffff, v1
	v_add_co_u32_e32 v2, vcc, v1, v20
	v_add_u32_e32 v10, 6, v11
	v_addc_co_u32_e32 v3, vcc, 0, v21, vcc
	v_cmp_ne_u32_e32 vcc, 0, v10
                                        ; implicit-def: $vgpr1
	s_and_saveexec_b64 s[20:21], vcc
	s_xor_b64 s[20:21], exec, s[20:21]
; %bb.7028:                             ;   in Loop: Header=BB6_6254 Depth=2
	v_add_u32_e32 v1, 7, v11
	v_cmp_lt_u64_e32 vcc, s[44:45], v[2:3]
	v_cndmask_b32_e32 v1, v10, v1, vcc
	v_cndmask_b32_e64 v10, 0, 1, vcc
	v_lshrrev_b64 v[2:3], v10, v[2:3]
; %bb.7029:                             ;   in Loop: Header=BB6_6254 Depth=2
	s_andn2_saveexec_b64 s[20:21], s[20:21]
; %bb.7030:                             ;   in Loop: Header=BB6_6254 Depth=2
	v_bfe_u32 v1, v2, 23, 1
; %bb.7031:                             ;   in Loop: Header=BB6_6254 Depth=2
	s_or_b64 exec, exec, s[20:21]
	v_lshrrev_b64 v[2:3], 20, v[2:3]
	v_cmp_gt_i32_e32 vcc, 16, v1
	v_cndmask_b32_e32 v3, 0, v3, vcc
	v_cndmask_b32_e32 v2, 7, v2, vcc
	v_cmp_eq_u32_e32 vcc, 0, v1
	v_min_i32_e32 v1, 15, v1
	v_cmp_eq_u64_e64 s[20:21], 0, v[2:3]
	v_lshlrev_b32_e32 v1, 3, v1
	v_and_or_b32 v1, v2, 7, v1
	s_and_b64 s[20:21], vcc, s[20:21]
	v_cndmask_b32_e64 v1, v1, 0, s[20:21]
	v_or_b32_e32 v21, v1, v0
.LBB6_7032:                             ;   in Loop: Header=BB6_6254 Depth=2
	s_or_b64 exec, exec, s[56:57]
.LBB6_7033:                             ;   in Loop: Header=BB6_6254 Depth=2
	s_or_b64 exec, exec, s[54:55]
                                        ; implicit-def: $vgpr1
.LBB6_7034:                             ;   in Loop: Header=BB6_6254 Depth=2
	s_andn2_saveexec_b64 s[20:21], s[52:53]
; %bb.7035:                             ;   in Loop: Header=BB6_6254 Depth=2
	v_or_b32_sdwa v0, v1, s68 dst_sel:DWORD dst_unused:UNUSED_PAD src0_sel:BYTE_3 src1_sel:DWORD
	v_cmp_eq_u64_e32 vcc, 0, v[38:39]
	v_cndmask_b32_e32 v21, v0, v21, vcc
; %bb.7036:                             ;   in Loop: Header=BB6_6254 Depth=2
	s_or_b64 exec, exec, s[20:21]
	v_cmp_lt_u32_e32 vcc, s43, v12
	v_mov_b32_e32 v0, 0
	s_and_saveexec_b64 s[20:21], vcc
	s_cbranch_execz .LBB6_7042
; %bb.7037:                             ;   in Loop: Header=BB6_6254 Depth=2
	v_lshrrev_b32_e32 v2, 24, v12
	v_cmp_ne_u32_e32 vcc, s69, v2
	v_bfrev_b32_e32 v0, 1
	s_and_saveexec_b64 s[52:53], vcc
	s_cbranch_execz .LBB6_7041
; %bb.7038:                             ;   in Loop: Header=BB6_6254 Depth=2
	v_bfe_u32 v1, v12, 24, 7
	v_cmp_ne_u32_e32 vcc, s68, v1
	v_mov_b32_e32 v0, 0x7f800001
	s_and_saveexec_b64 s[54:55], vcc
	s_cbranch_execz .LBB6_7040
; %bb.7039:                             ;   in Loop: Header=BB6_6254 Depth=2
	v_and_b32_e32 v0, 7, v2
	v_ffbh_u32_e32 v10, v0
	v_min_u32_e32 v18, 32, v10
	v_lshrrev_b32_e32 v3, 3, v1
	v_subrev_u32_e32 v10, 28, v18
	v_lshlrev_b64 v[10:11], v10, v[2:3]
	v_sub_u32_e32 v11, 29, v18
	v_and_b32_e32 v10, 7, v10
	v_cmp_gt_u32_e32 vcc, 8, v1
	v_cndmask_b32_e32 v1, v3, v11, vcc
	v_cndmask_b32_e32 v0, v0, v10, vcc
	v_lshlrev_b32_e32 v2, 24, v2
	v_bfrev_b32_e32 v3, 60
	v_lshlrev_b32_e32 v0, 20, v0
	v_and_b32_e32 v2, 0x80000000, v2
	v_lshl_add_u32 v1, v1, 23, v3
	v_or3_b32 v0, v2, v1, v0
.LBB6_7040:                             ;   in Loop: Header=BB6_6254 Depth=2
	s_or_b64 exec, exec, s[54:55]
.LBB6_7041:                             ;   in Loop: Header=BB6_6254 Depth=2
	s_or_b64 exec, exec, s[52:53]
.LBB6_7042:                             ;   in Loop: Header=BB6_6254 Depth=2
	s_or_b64 exec, exec, s[20:21]
	v_mul_f32_e32 v1, v16, v0
	v_and_b32_sdwa v0, v1, s69 dst_sel:DWORD dst_unused:UNUSED_PAD src0_sel:BYTE_3 src1_sel:DWORD
	v_and_b32_e32 v2, 0x7f800000, v1
	v_mov_b32_e32 v3, v39
	v_and_b32_e32 v38, 0x7fffff, v1
	v_or_b32_e32 v37, 0x7e, v0
	v_cmp_ne_u64_e32 vcc, s[38:39], v[2:3]
	s_and_saveexec_b64 s[20:21], vcc
	s_xor_b64 s[52:53], exec, s[20:21]
	s_cbranch_execz .LBB6_7052
; %bb.7043:                             ;   in Loop: Header=BB6_6254 Depth=2
	v_and_b32_e32 v2, 0x7fffffff, v1
	v_mov_b32_e32 v3, v39
	v_cmp_gt_u64_e32 vcc, s[40:41], v[2:3]
	s_and_saveexec_b64 s[54:55], vcc
	s_cbranch_execz .LBB6_7051
; %bb.7044:                             ;   in Loop: Header=BB6_6254 Depth=2
	v_cmp_ne_u32_e32 vcc, 0, v1
	v_mov_b32_e32 v37, 0
	s_and_saveexec_b64 s[56:57], vcc
	s_cbranch_execz .LBB6_7050
; %bb.7045:                             ;   in Loop: Header=BB6_6254 Depth=2
	v_bfe_u32 v1, v1, 23, 8
	v_sub_u32_e32 v3, 0x79, v1
	v_cmp_gt_u32_e32 vcc, s70, v1
	v_add_u32_e32 v2, 0xffffff81, v1
	v_cndmask_b32_e32 v3, 0, v3, vcc
	v_cmp_eq_u32_e32 vcc, 0, v1
	v_mov_b32_e32 v1, 0xffffff82
	v_cndmask_b32_e32 v1, v2, v1, vcc
	v_mov_b32_e32 v2, 0x78
	v_or_b32_e32 v10, 0x800000, v38
	v_cndmask_b32_e32 v11, v3, v2, vcc
	v_cndmask_b32_e32 v38, v10, v38, vcc
	v_add_u32_e32 v2, 20, v11
	v_lshlrev_b64 v[2:3], v2, -1
	v_add_u32_e32 v10, 19, v11
	v_lshrrev_b64 v[26:27], v11, v[38:39]
	v_not_b32_e32 v3, v3
	v_not_b32_e32 v2, v2
	v_lshlrev_b64 v[18:19], v10, 1
	v_lshrrev_b32_e32 v10, 23, v26
	v_and_b32_e32 v3, 0, v3
	v_and_b32_e32 v2, v38, v2
	v_add3_u32 v11, v11, v1, v10
	v_bfe_u32 v1, v26, 20, 1
	v_add_u32_e32 v1, -1, v1
	v_cmp_eq_u64_e32 vcc, v[2:3], v[18:19]
	v_cndmask_b32_e32 v1, 0, v1, vcc
	v_add_u32_e32 v1, v1, v26
	v_and_b32_e32 v1, 0xfffff, v1
	v_add_co_u32_e32 v2, vcc, v1, v26
	v_add_u32_e32 v10, 6, v11
	v_addc_co_u32_e32 v3, vcc, 0, v27, vcc
	v_cmp_ne_u32_e32 vcc, 0, v10
                                        ; implicit-def: $vgpr1
	s_and_saveexec_b64 s[20:21], vcc
	s_xor_b64 s[20:21], exec, s[20:21]
; %bb.7046:                             ;   in Loop: Header=BB6_6254 Depth=2
	v_add_u32_e32 v1, 7, v11
	v_cmp_lt_u64_e32 vcc, s[44:45], v[2:3]
	v_cndmask_b32_e32 v1, v10, v1, vcc
	v_cndmask_b32_e64 v10, 0, 1, vcc
	v_lshrrev_b64 v[2:3], v10, v[2:3]
; %bb.7047:                             ;   in Loop: Header=BB6_6254 Depth=2
	s_andn2_saveexec_b64 s[20:21], s[20:21]
; %bb.7048:                             ;   in Loop: Header=BB6_6254 Depth=2
	v_bfe_u32 v1, v2, 23, 1
; %bb.7049:                             ;   in Loop: Header=BB6_6254 Depth=2
	s_or_b64 exec, exec, s[20:21]
	v_lshrrev_b64 v[2:3], 20, v[2:3]
	v_cmp_gt_i32_e32 vcc, 16, v1
	v_cndmask_b32_e32 v3, 0, v3, vcc
	v_cndmask_b32_e32 v2, 7, v2, vcc
	v_cmp_eq_u32_e32 vcc, 0, v1
	v_min_i32_e32 v1, 15, v1
	v_cmp_eq_u64_e64 s[20:21], 0, v[2:3]
	v_lshlrev_b32_e32 v1, 3, v1
	v_and_or_b32 v1, v2, 7, v1
	s_and_b64 s[20:21], vcc, s[20:21]
	v_cndmask_b32_e64 v1, v1, 0, s[20:21]
	v_or_b32_e32 v37, v1, v0
.LBB6_7050:                             ;   in Loop: Header=BB6_6254 Depth=2
	s_or_b64 exec, exec, s[56:57]
.LBB6_7051:                             ;   in Loop: Header=BB6_6254 Depth=2
	s_or_b64 exec, exec, s[54:55]
                                        ; implicit-def: $vgpr1
.LBB6_7052:                             ;   in Loop: Header=BB6_6254 Depth=2
	s_andn2_saveexec_b64 s[20:21], s[52:53]
; %bb.7053:                             ;   in Loop: Header=BB6_6254 Depth=2
	v_or_b32_sdwa v0, v1, s68 dst_sel:DWORD dst_unused:UNUSED_PAD src0_sel:BYTE_3 src1_sel:DWORD
	v_cmp_eq_u64_e32 vcc, 0, v[38:39]
	v_cndmask_b32_e32 v37, v0, v37, vcc
; %bb.7054:                             ;   in Loop: Header=BB6_6254 Depth=2
	s_or_b64 exec, exec, s[20:21]
	v_mov_b32_e32 v38, v13
	v_cmp_ne_u16_sdwa vcc, v13, v39 src0_sel:BYTE_0 src1_sel:DWORD
	v_mov_b32_e32 v0, 0
	s_and_saveexec_b64 s[20:21], vcc
	s_cbranch_execz .LBB6_7060
; %bb.7055:                             ;   in Loop: Header=BB6_6254 Depth=2
	v_cmp_ne_u16_sdwa vcc, v13, s69 src0_sel:BYTE_0 src1_sel:DWORD
	v_bfrev_b32_e32 v0, 1
	s_and_saveexec_b64 s[52:53], vcc
	s_cbranch_execz .LBB6_7059
; %bb.7056:                             ;   in Loop: Header=BB6_6254 Depth=2
	v_and_b32_e32 v1, 0x7f, v13
	v_cmp_ne_u32_e32 vcc, s68, v1
	v_mov_b32_e32 v0, 0x7f800001
	s_and_saveexec_b64 s[54:55], vcc
	s_cbranch_execz .LBB6_7058
; %bb.7057:                             ;   in Loop: Header=BB6_6254 Depth=2
	v_and_b32_e32 v0, 7, v13
	v_ffbh_u32_e32 v0, v0
	v_min_u32_e32 v0, 32, v0
	v_lshrrev_b32_e32 v2, 3, v1
	v_subrev_u32_e32 v3, 28, v0
	v_sub_u32_e32 v0, 29, v0
	v_cmp_gt_u32_e32 vcc, 8, v1
	v_cndmask_b32_e32 v2, v2, v0, vcc
	v_cndmask_b32_e32 v0, 0, v3, vcc
	v_lshlrev_b64 v[0:1], v0, v[38:39]
	v_lshlrev_b32_e32 v0, 20, v0
	v_lshlrev_b32_e32 v1, 24, v38
	v_bfrev_b32_e32 v3, 60
	v_and_b32_e32 v0, 0x700000, v0
	v_and_b32_e32 v1, 0x80000000, v1
	v_lshl_add_u32 v2, v2, 23, v3
	v_or3_b32 v0, v1, v2, v0
.LBB6_7058:                             ;   in Loop: Header=BB6_6254 Depth=2
	s_or_b64 exec, exec, s[54:55]
.LBB6_7059:                             ;   in Loop: Header=BB6_6254 Depth=2
	s_or_b64 exec, exec, s[52:53]
.LBB6_7060:                             ;   in Loop: Header=BB6_6254 Depth=2
	s_or_b64 exec, exec, s[20:21]
	v_mul_f32_e32 v1, v16, v0
	v_and_b32_sdwa v0, v1, s69 dst_sel:DWORD dst_unused:UNUSED_PAD src0_sel:BYTE_3 src1_sel:DWORD
	v_and_b32_e32 v10, 0x7f800000, v1
	v_mov_b32_e32 v11, v39
	v_and_b32_e32 v2, 0x7fffff, v1
	v_mov_b32_e32 v3, v39
	v_or_b32_e32 v62, 0x7e, v0
	v_cmp_ne_u64_e32 vcc, s[38:39], v[10:11]
	s_and_saveexec_b64 s[20:21], vcc
	s_xor_b64 s[52:53], exec, s[20:21]
	s_cbranch_execz .LBB6_7070
; %bb.7061:                             ;   in Loop: Header=BB6_6254 Depth=2
	v_and_b32_e32 v10, 0x7fffffff, v1
	v_mov_b32_e32 v11, v39
	v_cmp_gt_u64_e32 vcc, s[40:41], v[10:11]
	s_and_saveexec_b64 s[54:55], vcc
	s_cbranch_execz .LBB6_7069
; %bb.7062:                             ;   in Loop: Header=BB6_6254 Depth=2
	v_cmp_ne_u32_e32 vcc, 0, v1
	v_mov_b32_e32 v62, 0
	s_and_saveexec_b64 s[56:57], vcc
	s_cbranch_execz .LBB6_7068
; %bb.7063:                             ;   in Loop: Header=BB6_6254 Depth=2
	v_bfe_u32 v1, v1, 23, 8
	v_sub_u32_e32 v11, 0x79, v1
	v_cmp_gt_u32_e32 vcc, s70, v1
	v_add_u32_e32 v10, 0xffffff81, v1
	v_cndmask_b32_e32 v11, 0, v11, vcc
	v_cmp_eq_u32_e32 vcc, 0, v1
	v_mov_b32_e32 v1, 0xffffff82
	v_cndmask_b32_e32 v1, v10, v1, vcc
	v_mov_b32_e32 v10, 0x78
	v_cndmask_b32_e32 v20, v11, v10, vcc
	v_add_u32_e32 v10, 20, v20
	v_or_b32_e32 v18, 0x800000, v2
	v_lshlrev_b64 v[10:11], v10, -1
	v_cndmask_b32_e32 v2, v18, v2, vcc
	v_not_b32_e32 v10, v10
	v_and_b32_e32 v18, v2, v10
	v_add_u32_e32 v10, 19, v20
	v_lshrrev_b64 v[2:3], v20, v[2:3]
	v_not_b32_e32 v11, v11
	v_lshlrev_b64 v[26:27], v10, 1
	v_lshrrev_b32_e32 v10, 23, v2
	v_and_b32_e32 v19, 0, v11
	v_add3_u32 v11, v20, v1, v10
	v_bfe_u32 v1, v2, 20, 1
	v_add_u32_e32 v1, -1, v1
	v_cmp_eq_u64_e32 vcc, v[18:19], v[26:27]
	v_cndmask_b32_e32 v1, 0, v1, vcc
	v_add_u32_e32 v1, v1, v2
	v_and_b32_e32 v1, 0xfffff, v1
	v_add_co_u32_e32 v2, vcc, v1, v2
	v_add_u32_e32 v10, 6, v11
	v_addc_co_u32_e32 v3, vcc, 0, v3, vcc
	v_cmp_ne_u32_e32 vcc, 0, v10
                                        ; implicit-def: $vgpr1
	s_and_saveexec_b64 s[20:21], vcc
	s_xor_b64 s[20:21], exec, s[20:21]
; %bb.7064:                             ;   in Loop: Header=BB6_6254 Depth=2
	v_add_u32_e32 v1, 7, v11
	v_cmp_lt_u64_e32 vcc, s[44:45], v[2:3]
	v_cndmask_b32_e32 v1, v10, v1, vcc
	v_cndmask_b32_e64 v10, 0, 1, vcc
	v_lshrrev_b64 v[2:3], v10, v[2:3]
; %bb.7065:                             ;   in Loop: Header=BB6_6254 Depth=2
	s_andn2_saveexec_b64 s[20:21], s[20:21]
; %bb.7066:                             ;   in Loop: Header=BB6_6254 Depth=2
	v_bfe_u32 v1, v2, 23, 1
; %bb.7067:                             ;   in Loop: Header=BB6_6254 Depth=2
	s_or_b64 exec, exec, s[20:21]
	v_lshrrev_b64 v[2:3], 20, v[2:3]
	v_cmp_gt_i32_e32 vcc, 16, v1
	v_cndmask_b32_e32 v3, 0, v3, vcc
	v_cndmask_b32_e32 v2, 7, v2, vcc
	v_cmp_eq_u32_e32 vcc, 0, v1
	v_min_i32_e32 v1, 15, v1
	v_cmp_eq_u64_e64 s[20:21], 0, v[2:3]
	v_lshlrev_b32_e32 v1, 3, v1
	v_and_or_b32 v1, v2, 7, v1
	s_and_b64 s[20:21], vcc, s[20:21]
	v_cndmask_b32_e64 v1, v1, 0, s[20:21]
	v_or_b32_e32 v62, v1, v0
.LBB6_7068:                             ;   in Loop: Header=BB6_6254 Depth=2
	s_or_b64 exec, exec, s[56:57]
.LBB6_7069:                             ;   in Loop: Header=BB6_6254 Depth=2
	s_or_b64 exec, exec, s[54:55]
                                        ; implicit-def: $vgpr1
                                        ; implicit-def: $vgpr2_vgpr3
.LBB6_7070:                             ;   in Loop: Header=BB6_6254 Depth=2
	s_andn2_saveexec_b64 s[20:21], s[52:53]
; %bb.7071:                             ;   in Loop: Header=BB6_6254 Depth=2
	v_or_b32_sdwa v0, v1, s68 dst_sel:DWORD dst_unused:UNUSED_PAD src0_sel:BYTE_3 src1_sel:DWORD
	v_cmp_eq_u64_e32 vcc, 0, v[2:3]
	v_cndmask_b32_e32 v62, v0, v62, vcc
; %bb.7072:                             ;   in Loop: Header=BB6_6254 Depth=2
	s_or_b64 exec, exec, s[20:21]
	v_lshrrev_b16_e32 v2, 8, v38
	v_cmp_ne_u16_e32 vcc, 0, v2
	v_mov_b32_e32 v0, 0
	s_and_saveexec_b64 s[20:21], vcc
	s_cbranch_execz .LBB6_7078
; %bb.7073:                             ;   in Loop: Header=BB6_6254 Depth=2
	v_cmp_ne_u16_e32 vcc, s69, v2
	v_bfrev_b32_e32 v0, 1
	s_and_saveexec_b64 s[52:53], vcc
	s_cbranch_execz .LBB6_7077
; %bb.7074:                             ;   in Loop: Header=BB6_6254 Depth=2
	v_and_b32_e32 v1, 0x7f, v2
	v_cmp_ne_u32_e32 vcc, s68, v1
	v_mov_b32_e32 v0, 0x7f800001
	s_and_saveexec_b64 s[54:55], vcc
	s_cbranch_execz .LBB6_7076
; %bb.7075:                             ;   in Loop: Header=BB6_6254 Depth=2
	v_and_b32_e32 v0, 7, v2
	v_ffbh_u32_e32 v3, v0
	v_min_u32_e32 v11, 32, v3
	v_subrev_u32_e32 v3, 28, v11
	v_lshlrev_b64 v[2:3], v3, v[2:3]
	v_lshrrev_b32_e32 v10, 3, v1
	v_sub_u32_e32 v3, 29, v11
	v_and_b32_e32 v2, 7, v2
	v_cmp_gt_u32_e32 vcc, 8, v1
	v_cndmask_b32_e32 v1, v10, v3, vcc
	v_cndmask_b32_e32 v0, v0, v2, vcc
	v_lshlrev_b32_e32 v2, 16, v38
	v_bfrev_b32_e32 v3, 60
	v_lshlrev_b32_e32 v0, 20, v0
	v_and_b32_e32 v2, 0x80000000, v2
	v_lshl_add_u32 v1, v1, 23, v3
	v_or3_b32 v0, v2, v1, v0
.LBB6_7076:                             ;   in Loop: Header=BB6_6254 Depth=2
	s_or_b64 exec, exec, s[54:55]
.LBB6_7077:                             ;   in Loop: Header=BB6_6254 Depth=2
	s_or_b64 exec, exec, s[52:53]
.LBB6_7078:                             ;   in Loop: Header=BB6_6254 Depth=2
	s_or_b64 exec, exec, s[20:21]
	v_mul_f32_e32 v1, v16, v0
	v_and_b32_sdwa v0, v1, s69 dst_sel:DWORD dst_unused:UNUSED_PAD src0_sel:BYTE_3 src1_sel:DWORD
	v_and_b32_e32 v2, 0x7f800000, v1
	v_mov_b32_e32 v3, v39
	v_and_b32_e32 v38, 0x7fffff, v1
	v_or_b32_e32 v61, 0x7e, v0
	v_cmp_ne_u64_e32 vcc, s[38:39], v[2:3]
	s_and_saveexec_b64 s[20:21], vcc
	s_xor_b64 s[52:53], exec, s[20:21]
	s_cbranch_execz .LBB6_7088
; %bb.7079:                             ;   in Loop: Header=BB6_6254 Depth=2
	v_and_b32_e32 v2, 0x7fffffff, v1
	v_mov_b32_e32 v3, v39
	v_cmp_gt_u64_e32 vcc, s[40:41], v[2:3]
	s_and_saveexec_b64 s[54:55], vcc
	s_cbranch_execz .LBB6_7087
; %bb.7080:                             ;   in Loop: Header=BB6_6254 Depth=2
	v_cmp_ne_u32_e32 vcc, 0, v1
	v_mov_b32_e32 v61, 0
	s_and_saveexec_b64 s[56:57], vcc
	s_cbranch_execz .LBB6_7086
; %bb.7081:                             ;   in Loop: Header=BB6_6254 Depth=2
	v_bfe_u32 v1, v1, 23, 8
	v_sub_u32_e32 v3, 0x79, v1
	v_cmp_gt_u32_e32 vcc, s70, v1
	v_add_u32_e32 v2, 0xffffff81, v1
	v_cndmask_b32_e32 v3, 0, v3, vcc
	v_cmp_eq_u32_e32 vcc, 0, v1
	v_mov_b32_e32 v1, 0xffffff82
	v_cndmask_b32_e32 v1, v2, v1, vcc
	v_mov_b32_e32 v2, 0x78
	v_or_b32_e32 v10, 0x800000, v38
	v_cndmask_b32_e32 v11, v3, v2, vcc
	v_cndmask_b32_e32 v38, v10, v38, vcc
	v_add_u32_e32 v2, 20, v11
	v_lshlrev_b64 v[2:3], v2, -1
	v_add_u32_e32 v10, 19, v11
	v_lshrrev_b64 v[26:27], v11, v[38:39]
	v_not_b32_e32 v3, v3
	v_not_b32_e32 v2, v2
	v_lshlrev_b64 v[18:19], v10, 1
	v_lshrrev_b32_e32 v10, 23, v26
	v_and_b32_e32 v3, 0, v3
	v_and_b32_e32 v2, v38, v2
	v_add3_u32 v11, v11, v1, v10
	v_bfe_u32 v1, v26, 20, 1
	v_add_u32_e32 v1, -1, v1
	v_cmp_eq_u64_e32 vcc, v[2:3], v[18:19]
	v_cndmask_b32_e32 v1, 0, v1, vcc
	v_add_u32_e32 v1, v1, v26
	v_and_b32_e32 v1, 0xfffff, v1
	v_add_co_u32_e32 v2, vcc, v1, v26
	v_add_u32_e32 v10, 6, v11
	v_addc_co_u32_e32 v3, vcc, 0, v27, vcc
	v_cmp_ne_u32_e32 vcc, 0, v10
                                        ; implicit-def: $vgpr1
	s_and_saveexec_b64 s[20:21], vcc
	s_xor_b64 s[20:21], exec, s[20:21]
; %bb.7082:                             ;   in Loop: Header=BB6_6254 Depth=2
	v_add_u32_e32 v1, 7, v11
	v_cmp_lt_u64_e32 vcc, s[44:45], v[2:3]
	v_cndmask_b32_e32 v1, v10, v1, vcc
	v_cndmask_b32_e64 v10, 0, 1, vcc
	v_lshrrev_b64 v[2:3], v10, v[2:3]
; %bb.7083:                             ;   in Loop: Header=BB6_6254 Depth=2
	s_andn2_saveexec_b64 s[20:21], s[20:21]
; %bb.7084:                             ;   in Loop: Header=BB6_6254 Depth=2
	v_bfe_u32 v1, v2, 23, 1
; %bb.7085:                             ;   in Loop: Header=BB6_6254 Depth=2
	s_or_b64 exec, exec, s[20:21]
	v_lshrrev_b64 v[2:3], 20, v[2:3]
	v_cmp_gt_i32_e32 vcc, 16, v1
	v_cndmask_b32_e32 v3, 0, v3, vcc
	v_cndmask_b32_e32 v2, 7, v2, vcc
	v_cmp_eq_u32_e32 vcc, 0, v1
	v_min_i32_e32 v1, 15, v1
	v_lshlrev_b32_e32 v1, 3, v1
	v_cmp_eq_u64_e64 s[20:21], 0, v[2:3]
	v_and_b32_e32 v1, 0xf8, v1
	v_and_or_b32 v1, v2, 7, v1
	s_and_b64 s[20:21], vcc, s[20:21]
	v_cndmask_b32_e64 v1, v1, 0, s[20:21]
	v_or_b32_e32 v61, v1, v0
.LBB6_7086:                             ;   in Loop: Header=BB6_6254 Depth=2
	s_or_b64 exec, exec, s[56:57]
.LBB6_7087:                             ;   in Loop: Header=BB6_6254 Depth=2
	s_or_b64 exec, exec, s[54:55]
                                        ; implicit-def: $vgpr1
.LBB6_7088:                             ;   in Loop: Header=BB6_6254 Depth=2
	s_andn2_saveexec_b64 s[20:21], s[52:53]
; %bb.7089:                             ;   in Loop: Header=BB6_6254 Depth=2
	v_or_b32_sdwa v0, v1, s68 dst_sel:DWORD dst_unused:UNUSED_PAD src0_sel:BYTE_3 src1_sel:DWORD
	v_cmp_eq_u64_e32 vcc, 0, v[38:39]
	v_cndmask_b32_e32 v61, v0, v61, vcc
; %bb.7090:                             ;   in Loop: Header=BB6_6254 Depth=2
	s_or_b64 exec, exec, s[20:21]
	v_lshrrev_b32_e32 v2, 16, v13
	v_cmp_ne_u16_sdwa vcc, v2, v39 src0_sel:BYTE_0 src1_sel:DWORD
	v_mov_b32_e32 v0, 0
	s_and_saveexec_b64 s[20:21], vcc
	s_cbranch_execz .LBB6_7096
; %bb.7091:                             ;   in Loop: Header=BB6_6254 Depth=2
	v_cmp_ne_u16_sdwa vcc, v2, s69 src0_sel:BYTE_0 src1_sel:DWORD
	v_bfrev_b32_e32 v0, 1
	s_and_saveexec_b64 s[52:53], vcc
	s_cbranch_execz .LBB6_7095
; %bb.7092:                             ;   in Loop: Header=BB6_6254 Depth=2
	v_bfe_u32 v1, v13, 16, 7
	v_cmp_ne_u32_e32 vcc, s68, v1
	v_mov_b32_e32 v0, 0x7f800001
	s_and_saveexec_b64 s[54:55], vcc
	s_cbranch_execz .LBB6_7094
; %bb.7093:                             ;   in Loop: Header=BB6_6254 Depth=2
	v_and_b32_e32 v0, 7, v2
	v_ffbh_u32_e32 v10, v0
	v_min_u32_e32 v18, 32, v10
	v_lshrrev_b32_e32 v3, 3, v1
	v_subrev_u32_e32 v10, 28, v18
	v_lshlrev_b64 v[10:11], v10, v[2:3]
	v_sub_u32_e32 v11, 29, v18
	v_and_b32_e32 v10, 7, v10
	v_cmp_gt_u32_e32 vcc, 8, v1
	v_cndmask_b32_e32 v1, v3, v11, vcc
	v_cndmask_b32_e32 v0, v0, v10, vcc
	v_lshlrev_b32_e32 v2, 24, v2
	v_bfrev_b32_e32 v3, 60
	v_lshlrev_b32_e32 v0, 20, v0
	v_and_b32_e32 v2, 0x80000000, v2
	v_lshl_add_u32 v1, v1, 23, v3
	v_or3_b32 v0, v2, v1, v0
.LBB6_7094:                             ;   in Loop: Header=BB6_6254 Depth=2
	s_or_b64 exec, exec, s[54:55]
.LBB6_7095:                             ;   in Loop: Header=BB6_6254 Depth=2
	s_or_b64 exec, exec, s[52:53]
.LBB6_7096:                             ;   in Loop: Header=BB6_6254 Depth=2
	s_or_b64 exec, exec, s[20:21]
	v_mul_f32_e32 v1, v16, v0
	v_and_b32_sdwa v0, v1, s69 dst_sel:DWORD dst_unused:UNUSED_PAD src0_sel:BYTE_3 src1_sel:DWORD
	v_and_b32_e32 v2, 0x7f800000, v1
	v_mov_b32_e32 v3, v39
	v_and_b32_e32 v38, 0x7fffff, v1
	v_or_b32_e32 v20, 0x7e, v0
	v_cmp_ne_u64_e32 vcc, s[38:39], v[2:3]
	s_and_saveexec_b64 s[20:21], vcc
	s_xor_b64 s[52:53], exec, s[20:21]
	s_cbranch_execz .LBB6_7106
; %bb.7097:                             ;   in Loop: Header=BB6_6254 Depth=2
	v_and_b32_e32 v2, 0x7fffffff, v1
	v_mov_b32_e32 v3, v39
	v_cmp_gt_u64_e32 vcc, s[40:41], v[2:3]
	s_and_saveexec_b64 s[54:55], vcc
	s_cbranch_execz .LBB6_7105
; %bb.7098:                             ;   in Loop: Header=BB6_6254 Depth=2
	v_cmp_ne_u32_e32 vcc, 0, v1
	v_mov_b32_e32 v20, 0
	s_and_saveexec_b64 s[56:57], vcc
	s_cbranch_execz .LBB6_7104
; %bb.7099:                             ;   in Loop: Header=BB6_6254 Depth=2
	v_bfe_u32 v1, v1, 23, 8
	v_sub_u32_e32 v3, 0x79, v1
	v_cmp_gt_u32_e32 vcc, s70, v1
	v_add_u32_e32 v2, 0xffffff81, v1
	v_cndmask_b32_e32 v3, 0, v3, vcc
	v_cmp_eq_u32_e32 vcc, 0, v1
	v_mov_b32_e32 v1, 0xffffff82
	v_cndmask_b32_e32 v1, v2, v1, vcc
	v_mov_b32_e32 v2, 0x78
	v_or_b32_e32 v10, 0x800000, v38
	v_cndmask_b32_e32 v11, v3, v2, vcc
	v_cndmask_b32_e32 v38, v10, v38, vcc
	v_add_u32_e32 v2, 20, v11
	v_lshlrev_b64 v[2:3], v2, -1
	v_add_u32_e32 v10, 19, v11
	v_lshrrev_b64 v[26:27], v11, v[38:39]
	v_not_b32_e32 v3, v3
	v_not_b32_e32 v2, v2
	v_lshlrev_b64 v[18:19], v10, 1
	v_lshrrev_b32_e32 v10, 23, v26
	v_and_b32_e32 v3, 0, v3
	v_and_b32_e32 v2, v38, v2
	v_add3_u32 v11, v11, v1, v10
	v_bfe_u32 v1, v26, 20, 1
	v_add_u32_e32 v1, -1, v1
	v_cmp_eq_u64_e32 vcc, v[2:3], v[18:19]
	v_cndmask_b32_e32 v1, 0, v1, vcc
	v_add_u32_e32 v1, v1, v26
	v_and_b32_e32 v1, 0xfffff, v1
	v_add_co_u32_e32 v2, vcc, v1, v26
	v_add_u32_e32 v10, 6, v11
	v_addc_co_u32_e32 v3, vcc, 0, v27, vcc
	v_cmp_ne_u32_e32 vcc, 0, v10
                                        ; implicit-def: $vgpr1
	s_and_saveexec_b64 s[20:21], vcc
	s_xor_b64 s[20:21], exec, s[20:21]
; %bb.7100:                             ;   in Loop: Header=BB6_6254 Depth=2
	v_add_u32_e32 v1, 7, v11
	v_cmp_lt_u64_e32 vcc, s[44:45], v[2:3]
	v_cndmask_b32_e32 v1, v10, v1, vcc
	v_cndmask_b32_e64 v10, 0, 1, vcc
	v_lshrrev_b64 v[2:3], v10, v[2:3]
; %bb.7101:                             ;   in Loop: Header=BB6_6254 Depth=2
	s_andn2_saveexec_b64 s[20:21], s[20:21]
; %bb.7102:                             ;   in Loop: Header=BB6_6254 Depth=2
	v_bfe_u32 v1, v2, 23, 1
; %bb.7103:                             ;   in Loop: Header=BB6_6254 Depth=2
	s_or_b64 exec, exec, s[20:21]
	v_lshrrev_b64 v[2:3], 20, v[2:3]
	v_cmp_gt_i32_e32 vcc, 16, v1
	v_cndmask_b32_e32 v3, 0, v3, vcc
	v_cndmask_b32_e32 v2, 7, v2, vcc
	v_cmp_eq_u32_e32 vcc, 0, v1
	v_min_i32_e32 v1, 15, v1
	v_lshlrev_b32_e32 v1, 3, v1
	v_cmp_eq_u64_e64 s[20:21], 0, v[2:3]
	v_and_b32_e32 v1, 0xf8, v1
	v_and_or_b32 v1, v2, 7, v1
	s_and_b64 s[20:21], vcc, s[20:21]
	v_cndmask_b32_e64 v1, v1, 0, s[20:21]
	v_or_b32_e32 v20, v1, v0
.LBB6_7104:                             ;   in Loop: Header=BB6_6254 Depth=2
	s_or_b64 exec, exec, s[56:57]
.LBB6_7105:                             ;   in Loop: Header=BB6_6254 Depth=2
	s_or_b64 exec, exec, s[54:55]
                                        ; implicit-def: $vgpr1
.LBB6_7106:                             ;   in Loop: Header=BB6_6254 Depth=2
	s_andn2_saveexec_b64 s[20:21], s[52:53]
; %bb.7107:                             ;   in Loop: Header=BB6_6254 Depth=2
	v_or_b32_sdwa v0, v1, s68 dst_sel:DWORD dst_unused:UNUSED_PAD src0_sel:BYTE_3 src1_sel:DWORD
	v_cmp_eq_u64_e32 vcc, 0, v[38:39]
	v_cndmask_b32_e32 v20, v0, v20, vcc
; %bb.7108:                             ;   in Loop: Header=BB6_6254 Depth=2
	s_or_b64 exec, exec, s[20:21]
	v_cmp_lt_u64_e32 vcc, s[42:43], v[12:13]
	v_mov_b32_e32 v0, 0
	s_and_saveexec_b64 s[20:21], vcc
	s_cbranch_execz .LBB6_7114
; %bb.7109:                             ;   in Loop: Header=BB6_6254 Depth=2
	v_lshrrev_b32_e32 v2, 24, v13
	v_cmp_ne_u32_e32 vcc, s69, v2
	v_bfrev_b32_e32 v0, 1
	s_and_saveexec_b64 s[52:53], vcc
	s_cbranch_execz .LBB6_7113
; %bb.7110:                             ;   in Loop: Header=BB6_6254 Depth=2
	v_bfe_u32 v1, v13, 24, 7
	v_cmp_ne_u32_e32 vcc, s68, v1
	v_mov_b32_e32 v0, 0x7f800001
	s_and_saveexec_b64 s[54:55], vcc
	s_cbranch_execz .LBB6_7112
; %bb.7111:                             ;   in Loop: Header=BB6_6254 Depth=2
	v_and_b32_e32 v0, 7, v2
	v_ffbh_u32_e32 v10, v0
	v_min_u32_e32 v12, 32, v10
	v_lshrrev_b32_e32 v3, 3, v1
	v_subrev_u32_e32 v10, 28, v12
	v_lshlrev_b64 v[10:11], v10, v[2:3]
	v_sub_u32_e32 v11, 29, v12
	v_and_b32_e32 v10, 7, v10
	v_cmp_gt_u32_e32 vcc, 8, v1
	v_cndmask_b32_e32 v1, v3, v11, vcc
	v_cndmask_b32_e32 v0, v0, v10, vcc
	v_lshlrev_b32_e32 v2, 24, v2
	v_bfrev_b32_e32 v3, 60
	v_lshlrev_b32_e32 v0, 20, v0
	v_and_b32_e32 v2, 0x80000000, v2
	v_lshl_add_u32 v1, v1, 23, v3
	v_or3_b32 v0, v2, v1, v0
.LBB6_7112:                             ;   in Loop: Header=BB6_6254 Depth=2
	s_or_b64 exec, exec, s[54:55]
.LBB6_7113:                             ;   in Loop: Header=BB6_6254 Depth=2
	s_or_b64 exec, exec, s[52:53]
.LBB6_7114:                             ;   in Loop: Header=BB6_6254 Depth=2
	s_or_b64 exec, exec, s[20:21]
	v_mul_f32_e32 v2, v16, v0
	v_and_b32_sdwa v0, v2, s69 dst_sel:DWORD dst_unused:UNUSED_PAD src0_sel:BYTE_3 src1_sel:DWORD
	v_and_b32_e32 v10, 0x7f800000, v2
	v_mov_b32_e32 v11, v39
	v_and_b32_e32 v38, 0x7fffff, v2
	v_or_b32_e32 v1, 0x7e, v0
	v_cmp_ne_u64_e32 vcc, s[38:39], v[10:11]
	s_and_saveexec_b64 s[20:21], vcc
	s_xor_b64 s[52:53], exec, s[20:21]
	s_cbranch_execz .LBB6_7124
; %bb.7115:                             ;   in Loop: Header=BB6_6254 Depth=2
	v_and_b32_e32 v10, 0x7fffffff, v2
	v_mov_b32_e32 v11, v39
	v_cmp_gt_u64_e32 vcc, s[40:41], v[10:11]
	s_and_saveexec_b64 s[54:55], vcc
	s_cbranch_execz .LBB6_7123
; %bb.7116:                             ;   in Loop: Header=BB6_6254 Depth=2
	v_cmp_ne_u32_e32 vcc, 0, v2
	v_mov_b32_e32 v1, 0
	s_and_saveexec_b64 s[56:57], vcc
	s_cbranch_execz .LBB6_7122
; %bb.7117:                             ;   in Loop: Header=BB6_6254 Depth=2
	v_bfe_u32 v1, v2, 23, 8
	v_sub_u32_e32 v3, 0x79, v1
	v_cmp_gt_u32_e32 vcc, s70, v1
	v_add_u32_e32 v2, 0xffffff81, v1
	v_cndmask_b32_e32 v3, 0, v3, vcc
	v_cmp_eq_u32_e32 vcc, 0, v1
	v_mov_b32_e32 v1, 0xffffff82
	v_cndmask_b32_e32 v1, v2, v1, vcc
	v_mov_b32_e32 v2, 0x78
	v_or_b32_e32 v10, 0x800000, v38
	v_cndmask_b32_e32 v11, v3, v2, vcc
	v_cndmask_b32_e32 v38, v10, v38, vcc
	v_add_u32_e32 v2, 20, v11
	v_lshlrev_b64 v[2:3], v2, -1
	v_add_u32_e32 v10, 19, v11
	v_lshrrev_b64 v[18:19], v11, v[38:39]
	v_not_b32_e32 v3, v3
	v_not_b32_e32 v2, v2
	v_lshlrev_b64 v[12:13], v10, 1
	v_lshrrev_b32_e32 v10, 23, v18
	v_and_b32_e32 v3, 0, v3
	v_and_b32_e32 v2, v38, v2
	v_add3_u32 v11, v11, v1, v10
	v_bfe_u32 v1, v18, 20, 1
	v_add_u32_e32 v1, -1, v1
	v_cmp_eq_u64_e32 vcc, v[2:3], v[12:13]
	v_cndmask_b32_e32 v1, 0, v1, vcc
	v_add_u32_e32 v1, v1, v18
	v_and_b32_e32 v1, 0xfffff, v1
	v_add_co_u32_e32 v2, vcc, v1, v18
	v_add_u32_e32 v10, 6, v11
	v_addc_co_u32_e32 v3, vcc, 0, v19, vcc
	v_cmp_ne_u32_e32 vcc, 0, v10
                                        ; implicit-def: $vgpr1
	s_and_saveexec_b64 s[20:21], vcc
	s_xor_b64 s[20:21], exec, s[20:21]
; %bb.7118:                             ;   in Loop: Header=BB6_6254 Depth=2
	v_add_u32_e32 v1, 7, v11
	v_cmp_lt_u64_e32 vcc, s[44:45], v[2:3]
	v_cndmask_b32_e32 v1, v10, v1, vcc
	v_cndmask_b32_e64 v10, 0, 1, vcc
	v_lshrrev_b64 v[2:3], v10, v[2:3]
; %bb.7119:                             ;   in Loop: Header=BB6_6254 Depth=2
	s_andn2_saveexec_b64 s[20:21], s[20:21]
; %bb.7120:                             ;   in Loop: Header=BB6_6254 Depth=2
	v_bfe_u32 v1, v2, 23, 1
; %bb.7121:                             ;   in Loop: Header=BB6_6254 Depth=2
	s_or_b64 exec, exec, s[20:21]
	v_lshrrev_b64 v[2:3], 20, v[2:3]
	v_cmp_gt_i32_e32 vcc, 16, v1
	v_cndmask_b32_e32 v3, 0, v3, vcc
	v_cndmask_b32_e32 v2, 7, v2, vcc
	v_cmp_eq_u32_e32 vcc, 0, v1
	v_min_i32_e32 v1, 15, v1
	v_lshlrev_b32_e32 v1, 3, v1
	v_cmp_eq_u64_e64 s[20:21], 0, v[2:3]
	v_and_b32_e32 v1, 0xf8, v1
	v_and_or_b32 v1, v2, 7, v1
	s_and_b64 s[20:21], vcc, s[20:21]
	v_cndmask_b32_e64 v1, v1, 0, s[20:21]
	v_or_b32_e32 v1, v1, v0
.LBB6_7122:                             ;   in Loop: Header=BB6_6254 Depth=2
	s_or_b64 exec, exec, s[56:57]
.LBB6_7123:                             ;   in Loop: Header=BB6_6254 Depth=2
	s_or_b64 exec, exec, s[54:55]
                                        ; implicit-def: $vgpr2
.LBB6_7124:                             ;   in Loop: Header=BB6_6254 Depth=2
	s_andn2_saveexec_b64 s[20:21], s[52:53]
; %bb.7125:                             ;   in Loop: Header=BB6_6254 Depth=2
	v_or_b32_sdwa v0, v2, s68 dst_sel:DWORD dst_unused:UNUSED_PAD src0_sel:BYTE_3 src1_sel:DWORD
	v_cmp_eq_u64_e32 vcc, 0, v[38:39]
	v_cndmask_b32_e32 v1, v0, v1, vcc
; %bb.7126:                             ;   in Loop: Header=BB6_6254 Depth=2
	s_or_b64 exec, exec, s[20:21]
	global_load_dwordx4 v[10:13], v[14:15], off offset:3072 glc slc
	v_mov_b32_e32 v0, 0
	s_waitcnt vmcnt(0)
	v_cmp_ne_u16_sdwa vcc, v10, v39 src0_sel:BYTE_0 src1_sel:DWORD
	s_and_saveexec_b64 s[20:21], vcc
	s_cbranch_execz .LBB6_7132
; %bb.7127:                             ;   in Loop: Header=BB6_6254 Depth=2
	v_cmp_ne_u16_sdwa vcc, v10, s69 src0_sel:BYTE_0 src1_sel:DWORD
	v_bfrev_b32_e32 v0, 1
	s_and_saveexec_b64 s[52:53], vcc
	s_cbranch_execz .LBB6_7131
; %bb.7128:                             ;   in Loop: Header=BB6_6254 Depth=2
	v_and_b32_e32 v2, 0x7f, v10
	v_cmp_ne_u32_e32 vcc, s68, v2
	v_mov_b32_e32 v0, 0x7f800001
	s_and_saveexec_b64 s[54:55], vcc
	s_cbranch_execz .LBB6_7130
; %bb.7129:                             ;   in Loop: Header=BB6_6254 Depth=2
	v_and_b32_e32 v0, 7, v10
	v_ffbh_u32_e32 v0, v0
	v_min_u32_e32 v0, 32, v0
	v_subrev_u32_e32 v14, 28, v0
	v_cmp_gt_u32_e32 vcc, 8, v2
	v_lshrrev_b32_e32 v3, 3, v2
	v_sub_u32_e32 v0, 29, v0
	v_cndmask_b32_e32 v2, 0, v14, vcc
	v_cndmask_b32_e32 v0, v3, v0, vcc
	v_lshlrev_b64 v[2:3], v2, v[10:11]
	v_lshlrev_b32_e32 v2, 20, v2
	v_lshlrev_b32_e32 v3, 24, v10
	v_bfrev_b32_e32 v14, 60
	v_and_b32_e32 v2, 0x700000, v2
	v_and_b32_e32 v3, 0x80000000, v3
	v_lshl_add_u32 v0, v0, 23, v14
	v_or3_b32 v0, v3, v0, v2
.LBB6_7130:                             ;   in Loop: Header=BB6_6254 Depth=2
	s_or_b64 exec, exec, s[54:55]
.LBB6_7131:                             ;   in Loop: Header=BB6_6254 Depth=2
	s_or_b64 exec, exec, s[52:53]
.LBB6_7132:                             ;   in Loop: Header=BB6_6254 Depth=2
	s_or_b64 exec, exec, s[20:21]
	v_mul_f32_e32 v2, v16, v0
	v_and_b32_sdwa v14, v2, s69 dst_sel:DWORD dst_unused:UNUSED_PAD src0_sel:BYTE_3 src1_sel:DWORD
	v_and_b32_e32 v18, 0x7f800000, v2
	v_mov_b32_e32 v19, v39
	v_and_b32_e32 v38, 0x7fffff, v2
	v_or_b32_e32 v0, 0x7e, v14
	v_cmp_ne_u64_e32 vcc, s[38:39], v[18:19]
	s_and_saveexec_b64 s[20:21], vcc
	s_xor_b64 s[52:53], exec, s[20:21]
	s_cbranch_execz .LBB6_7142
; %bb.7133:                             ;   in Loop: Header=BB6_6254 Depth=2
	v_and_b32_e32 v18, 0x7fffffff, v2
	v_mov_b32_e32 v19, v39
	v_cmp_gt_u64_e32 vcc, s[40:41], v[18:19]
	s_and_saveexec_b64 s[54:55], vcc
	s_cbranch_execz .LBB6_7141
; %bb.7134:                             ;   in Loop: Header=BB6_6254 Depth=2
	v_cmp_ne_u32_e32 vcc, 0, v2
	v_mov_b32_e32 v0, 0
	s_and_saveexec_b64 s[56:57], vcc
	s_cbranch_execz .LBB6_7140
; %bb.7135:                             ;   in Loop: Header=BB6_6254 Depth=2
	v_bfe_u32 v0, v2, 23, 8
	v_sub_u32_e32 v3, 0x79, v0
	v_cmp_gt_u32_e32 vcc, s70, v0
	v_add_u32_e32 v2, 0xffffff81, v0
	v_cndmask_b32_e32 v3, 0, v3, vcc
	v_cmp_eq_u32_e32 vcc, 0, v0
	v_mov_b32_e32 v0, 0xffffff82
	v_cndmask_b32_e32 v0, v2, v0, vcc
	v_mov_b32_e32 v2, 0x78
	v_or_b32_e32 v15, 0x800000, v38
	v_cndmask_b32_e32 v18, v3, v2, vcc
	v_cndmask_b32_e32 v38, v15, v38, vcc
	v_add_u32_e32 v2, 20, v18
	v_lshlrev_b64 v[2:3], v2, -1
	v_add_u32_e32 v15, 19, v18
	v_lshrrev_b64 v[28:29], v18, v[38:39]
	v_not_b32_e32 v3, v3
	v_not_b32_e32 v2, v2
	v_lshlrev_b64 v[26:27], v15, 1
	v_lshrrev_b32_e32 v15, 23, v28
	v_and_b32_e32 v3, 0, v3
	v_and_b32_e32 v2, v38, v2
	v_add3_u32 v18, v18, v0, v15
	v_bfe_u32 v0, v28, 20, 1
	v_add_u32_e32 v0, -1, v0
	v_cmp_eq_u64_e32 vcc, v[2:3], v[26:27]
	v_cndmask_b32_e32 v0, 0, v0, vcc
	v_add_u32_e32 v0, v0, v28
	v_and_b32_e32 v0, 0xfffff, v0
	v_add_co_u32_e32 v2, vcc, v0, v28
	v_add_u32_e32 v15, 6, v18
	v_addc_co_u32_e32 v3, vcc, 0, v29, vcc
	v_cmp_ne_u32_e32 vcc, 0, v15
                                        ; implicit-def: $vgpr0
	s_and_saveexec_b64 s[20:21], vcc
	s_xor_b64 s[20:21], exec, s[20:21]
; %bb.7136:                             ;   in Loop: Header=BB6_6254 Depth=2
	v_add_u32_e32 v0, 7, v18
	v_cmp_lt_u64_e32 vcc, s[44:45], v[2:3]
	v_cndmask_b32_e32 v0, v15, v0, vcc
	v_cndmask_b32_e64 v15, 0, 1, vcc
	v_lshrrev_b64 v[2:3], v15, v[2:3]
; %bb.7137:                             ;   in Loop: Header=BB6_6254 Depth=2
	s_andn2_saveexec_b64 s[20:21], s[20:21]
; %bb.7138:                             ;   in Loop: Header=BB6_6254 Depth=2
	v_bfe_u32 v0, v2, 23, 1
; %bb.7139:                             ;   in Loop: Header=BB6_6254 Depth=2
	s_or_b64 exec, exec, s[20:21]
	v_lshrrev_b64 v[2:3], 20, v[2:3]
	v_cmp_gt_i32_e32 vcc, 16, v0
	v_cndmask_b32_e32 v3, 0, v3, vcc
	v_cndmask_b32_e32 v2, 7, v2, vcc
	v_cmp_eq_u32_e32 vcc, 0, v0
	v_min_i32_e32 v0, 15, v0
	v_cmp_eq_u64_e64 s[20:21], 0, v[2:3]
	v_lshlrev_b32_e32 v0, 3, v0
	v_and_or_b32 v0, v2, 7, v0
	s_and_b64 s[20:21], vcc, s[20:21]
	v_cndmask_b32_e64 v0, v0, 0, s[20:21]
	v_or_b32_e32 v0, v0, v14
.LBB6_7140:                             ;   in Loop: Header=BB6_6254 Depth=2
	s_or_b64 exec, exec, s[56:57]
.LBB6_7141:                             ;   in Loop: Header=BB6_6254 Depth=2
	s_or_b64 exec, exec, s[54:55]
                                        ; implicit-def: $vgpr2
.LBB6_7142:                             ;   in Loop: Header=BB6_6254 Depth=2
	s_andn2_saveexec_b64 s[20:21], s[52:53]
; %bb.7143:                             ;   in Loop: Header=BB6_6254 Depth=2
	v_or_b32_sdwa v2, v2, s68 dst_sel:DWORD dst_unused:UNUSED_PAD src0_sel:BYTE_3 src1_sel:DWORD
	v_cmp_eq_u64_e32 vcc, 0, v[38:39]
	v_cndmask_b32_e32 v0, v2, v0, vcc
; %bb.7144:                             ;   in Loop: Header=BB6_6254 Depth=2
	s_or_b64 exec, exec, s[20:21]
	v_lshrrev_b16_e32 v2, 8, v10
	v_cmp_ne_u16_e32 vcc, 0, v2
	v_mov_b32_e32 v3, 0
	s_and_saveexec_b64 s[20:21], vcc
	s_cbranch_execz .LBB6_7150
; %bb.7145:                             ;   in Loop: Header=BB6_6254 Depth=2
	v_cmp_ne_u16_e32 vcc, s69, v2
	v_bfrev_b32_e32 v3, 1
	s_and_saveexec_b64 s[52:53], vcc
	s_cbranch_execz .LBB6_7149
; %bb.7146:                             ;   in Loop: Header=BB6_6254 Depth=2
	v_and_b32_e32 v14, 0x7f, v2
	v_cmp_ne_u32_e32 vcc, s68, v14
	v_mov_b32_e32 v3, 0x7f800001
	s_and_saveexec_b64 s[54:55], vcc
	s_cbranch_execz .LBB6_7148
; %bb.7147:                             ;   in Loop: Header=BB6_6254 Depth=2
	v_and_b32_e32 v15, 7, v2
	v_ffbh_u32_e32 v3, v15
	v_min_u32_e32 v19, 32, v3
	v_subrev_u32_e32 v3, 28, v19
	v_lshlrev_b64 v[2:3], v3, v[2:3]
	v_lshrrev_b32_e32 v18, 3, v14
	v_sub_u32_e32 v3, 29, v19
	v_and_b32_e32 v2, 7, v2
	v_cmp_gt_u32_e32 vcc, 8, v14
	v_cndmask_b32_e32 v3, v18, v3, vcc
	v_cndmask_b32_e32 v2, v15, v2, vcc
	v_lshlrev_b32_e32 v14, 16, v10
	v_bfrev_b32_e32 v15, 60
	v_lshlrev_b32_e32 v2, 20, v2
	v_and_b32_e32 v14, 0x80000000, v14
	v_lshl_add_u32 v3, v3, 23, v15
	v_or3_b32 v3, v14, v3, v2
.LBB6_7148:                             ;   in Loop: Header=BB6_6254 Depth=2
	s_or_b64 exec, exec, s[54:55]
.LBB6_7149:                             ;   in Loop: Header=BB6_6254 Depth=2
	s_or_b64 exec, exec, s[52:53]
.LBB6_7150:                             ;   in Loop: Header=BB6_6254 Depth=2
	s_or_b64 exec, exec, s[20:21]
	v_mul_f32_e32 v2, v16, v3
	v_and_b32_sdwa v14, v2, s69 dst_sel:DWORD dst_unused:UNUSED_PAD src0_sel:BYTE_3 src1_sel:DWORD
	v_and_b32_e32 v26, 0x7f800000, v2
	v_mov_b32_e32 v27, v39
	v_and_b32_e32 v38, 0x7fffff, v2
	v_or_b32_e32 v18, 0x7e, v14
	v_cmp_ne_u64_e32 vcc, s[38:39], v[26:27]
	s_and_saveexec_b64 s[20:21], vcc
	s_xor_b64 s[52:53], exec, s[20:21]
	s_cbranch_execz .LBB6_7160
; %bb.7151:                             ;   in Loop: Header=BB6_6254 Depth=2
	v_and_b32_e32 v26, 0x7fffffff, v2
	v_mov_b32_e32 v27, v39
	v_cmp_gt_u64_e32 vcc, s[40:41], v[26:27]
	s_and_saveexec_b64 s[54:55], vcc
	s_cbranch_execz .LBB6_7159
; %bb.7152:                             ;   in Loop: Header=BB6_6254 Depth=2
	v_cmp_ne_u32_e32 vcc, 0, v2
	v_mov_b32_e32 v18, 0
	s_and_saveexec_b64 s[56:57], vcc
	s_cbranch_execz .LBB6_7158
; %bb.7153:                             ;   in Loop: Header=BB6_6254 Depth=2
	v_bfe_u32 v2, v2, 23, 8
	v_sub_u32_e32 v15, 0x79, v2
	v_cmp_gt_u32_e32 vcc, s70, v2
	v_add_u32_e32 v3, 0xffffff81, v2
	v_cndmask_b32_e32 v15, 0, v15, vcc
	v_cmp_eq_u32_e32 vcc, 0, v2
	v_mov_b32_e32 v2, 0xffffff82
	v_cndmask_b32_e32 v19, v3, v2, vcc
	v_mov_b32_e32 v2, 0x78
	v_or_b32_e32 v18, 0x800000, v38
	v_cndmask_b32_e32 v15, v15, v2, vcc
	v_cndmask_b32_e32 v38, v18, v38, vcc
	v_add_u32_e32 v2, 20, v15
	v_lshlrev_b64 v[2:3], v2, -1
	v_add_u32_e32 v18, 19, v15
	v_lshrrev_b64 v[28:29], v15, v[38:39]
	v_not_b32_e32 v3, v3
	v_not_b32_e32 v2, v2
	v_lshlrev_b64 v[26:27], v18, 1
	v_lshrrev_b32_e32 v18, 23, v28
	v_and_b32_e32 v3, 0, v3
	v_and_b32_e32 v2, v38, v2
	v_add3_u32 v19, v15, v19, v18
	v_bfe_u32 v15, v28, 20, 1
	v_add_u32_e32 v15, -1, v15
	v_cmp_eq_u64_e32 vcc, v[2:3], v[26:27]
	v_cndmask_b32_e32 v2, 0, v15, vcc
	v_add_u32_e32 v2, v2, v28
	v_and_b32_e32 v2, 0xfffff, v2
	v_add_co_u32_e32 v2, vcc, v2, v28
	v_add_u32_e32 v18, 6, v19
	v_addc_co_u32_e32 v3, vcc, 0, v29, vcc
	v_cmp_ne_u32_e32 vcc, 0, v18
                                        ; implicit-def: $vgpr15
	s_and_saveexec_b64 s[20:21], vcc
	s_xor_b64 s[20:21], exec, s[20:21]
; %bb.7154:                             ;   in Loop: Header=BB6_6254 Depth=2
	v_add_u32_e32 v15, 7, v19
	v_cmp_lt_u64_e32 vcc, s[44:45], v[2:3]
	v_cndmask_b32_e32 v15, v18, v15, vcc
	v_cndmask_b32_e64 v18, 0, 1, vcc
	v_lshrrev_b64 v[2:3], v18, v[2:3]
; %bb.7155:                             ;   in Loop: Header=BB6_6254 Depth=2
	s_andn2_saveexec_b64 s[20:21], s[20:21]
; %bb.7156:                             ;   in Loop: Header=BB6_6254 Depth=2
	v_bfe_u32 v15, v2, 23, 1
; %bb.7157:                             ;   in Loop: Header=BB6_6254 Depth=2
	s_or_b64 exec, exec, s[20:21]
	v_lshrrev_b64 v[2:3], 20, v[2:3]
	v_cmp_gt_i32_e32 vcc, 16, v15
	v_cndmask_b32_e32 v3, 0, v3, vcc
	v_cndmask_b32_e32 v2, 7, v2, vcc
	v_cmp_eq_u64_e64 s[20:21], 0, v[2:3]
	v_min_i32_e32 v3, 15, v15
	v_cmp_eq_u32_e32 vcc, 0, v15
	v_lshlrev_b32_e32 v3, 3, v3
	v_and_or_b32 v2, v2, 7, v3
	s_and_b64 s[20:21], vcc, s[20:21]
	v_cndmask_b32_e64 v2, v2, 0, s[20:21]
	v_or_b32_e32 v18, v2, v14
.LBB6_7158:                             ;   in Loop: Header=BB6_6254 Depth=2
	s_or_b64 exec, exec, s[56:57]
.LBB6_7159:                             ;   in Loop: Header=BB6_6254 Depth=2
	s_or_b64 exec, exec, s[54:55]
                                        ; implicit-def: $vgpr2
.LBB6_7160:                             ;   in Loop: Header=BB6_6254 Depth=2
	s_andn2_saveexec_b64 s[20:21], s[52:53]
; %bb.7161:                             ;   in Loop: Header=BB6_6254 Depth=2
	v_or_b32_sdwa v2, v2, s68 dst_sel:DWORD dst_unused:UNUSED_PAD src0_sel:BYTE_3 src1_sel:DWORD
	v_cmp_eq_u64_e32 vcc, 0, v[38:39]
	v_cndmask_b32_e32 v18, v2, v18, vcc
; %bb.7162:                             ;   in Loop: Header=BB6_6254 Depth=2
	s_or_b64 exec, exec, s[20:21]
	v_lshrrev_b32_e32 v2, 16, v10
	v_cmp_ne_u16_sdwa vcc, v2, v39 src0_sel:BYTE_0 src1_sel:DWORD
	v_mov_b32_e32 v3, 0
	s_and_saveexec_b64 s[20:21], vcc
	s_cbranch_execz .LBB6_7168
; %bb.7163:                             ;   in Loop: Header=BB6_6254 Depth=2
	v_cmp_ne_u16_sdwa vcc, v2, s69 src0_sel:BYTE_0 src1_sel:DWORD
	v_bfrev_b32_e32 v3, 1
	s_and_saveexec_b64 s[52:53], vcc
	s_cbranch_execz .LBB6_7167
; %bb.7164:                             ;   in Loop: Header=BB6_6254 Depth=2
	v_bfe_u32 v14, v10, 16, 7
	v_cmp_ne_u32_e32 vcc, s68, v14
	v_mov_b32_e32 v3, 0x7f800001
	s_and_saveexec_b64 s[54:55], vcc
	s_cbranch_execz .LBB6_7166
; %bb.7165:                             ;   in Loop: Header=BB6_6254 Depth=2
	v_and_b32_e32 v3, 7, v2
	v_ffbh_u32_e32 v19, v3
	v_min_u32_e32 v19, 32, v19
	v_subrev_u32_e32 v25, 28, v19
	v_lshlrev_b64 v[26:27], v25, v[2:3]
	v_lshrrev_b32_e32 v15, 3, v14
	v_sub_u32_e32 v19, 29, v19
	v_and_b32_e32 v25, 7, v26
	v_cmp_gt_u32_e32 vcc, 8, v14
	v_cndmask_b32_e32 v14, v15, v19, vcc
	v_cndmask_b32_e32 v3, v3, v25, vcc
	v_lshlrev_b32_e32 v2, 24, v2
	v_bfrev_b32_e32 v15, 60
	v_lshlrev_b32_e32 v3, 20, v3
	v_and_b32_e32 v2, 0x80000000, v2
	v_lshl_add_u32 v14, v14, 23, v15
	v_or3_b32 v3, v2, v14, v3
.LBB6_7166:                             ;   in Loop: Header=BB6_6254 Depth=2
	s_or_b64 exec, exec, s[54:55]
.LBB6_7167:                             ;   in Loop: Header=BB6_6254 Depth=2
	s_or_b64 exec, exec, s[52:53]
.LBB6_7168:                             ;   in Loop: Header=BB6_6254 Depth=2
	s_or_b64 exec, exec, s[20:21]
	v_mul_f32_e32 v2, v16, v3
	v_and_b32_sdwa v14, v2, s69 dst_sel:DWORD dst_unused:UNUSED_PAD src0_sel:BYTE_3 src1_sel:DWORD
	v_and_b32_e32 v26, 0x7f800000, v2
	v_mov_b32_e32 v27, v39
	v_and_b32_e32 v38, 0x7fffff, v2
	v_or_b32_e32 v19, 0x7e, v14
	v_cmp_ne_u64_e32 vcc, s[38:39], v[26:27]
	s_and_saveexec_b64 s[20:21], vcc
	s_xor_b64 s[52:53], exec, s[20:21]
	s_cbranch_execz .LBB6_7178
; %bb.7169:                             ;   in Loop: Header=BB6_6254 Depth=2
	v_and_b32_e32 v26, 0x7fffffff, v2
	v_mov_b32_e32 v27, v39
	v_cmp_gt_u64_e32 vcc, s[40:41], v[26:27]
	s_and_saveexec_b64 s[54:55], vcc
	s_cbranch_execz .LBB6_7177
; %bb.7170:                             ;   in Loop: Header=BB6_6254 Depth=2
	v_cmp_ne_u32_e32 vcc, 0, v2
	v_mov_b32_e32 v19, 0
	s_and_saveexec_b64 s[56:57], vcc
	s_cbranch_execz .LBB6_7176
; %bb.7171:                             ;   in Loop: Header=BB6_6254 Depth=2
	v_bfe_u32 v2, v2, 23, 8
	v_sub_u32_e32 v15, 0x79, v2
	v_cmp_gt_u32_e32 vcc, s70, v2
	v_add_u32_e32 v3, 0xffffff81, v2
	v_cndmask_b32_e32 v15, 0, v15, vcc
	v_cmp_eq_u32_e32 vcc, 0, v2
	v_mov_b32_e32 v2, 0xffffff82
	v_cndmask_b32_e32 v25, v3, v2, vcc
	v_mov_b32_e32 v2, 0x78
	v_or_b32_e32 v19, 0x800000, v38
	v_cndmask_b32_e32 v15, v15, v2, vcc
	v_cndmask_b32_e32 v38, v19, v38, vcc
	v_add_u32_e32 v2, 20, v15
	v_lshlrev_b64 v[2:3], v2, -1
	v_add_u32_e32 v19, 19, v15
	v_lshrrev_b64 v[28:29], v15, v[38:39]
	v_not_b32_e32 v3, v3
	v_not_b32_e32 v2, v2
	v_lshlrev_b64 v[26:27], v19, 1
	v_lshrrev_b32_e32 v19, 23, v28
	v_and_b32_e32 v3, 0, v3
	v_and_b32_e32 v2, v38, v2
	v_add3_u32 v25, v15, v25, v19
	v_bfe_u32 v15, v28, 20, 1
	v_add_u32_e32 v15, -1, v15
	v_cmp_eq_u64_e32 vcc, v[2:3], v[26:27]
	v_cndmask_b32_e32 v2, 0, v15, vcc
	v_add_u32_e32 v2, v2, v28
	v_and_b32_e32 v2, 0xfffff, v2
	v_add_co_u32_e32 v2, vcc, v2, v28
	v_add_u32_e32 v19, 6, v25
	v_addc_co_u32_e32 v3, vcc, 0, v29, vcc
	v_cmp_ne_u32_e32 vcc, 0, v19
                                        ; implicit-def: $vgpr15
	s_and_saveexec_b64 s[20:21], vcc
	s_xor_b64 s[20:21], exec, s[20:21]
; %bb.7172:                             ;   in Loop: Header=BB6_6254 Depth=2
	v_add_u32_e32 v15, 7, v25
	v_cmp_lt_u64_e32 vcc, s[44:45], v[2:3]
	v_cndmask_b32_e32 v15, v19, v15, vcc
	v_cndmask_b32_e64 v19, 0, 1, vcc
	v_lshrrev_b64 v[2:3], v19, v[2:3]
; %bb.7173:                             ;   in Loop: Header=BB6_6254 Depth=2
	s_andn2_saveexec_b64 s[20:21], s[20:21]
; %bb.7174:                             ;   in Loop: Header=BB6_6254 Depth=2
	v_bfe_u32 v15, v2, 23, 1
; %bb.7175:                             ;   in Loop: Header=BB6_6254 Depth=2
	s_or_b64 exec, exec, s[20:21]
	v_lshrrev_b64 v[2:3], 20, v[2:3]
	v_cmp_gt_i32_e32 vcc, 16, v15
	v_cndmask_b32_e32 v3, 0, v3, vcc
	v_cndmask_b32_e32 v2, 7, v2, vcc
	v_cmp_eq_u64_e64 s[20:21], 0, v[2:3]
	v_min_i32_e32 v3, 15, v15
	v_cmp_eq_u32_e32 vcc, 0, v15
	v_lshlrev_b32_e32 v3, 3, v3
	v_and_or_b32 v2, v2, 7, v3
	s_and_b64 s[20:21], vcc, s[20:21]
	v_cndmask_b32_e64 v2, v2, 0, s[20:21]
	v_or_b32_e32 v19, v2, v14
.LBB6_7176:                             ;   in Loop: Header=BB6_6254 Depth=2
	s_or_b64 exec, exec, s[56:57]
.LBB6_7177:                             ;   in Loop: Header=BB6_6254 Depth=2
	s_or_b64 exec, exec, s[54:55]
                                        ; implicit-def: $vgpr2
.LBB6_7178:                             ;   in Loop: Header=BB6_6254 Depth=2
	s_andn2_saveexec_b64 s[20:21], s[52:53]
; %bb.7179:                             ;   in Loop: Header=BB6_6254 Depth=2
	v_or_b32_sdwa v2, v2, s68 dst_sel:DWORD dst_unused:UNUSED_PAD src0_sel:BYTE_3 src1_sel:DWORD
	v_cmp_eq_u64_e32 vcc, 0, v[38:39]
	v_cndmask_b32_e32 v19, v2, v19, vcc
; %bb.7180:                             ;   in Loop: Header=BB6_6254 Depth=2
	s_or_b64 exec, exec, s[20:21]
	v_cmp_lt_u32_e32 vcc, s43, v10
	v_mov_b32_e32 v3, 0
	s_and_saveexec_b64 s[20:21], vcc
	s_cbranch_execz .LBB6_7186
; %bb.7181:                             ;   in Loop: Header=BB6_6254 Depth=2
	v_lshrrev_b32_e32 v2, 24, v10
	v_cmp_ne_u32_e32 vcc, s69, v2
	v_bfrev_b32_e32 v3, 1
	s_and_saveexec_b64 s[52:53], vcc
	s_cbranch_execz .LBB6_7185
; %bb.7182:                             ;   in Loop: Header=BB6_6254 Depth=2
	v_bfe_u32 v14, v10, 24, 7
	v_cmp_ne_u32_e32 vcc, s68, v14
	v_mov_b32_e32 v3, 0x7f800001
	s_and_saveexec_b64 s[54:55], vcc
	s_cbranch_execz .LBB6_7184
; %bb.7183:                             ;   in Loop: Header=BB6_6254 Depth=2
	v_and_b32_e32 v3, 7, v2
	v_ffbh_u32_e32 v25, v3
	v_min_u32_e32 v25, 32, v25
	v_subrev_u32_e32 v26, 28, v25
	v_lshlrev_b64 v[26:27], v26, v[2:3]
	v_lshrrev_b32_e32 v15, 3, v14
	v_sub_u32_e32 v25, 29, v25
	v_and_b32_e32 v26, 7, v26
	v_cmp_gt_u32_e32 vcc, 8, v14
	v_cndmask_b32_e32 v14, v15, v25, vcc
	v_cndmask_b32_e32 v3, v3, v26, vcc
	v_lshlrev_b32_e32 v2, 24, v2
	v_bfrev_b32_e32 v15, 60
	v_lshlrev_b32_e32 v3, 20, v3
	v_and_b32_e32 v2, 0x80000000, v2
	v_lshl_add_u32 v14, v14, 23, v15
	v_or3_b32 v3, v2, v14, v3
.LBB6_7184:                             ;   in Loop: Header=BB6_6254 Depth=2
	s_or_b64 exec, exec, s[54:55]
.LBB6_7185:                             ;   in Loop: Header=BB6_6254 Depth=2
	s_or_b64 exec, exec, s[52:53]
.LBB6_7186:                             ;   in Loop: Header=BB6_6254 Depth=2
	s_or_b64 exec, exec, s[20:21]
	v_mul_f32_e32 v2, v16, v3
	v_and_b32_sdwa v14, v2, s69 dst_sel:DWORD dst_unused:UNUSED_PAD src0_sel:BYTE_3 src1_sel:DWORD
	v_and_b32_e32 v26, 0x7f800000, v2
	v_mov_b32_e32 v27, v39
	v_and_b32_e32 v38, 0x7fffff, v2
	v_or_b32_e32 v49, 0x7e, v14
	v_cmp_ne_u64_e32 vcc, s[38:39], v[26:27]
	s_and_saveexec_b64 s[20:21], vcc
	s_xor_b64 s[52:53], exec, s[20:21]
	s_cbranch_execz .LBB6_7196
; %bb.7187:                             ;   in Loop: Header=BB6_6254 Depth=2
	v_and_b32_e32 v26, 0x7fffffff, v2
	v_mov_b32_e32 v27, v39
	v_cmp_gt_u64_e32 vcc, s[40:41], v[26:27]
	s_and_saveexec_b64 s[54:55], vcc
	s_cbranch_execz .LBB6_7195
; %bb.7188:                             ;   in Loop: Header=BB6_6254 Depth=2
	v_cmp_ne_u32_e32 vcc, 0, v2
	v_mov_b32_e32 v49, 0
	s_and_saveexec_b64 s[56:57], vcc
	s_cbranch_execz .LBB6_7194
; %bb.7189:                             ;   in Loop: Header=BB6_6254 Depth=2
	v_bfe_u32 v2, v2, 23, 8
	v_cmp_eq_u32_e32 vcc, 0, v2
	v_add_u32_e32 v3, 0xffffff81, v2
	v_cmp_gt_u32_e64 s[20:21], s70, v2
	v_sub_u32_e32 v2, 0x79, v2
	v_mov_b32_e32 v25, 0xffffff82
	v_cndmask_b32_e64 v2, 0, v2, s[20:21]
	v_cndmask_b32_e32 v25, v3, v25, vcc
	v_mov_b32_e32 v3, 0x78
	v_cndmask_b32_e32 v28, v2, v3, vcc
	v_add_u32_e32 v2, 20, v28
	v_or_b32_e32 v15, 0x800000, v38
	v_lshlrev_b64 v[2:3], v2, -1
	v_cndmask_b32_e32 v38, v15, v38, vcc
	v_not_b32_e32 v3, v3
	v_not_b32_e32 v2, v2
	v_add_u32_e32 v15, 19, v28
	v_and_b32_e32 v3, 0, v3
	v_and_b32_e32 v2, v38, v2
	v_lshlrev_b64 v[26:27], v15, 1
	v_cmp_eq_u64_e32 vcc, v[2:3], v[26:27]
	v_lshrrev_b64 v[2:3], v28, v[38:39]
	v_lshrrev_b32_e32 v15, 23, v2
	v_add3_u32 v26, v28, v25, v15
	v_bfe_u32 v15, v2, 20, 1
	v_add_u32_e32 v15, -1, v15
	v_cndmask_b32_e32 v15, 0, v15, vcc
	v_add_u32_e32 v15, v15, v2
	v_and_b32_e32 v15, 0xfffff, v15
	v_add_co_u32_e32 v2, vcc, v15, v2
	v_add_u32_e32 v25, 6, v26
	v_addc_co_u32_e32 v3, vcc, 0, v3, vcc
	v_cmp_ne_u32_e32 vcc, 0, v25
                                        ; implicit-def: $vgpr15
	s_and_saveexec_b64 s[20:21], vcc
	s_xor_b64 s[20:21], exec, s[20:21]
; %bb.7190:                             ;   in Loop: Header=BB6_6254 Depth=2
	v_add_u32_e32 v15, 7, v26
	v_cmp_lt_u64_e32 vcc, s[44:45], v[2:3]
	v_cndmask_b32_e32 v15, v25, v15, vcc
	v_cndmask_b32_e64 v25, 0, 1, vcc
	v_lshrrev_b64 v[2:3], v25, v[2:3]
; %bb.7191:                             ;   in Loop: Header=BB6_6254 Depth=2
	s_andn2_saveexec_b64 s[20:21], s[20:21]
; %bb.7192:                             ;   in Loop: Header=BB6_6254 Depth=2
	v_bfe_u32 v15, v2, 23, 1
; %bb.7193:                             ;   in Loop: Header=BB6_6254 Depth=2
	s_or_b64 exec, exec, s[20:21]
	v_lshrrev_b64 v[2:3], 20, v[2:3]
	v_cmp_gt_i32_e32 vcc, 16, v15
	v_cndmask_b32_e32 v3, 0, v3, vcc
	v_cndmask_b32_e32 v2, 7, v2, vcc
	v_cmp_eq_u64_e64 s[20:21], 0, v[2:3]
	v_min_i32_e32 v3, 15, v15
	v_cmp_eq_u32_e32 vcc, 0, v15
	v_lshlrev_b32_e32 v3, 3, v3
	v_and_or_b32 v2, v2, 7, v3
	s_and_b64 s[20:21], vcc, s[20:21]
	v_cndmask_b32_e64 v2, v2, 0, s[20:21]
	v_or_b32_e32 v49, v2, v14
.LBB6_7194:                             ;   in Loop: Header=BB6_6254 Depth=2
	s_or_b64 exec, exec, s[56:57]
.LBB6_7195:                             ;   in Loop: Header=BB6_6254 Depth=2
	s_or_b64 exec, exec, s[54:55]
                                        ; implicit-def: $vgpr2
.LBB6_7196:                             ;   in Loop: Header=BB6_6254 Depth=2
	s_andn2_saveexec_b64 s[20:21], s[52:53]
; %bb.7197:                             ;   in Loop: Header=BB6_6254 Depth=2
	v_or_b32_sdwa v2, v2, s68 dst_sel:DWORD dst_unused:UNUSED_PAD src0_sel:BYTE_3 src1_sel:DWORD
	v_cmp_eq_u64_e32 vcc, 0, v[38:39]
	v_cndmask_b32_e32 v49, v2, v49, vcc
; %bb.7198:                             ;   in Loop: Header=BB6_6254 Depth=2
	s_or_b64 exec, exec, s[20:21]
	v_mov_b32_e32 v38, v11
	v_cmp_ne_u16_sdwa vcc, v11, v39 src0_sel:BYTE_0 src1_sel:DWORD
	v_mov_b32_e32 v2, 0
	s_and_saveexec_b64 s[20:21], vcc
	s_cbranch_execz .LBB6_7204
; %bb.7199:                             ;   in Loop: Header=BB6_6254 Depth=2
	v_cmp_ne_u16_sdwa vcc, v11, s69 src0_sel:BYTE_0 src1_sel:DWORD
	v_bfrev_b32_e32 v2, 1
	s_and_saveexec_b64 s[52:53], vcc
	s_cbranch_execz .LBB6_7203
; %bb.7200:                             ;   in Loop: Header=BB6_6254 Depth=2
	v_and_b32_e32 v3, 0x7f, v11
	v_cmp_ne_u32_e32 vcc, s68, v3
	v_mov_b32_e32 v2, 0x7f800001
	s_and_saveexec_b64 s[54:55], vcc
	s_cbranch_execz .LBB6_7202
; %bb.7201:                             ;   in Loop: Header=BB6_6254 Depth=2
	v_and_b32_e32 v2, 7, v11
	v_ffbh_u32_e32 v2, v2
	v_min_u32_e32 v2, 32, v2
	v_lshrrev_b32_e32 v14, 3, v3
	v_subrev_u32_e32 v15, 28, v2
	v_sub_u32_e32 v2, 29, v2
	v_cmp_gt_u32_e32 vcc, 8, v3
	v_cndmask_b32_e32 v14, v14, v2, vcc
	v_cndmask_b32_e32 v2, 0, v15, vcc
	v_lshlrev_b64 v[2:3], v2, v[38:39]
	v_lshlrev_b32_e32 v2, 20, v2
	v_lshlrev_b32_e32 v3, 24, v38
	v_bfrev_b32_e32 v15, 60
	v_and_b32_e32 v2, 0x700000, v2
	v_and_b32_e32 v3, 0x80000000, v3
	v_lshl_add_u32 v14, v14, 23, v15
	v_or3_b32 v2, v3, v14, v2
.LBB6_7202:                             ;   in Loop: Header=BB6_6254 Depth=2
	s_or_b64 exec, exec, s[54:55]
.LBB6_7203:                             ;   in Loop: Header=BB6_6254 Depth=2
	s_or_b64 exec, exec, s[52:53]
.LBB6_7204:                             ;   in Loop: Header=BB6_6254 Depth=2
	s_or_b64 exec, exec, s[20:21]
	v_mul_f32_e32 v15, v16, v2
	v_and_b32_sdwa v14, v15, s69 dst_sel:DWORD dst_unused:UNUSED_PAD src0_sel:BYTE_3 src1_sel:DWORD
	v_and_b32_e32 v28, 0x7f800000, v15
	v_mov_b32_e32 v29, v39
	v_and_b32_e32 v2, 0x7fffff, v15
	v_mov_b32_e32 v3, v39
	v_or_b32_e32 v26, 0x7e, v14
	v_cmp_ne_u64_e32 vcc, s[38:39], v[28:29]
	s_and_saveexec_b64 s[20:21], vcc
	s_xor_b64 s[52:53], exec, s[20:21]
	s_cbranch_execz .LBB6_7214
; %bb.7205:                             ;   in Loop: Header=BB6_6254 Depth=2
	v_and_b32_e32 v28, 0x7fffffff, v15
	v_mov_b32_e32 v29, v39
	v_cmp_gt_u64_e32 vcc, s[40:41], v[28:29]
	s_and_saveexec_b64 s[54:55], vcc
	s_cbranch_execz .LBB6_7213
; %bb.7206:                             ;   in Loop: Header=BB6_6254 Depth=2
	v_cmp_ne_u32_e32 vcc, 0, v15
	v_mov_b32_e32 v26, 0
	s_and_saveexec_b64 s[56:57], vcc
	s_cbranch_execz .LBB6_7212
; %bb.7207:                             ;   in Loop: Header=BB6_6254 Depth=2
	v_bfe_u32 v15, v15, 23, 8
	v_cmp_eq_u32_e32 vcc, 0, v15
	v_add_u32_e32 v25, 0xffffff81, v15
	v_cmp_gt_u32_e64 s[20:21], s70, v15
	v_sub_u32_e32 v15, 0x79, v15
	v_mov_b32_e32 v27, 0xffffff82
	v_cndmask_b32_e64 v15, 0, v15, s[20:21]
	v_cndmask_b32_e32 v25, v25, v27, vcc
	v_mov_b32_e32 v27, 0x78
	v_or_b32_e32 v26, 0x800000, v2
	v_cndmask_b32_e32 v15, v15, v27, vcc
	v_cndmask_b32_e32 v2, v26, v2, vcc
	v_add_u32_e32 v26, 20, v15
	v_lshlrev_b64 v[26:27], v26, -1
	v_not_b32_e32 v27, v27
	v_not_b32_e32 v26, v26
	v_add_u32_e32 v28, 19, v15
	v_and_b32_e32 v27, 0, v27
	v_and_b32_e32 v26, v2, v26
	v_lshlrev_b64 v[28:29], v28, 1
	v_lshrrev_b64 v[2:3], v15, v[2:3]
	v_cmp_eq_u64_e32 vcc, v[26:27], v[28:29]
	v_lshrrev_b32_e32 v26, 23, v2
	v_add3_u32 v26, v15, v25, v26
	v_bfe_u32 v15, v2, 20, 1
	v_add_u32_e32 v15, -1, v15
	v_cndmask_b32_e32 v15, 0, v15, vcc
	v_add_u32_e32 v15, v15, v2
	v_and_b32_e32 v15, 0xfffff, v15
	v_add_co_u32_e32 v2, vcc, v15, v2
	v_add_u32_e32 v25, 6, v26
	v_addc_co_u32_e32 v3, vcc, 0, v3, vcc
	v_cmp_ne_u32_e32 vcc, 0, v25
                                        ; implicit-def: $vgpr15
	s_and_saveexec_b64 s[20:21], vcc
	s_xor_b64 s[20:21], exec, s[20:21]
; %bb.7208:                             ;   in Loop: Header=BB6_6254 Depth=2
	v_add_u32_e32 v15, 7, v26
	v_cmp_lt_u64_e32 vcc, s[44:45], v[2:3]
	v_cndmask_b32_e32 v15, v25, v15, vcc
	v_cndmask_b32_e64 v25, 0, 1, vcc
	v_lshrrev_b64 v[2:3], v25, v[2:3]
; %bb.7209:                             ;   in Loop: Header=BB6_6254 Depth=2
	s_andn2_saveexec_b64 s[20:21], s[20:21]
; %bb.7210:                             ;   in Loop: Header=BB6_6254 Depth=2
	v_bfe_u32 v15, v2, 23, 1
; %bb.7211:                             ;   in Loop: Header=BB6_6254 Depth=2
	s_or_b64 exec, exec, s[20:21]
	v_lshrrev_b64 v[2:3], 20, v[2:3]
	v_cmp_gt_i32_e32 vcc, 16, v15
	v_cndmask_b32_e32 v3, 0, v3, vcc
	v_cndmask_b32_e32 v2, 7, v2, vcc
	v_cmp_eq_u64_e64 s[20:21], 0, v[2:3]
	v_min_i32_e32 v3, 15, v15
	v_cmp_eq_u32_e32 vcc, 0, v15
	v_lshlrev_b32_e32 v3, 3, v3
	v_and_or_b32 v2, v2, 7, v3
	s_and_b64 s[20:21], vcc, s[20:21]
	v_cndmask_b32_e64 v2, v2, 0, s[20:21]
	v_or_b32_e32 v26, v2, v14
.LBB6_7212:                             ;   in Loop: Header=BB6_6254 Depth=2
	s_or_b64 exec, exec, s[56:57]
.LBB6_7213:                             ;   in Loop: Header=BB6_6254 Depth=2
	s_or_b64 exec, exec, s[54:55]
                                        ; implicit-def: $vgpr15
                                        ; implicit-def: $vgpr2_vgpr3
.LBB6_7214:                             ;   in Loop: Header=BB6_6254 Depth=2
	s_andn2_saveexec_b64 s[20:21], s[52:53]
; %bb.7215:                             ;   in Loop: Header=BB6_6254 Depth=2
	v_or_b32_sdwa v14, v15, s68 dst_sel:DWORD dst_unused:UNUSED_PAD src0_sel:BYTE_3 src1_sel:DWORD
	v_cmp_eq_u64_e32 vcc, 0, v[2:3]
	v_cndmask_b32_e32 v26, v14, v26, vcc
; %bb.7216:                             ;   in Loop: Header=BB6_6254 Depth=2
	s_or_b64 exec, exec, s[20:21]
	v_lshrrev_b16_e32 v2, 8, v38
	v_cmp_ne_u16_e32 vcc, 0, v2
	v_mov_b32_e32 v3, 0
	s_and_saveexec_b64 s[20:21], vcc
	s_cbranch_execz .LBB6_7222
; %bb.7217:                             ;   in Loop: Header=BB6_6254 Depth=2
	v_cmp_ne_u16_e32 vcc, s69, v2
	v_bfrev_b32_e32 v3, 1
	s_and_saveexec_b64 s[52:53], vcc
	s_cbranch_execz .LBB6_7221
; %bb.7218:                             ;   in Loop: Header=BB6_6254 Depth=2
	v_and_b32_e32 v14, 0x7f, v2
	v_cmp_ne_u32_e32 vcc, s68, v14
	v_mov_b32_e32 v3, 0x7f800001
	s_and_saveexec_b64 s[54:55], vcc
	s_cbranch_execz .LBB6_7220
; %bb.7219:                             ;   in Loop: Header=BB6_6254 Depth=2
	v_and_b32_e32 v15, 7, v2
	v_ffbh_u32_e32 v3, v15
	v_lshrrev_b32_e32 v25, 3, v14
	v_cmp_gt_u32_e32 vcc, 8, v14
	v_min_u32_e32 v14, 32, v3
	v_subrev_u32_e32 v3, 28, v14
	v_lshlrev_b64 v[2:3], v3, v[2:3]
	v_sub_u32_e32 v3, 29, v14
	v_and_b32_e32 v2, 7, v2
	v_cndmask_b32_e32 v3, v25, v3, vcc
	v_cndmask_b32_e32 v2, v15, v2, vcc
	v_lshlrev_b32_e32 v14, 16, v38
	v_bfrev_b32_e32 v15, 60
	v_lshlrev_b32_e32 v2, 20, v2
	v_and_b32_e32 v14, 0x80000000, v14
	v_lshl_add_u32 v3, v3, 23, v15
	v_or3_b32 v3, v14, v3, v2
.LBB6_7220:                             ;   in Loop: Header=BB6_6254 Depth=2
	s_or_b64 exec, exec, s[54:55]
.LBB6_7221:                             ;   in Loop: Header=BB6_6254 Depth=2
	s_or_b64 exec, exec, s[52:53]
.LBB6_7222:                             ;   in Loop: Header=BB6_6254 Depth=2
	s_or_b64 exec, exec, s[20:21]
	v_mul_f32_e32 v2, v16, v3
	v_and_b32_sdwa v14, v2, s69 dst_sel:DWORD dst_unused:UNUSED_PAD src0_sel:BYTE_3 src1_sel:DWORD
	v_and_b32_e32 v28, 0x7f800000, v2
	v_mov_b32_e32 v29, v39
	v_and_b32_e32 v38, 0x7fffff, v2
	v_or_b32_e32 v27, 0x7e, v14
	v_cmp_ne_u64_e32 vcc, s[38:39], v[28:29]
	s_and_saveexec_b64 s[20:21], vcc
	s_xor_b64 s[52:53], exec, s[20:21]
	s_cbranch_execz .LBB6_7232
; %bb.7223:                             ;   in Loop: Header=BB6_6254 Depth=2
	v_and_b32_e32 v28, 0x7fffffff, v2
	v_mov_b32_e32 v29, v39
	v_cmp_gt_u64_e32 vcc, s[40:41], v[28:29]
	s_and_saveexec_b64 s[54:55], vcc
	s_cbranch_execz .LBB6_7231
; %bb.7224:                             ;   in Loop: Header=BB6_6254 Depth=2
	v_cmp_ne_u32_e32 vcc, 0, v2
	v_mov_b32_e32 v27, 0
	s_and_saveexec_b64 s[56:57], vcc
	s_cbranch_execz .LBB6_7230
; %bb.7225:                             ;   in Loop: Header=BB6_6254 Depth=2
	v_bfe_u32 v2, v2, 23, 8
	v_cmp_eq_u32_e32 vcc, 0, v2
	v_add_u32_e32 v3, 0xffffff81, v2
	v_cmp_gt_u32_e64 s[20:21], s70, v2
	v_sub_u32_e32 v2, 0x79, v2
	v_mov_b32_e32 v25, 0xffffff82
	v_cndmask_b32_e64 v2, 0, v2, s[20:21]
	v_cndmask_b32_e32 v25, v3, v25, vcc
	v_mov_b32_e32 v3, 0x78
	v_cndmask_b32_e32 v27, v2, v3, vcc
	v_add_u32_e32 v2, 20, v27
	v_or_b32_e32 v15, 0x800000, v38
	v_lshlrev_b64 v[2:3], v2, -1
	v_cndmask_b32_e32 v38, v15, v38, vcc
	v_not_b32_e32 v3, v3
	v_not_b32_e32 v2, v2
	v_add_u32_e32 v15, 19, v27
	v_and_b32_e32 v3, 0, v3
	v_and_b32_e32 v2, v38, v2
	v_lshlrev_b64 v[28:29], v15, 1
	v_cmp_eq_u64_e32 vcc, v[2:3], v[28:29]
	v_lshrrev_b64 v[2:3], v27, v[38:39]
	v_lshrrev_b32_e32 v15, 23, v2
	v_add3_u32 v27, v27, v25, v15
	v_bfe_u32 v15, v2, 20, 1
	v_add_u32_e32 v15, -1, v15
	v_cndmask_b32_e32 v15, 0, v15, vcc
	v_add_u32_e32 v15, v15, v2
	v_and_b32_e32 v15, 0xfffff, v15
	v_add_co_u32_e32 v2, vcc, v15, v2
	v_add_u32_e32 v25, 6, v27
	v_addc_co_u32_e32 v3, vcc, 0, v3, vcc
	v_cmp_ne_u32_e32 vcc, 0, v25
                                        ; implicit-def: $vgpr15
	s_and_saveexec_b64 s[20:21], vcc
	s_xor_b64 s[20:21], exec, s[20:21]
; %bb.7226:                             ;   in Loop: Header=BB6_6254 Depth=2
	v_add_u32_e32 v15, 7, v27
	v_cmp_lt_u64_e32 vcc, s[44:45], v[2:3]
	v_cndmask_b32_e32 v15, v25, v15, vcc
	v_cndmask_b32_e64 v25, 0, 1, vcc
	v_lshrrev_b64 v[2:3], v25, v[2:3]
; %bb.7227:                             ;   in Loop: Header=BB6_6254 Depth=2
	s_andn2_saveexec_b64 s[20:21], s[20:21]
; %bb.7228:                             ;   in Loop: Header=BB6_6254 Depth=2
	v_bfe_u32 v15, v2, 23, 1
; %bb.7229:                             ;   in Loop: Header=BB6_6254 Depth=2
	s_or_b64 exec, exec, s[20:21]
	v_lshrrev_b64 v[2:3], 20, v[2:3]
	v_cmp_gt_i32_e32 vcc, 16, v15
	v_cndmask_b32_e32 v3, 0, v3, vcc
	v_cndmask_b32_e32 v2, 7, v2, vcc
	v_cmp_eq_u64_e64 s[20:21], 0, v[2:3]
	v_min_i32_e32 v3, 15, v15
	v_lshlrev_b32_e32 v3, 3, v3
	v_cmp_eq_u32_e32 vcc, 0, v15
	v_and_b32_e32 v3, 0xf8, v3
	v_and_or_b32 v2, v2, 7, v3
	s_and_b64 s[20:21], vcc, s[20:21]
	v_cndmask_b32_e64 v2, v2, 0, s[20:21]
	v_or_b32_e32 v27, v2, v14
.LBB6_7230:                             ;   in Loop: Header=BB6_6254 Depth=2
	s_or_b64 exec, exec, s[56:57]
.LBB6_7231:                             ;   in Loop: Header=BB6_6254 Depth=2
	s_or_b64 exec, exec, s[54:55]
                                        ; implicit-def: $vgpr2
.LBB6_7232:                             ;   in Loop: Header=BB6_6254 Depth=2
	s_andn2_saveexec_b64 s[20:21], s[52:53]
; %bb.7233:                             ;   in Loop: Header=BB6_6254 Depth=2
	v_or_b32_sdwa v2, v2, s68 dst_sel:DWORD dst_unused:UNUSED_PAD src0_sel:BYTE_3 src1_sel:DWORD
	v_cmp_eq_u64_e32 vcc, 0, v[38:39]
	v_cndmask_b32_e32 v27, v2, v27, vcc
; %bb.7234:                             ;   in Loop: Header=BB6_6254 Depth=2
	s_or_b64 exec, exec, s[20:21]
	v_lshrrev_b32_e32 v2, 16, v11
	v_cmp_ne_u16_sdwa vcc, v2, v39 src0_sel:BYTE_0 src1_sel:DWORD
	v_mov_b32_e32 v3, 0
	s_and_saveexec_b64 s[20:21], vcc
	s_cbranch_execz .LBB6_7240
; %bb.7235:                             ;   in Loop: Header=BB6_6254 Depth=2
	v_cmp_ne_u16_sdwa vcc, v2, s69 src0_sel:BYTE_0 src1_sel:DWORD
	v_bfrev_b32_e32 v3, 1
	s_and_saveexec_b64 s[52:53], vcc
	s_cbranch_execz .LBB6_7239
; %bb.7236:                             ;   in Loop: Header=BB6_6254 Depth=2
	v_bfe_u32 v14, v11, 16, 7
	v_cmp_ne_u32_e32 vcc, s68, v14
	v_mov_b32_e32 v3, 0x7f800001
	s_and_saveexec_b64 s[54:55], vcc
	s_cbranch_execz .LBB6_7238
; %bb.7237:                             ;   in Loop: Header=BB6_6254 Depth=2
	v_and_b32_e32 v3, 7, v2
	v_lshrrev_b32_e32 v25, 3, v14
	v_cmp_gt_u32_e32 vcc, 8, v14
	v_ffbh_u32_e32 v14, v3
	v_min_u32_e32 v28, 32, v14
	v_subrev_u32_e32 v14, 28, v28
	v_lshlrev_b64 v[14:15], v14, v[2:3]
	v_sub_u32_e32 v15, 29, v28
	v_and_b32_e32 v14, 7, v14
	v_cndmask_b32_e32 v15, v25, v15, vcc
	v_cndmask_b32_e32 v3, v3, v14, vcc
	v_lshlrev_b32_e32 v2, 24, v2
	v_bfrev_b32_e32 v14, 60
	v_lshlrev_b32_e32 v3, 20, v3
	v_and_b32_e32 v2, 0x80000000, v2
	v_lshl_add_u32 v14, v15, 23, v14
	v_or3_b32 v3, v2, v14, v3
.LBB6_7238:                             ;   in Loop: Header=BB6_6254 Depth=2
	s_or_b64 exec, exec, s[54:55]
.LBB6_7239:                             ;   in Loop: Header=BB6_6254 Depth=2
	s_or_b64 exec, exec, s[52:53]
.LBB6_7240:                             ;   in Loop: Header=BB6_6254 Depth=2
	s_or_b64 exec, exec, s[20:21]
	v_mul_f32_e32 v2, v16, v3
	v_and_b32_sdwa v14, v2, s69 dst_sel:DWORD dst_unused:UNUSED_PAD src0_sel:BYTE_3 src1_sel:DWORD
	v_and_b32_e32 v28, 0x7f800000, v2
	v_mov_b32_e32 v29, v39
	v_and_b32_e32 v38, 0x7fffff, v2
	v_or_b32_e32 v55, 0x7e, v14
	v_cmp_ne_u64_e32 vcc, s[38:39], v[28:29]
	s_and_saveexec_b64 s[20:21], vcc
	s_xor_b64 s[52:53], exec, s[20:21]
	s_cbranch_execz .LBB6_7250
; %bb.7241:                             ;   in Loop: Header=BB6_6254 Depth=2
	v_and_b32_e32 v28, 0x7fffffff, v2
	v_mov_b32_e32 v29, v39
	v_cmp_gt_u64_e32 vcc, s[40:41], v[28:29]
	s_and_saveexec_b64 s[54:55], vcc
	s_cbranch_execz .LBB6_7249
; %bb.7242:                             ;   in Loop: Header=BB6_6254 Depth=2
	v_cmp_ne_u32_e32 vcc, 0, v2
	v_mov_b32_e32 v55, 0
	s_and_saveexec_b64 s[56:57], vcc
	s_cbranch_execz .LBB6_7248
; %bb.7243:                             ;   in Loop: Header=BB6_6254 Depth=2
	v_bfe_u32 v2, v2, 23, 8
	v_cmp_eq_u32_e32 vcc, 0, v2
	v_add_u32_e32 v3, 0xffffff81, v2
	v_cmp_gt_u32_e64 s[20:21], s70, v2
	v_sub_u32_e32 v2, 0x79, v2
	v_mov_b32_e32 v25, 0xffffff82
	v_cndmask_b32_e64 v2, 0, v2, s[20:21]
	v_cndmask_b32_e32 v25, v3, v25, vcc
	v_mov_b32_e32 v3, 0x78
	v_cndmask_b32_e32 v34, v2, v3, vcc
	v_add_u32_e32 v2, 20, v34
	v_or_b32_e32 v15, 0x800000, v38
	v_lshlrev_b64 v[2:3], v2, -1
	v_cndmask_b32_e32 v38, v15, v38, vcc
	v_not_b32_e32 v3, v3
	v_not_b32_e32 v2, v2
	v_add_u32_e32 v15, 19, v34
	v_and_b32_e32 v3, 0, v3
	v_and_b32_e32 v2, v38, v2
	v_lshlrev_b64 v[28:29], v15, 1
	v_cmp_eq_u64_e32 vcc, v[2:3], v[28:29]
	v_lshrrev_b64 v[2:3], v34, v[38:39]
	v_lshrrev_b32_e32 v15, 23, v2
	v_add3_u32 v28, v34, v25, v15
	v_bfe_u32 v15, v2, 20, 1
	v_add_u32_e32 v15, -1, v15
	v_cndmask_b32_e32 v15, 0, v15, vcc
	v_add_u32_e32 v15, v15, v2
	v_and_b32_e32 v15, 0xfffff, v15
	v_add_co_u32_e32 v2, vcc, v15, v2
	v_add_u32_e32 v25, 6, v28
	v_addc_co_u32_e32 v3, vcc, 0, v3, vcc
	v_cmp_ne_u32_e32 vcc, 0, v25
                                        ; implicit-def: $vgpr15
	s_and_saveexec_b64 s[20:21], vcc
	s_xor_b64 s[20:21], exec, s[20:21]
; %bb.7244:                             ;   in Loop: Header=BB6_6254 Depth=2
	v_add_u32_e32 v15, 7, v28
	v_cmp_lt_u64_e32 vcc, s[44:45], v[2:3]
	v_cndmask_b32_e32 v15, v25, v15, vcc
	v_cndmask_b32_e64 v25, 0, 1, vcc
	v_lshrrev_b64 v[2:3], v25, v[2:3]
; %bb.7245:                             ;   in Loop: Header=BB6_6254 Depth=2
	s_andn2_saveexec_b64 s[20:21], s[20:21]
; %bb.7246:                             ;   in Loop: Header=BB6_6254 Depth=2
	v_bfe_u32 v15, v2, 23, 1
; %bb.7247:                             ;   in Loop: Header=BB6_6254 Depth=2
	s_or_b64 exec, exec, s[20:21]
	v_lshrrev_b64 v[2:3], 20, v[2:3]
	v_cmp_gt_i32_e32 vcc, 16, v15
	v_cndmask_b32_e32 v3, 0, v3, vcc
	v_cndmask_b32_e32 v2, 7, v2, vcc
	v_cmp_eq_u64_e64 s[20:21], 0, v[2:3]
	v_min_i32_e32 v3, 15, v15
	v_lshlrev_b32_e32 v3, 3, v3
	v_cmp_eq_u32_e32 vcc, 0, v15
	v_and_b32_e32 v3, 0xf8, v3
	v_and_or_b32 v2, v2, 7, v3
	s_and_b64 s[20:21], vcc, s[20:21]
	v_cndmask_b32_e64 v2, v2, 0, s[20:21]
	v_or_b32_e32 v55, v2, v14
	v_accvgpr_read_b32 v34, a48
.LBB6_7248:                             ;   in Loop: Header=BB6_6254 Depth=2
	s_or_b64 exec, exec, s[56:57]
.LBB6_7249:                             ;   in Loop: Header=BB6_6254 Depth=2
	s_or_b64 exec, exec, s[54:55]
                                        ; implicit-def: $vgpr2
.LBB6_7250:                             ;   in Loop: Header=BB6_6254 Depth=2
	s_andn2_saveexec_b64 s[20:21], s[52:53]
; %bb.7251:                             ;   in Loop: Header=BB6_6254 Depth=2
	v_or_b32_sdwa v2, v2, s68 dst_sel:DWORD dst_unused:UNUSED_PAD src0_sel:BYTE_3 src1_sel:DWORD
	v_cmp_eq_u64_e32 vcc, 0, v[38:39]
	v_cndmask_b32_e32 v55, v2, v55, vcc
; %bb.7252:                             ;   in Loop: Header=BB6_6254 Depth=2
	s_or_b64 exec, exec, s[20:21]
	v_cmp_lt_u64_e32 vcc, s[42:43], v[10:11]
	v_mov_b32_e32 v3, 0
	s_and_saveexec_b64 s[20:21], vcc
	s_cbranch_execz .LBB6_7258
; %bb.7253:                             ;   in Loop: Header=BB6_6254 Depth=2
	v_lshrrev_b32_e32 v2, 24, v11
	v_cmp_ne_u32_e32 vcc, s69, v2
	v_bfrev_b32_e32 v3, 1
	s_and_saveexec_b64 s[52:53], vcc
	s_cbranch_execz .LBB6_7257
; %bb.7254:                             ;   in Loop: Header=BB6_6254 Depth=2
	v_bfe_u32 v10, v11, 24, 7
	v_cmp_ne_u32_e32 vcc, s68, v10
	v_mov_b32_e32 v3, 0x7f800001
	s_and_saveexec_b64 s[54:55], vcc
	s_cbranch_execz .LBB6_7256
; %bb.7255:                             ;   in Loop: Header=BB6_6254 Depth=2
	v_and_b32_e32 v3, 7, v2
	v_ffbh_u32_e32 v14, v3
	v_min_u32_e32 v25, 32, v14
	v_subrev_u32_e32 v14, 28, v25
	v_lshlrev_b64 v[14:15], v14, v[2:3]
	v_lshrrev_b32_e32 v11, 3, v10
	v_sub_u32_e32 v15, 29, v25
	v_and_b32_e32 v14, 7, v14
	v_cmp_gt_u32_e32 vcc, 8, v10
	v_cndmask_b32_e32 v10, v11, v15, vcc
	v_cndmask_b32_e32 v3, v3, v14, vcc
	v_lshlrev_b32_e32 v2, 24, v2
	v_bfrev_b32_e32 v11, 60
	v_lshlrev_b32_e32 v3, 20, v3
	v_and_b32_e32 v2, 0x80000000, v2
	v_lshl_add_u32 v10, v10, 23, v11
	v_or3_b32 v3, v2, v10, v3
.LBB6_7256:                             ;   in Loop: Header=BB6_6254 Depth=2
	s_or_b64 exec, exec, s[54:55]
.LBB6_7257:                             ;   in Loop: Header=BB6_6254 Depth=2
	s_or_b64 exec, exec, s[52:53]
.LBB6_7258:                             ;   in Loop: Header=BB6_6254 Depth=2
	s_or_b64 exec, exec, s[20:21]
	v_mul_f32_e32 v2, v16, v3
	v_and_b32_sdwa v10, v2, s69 dst_sel:DWORD dst_unused:UNUSED_PAD src0_sel:BYTE_3 src1_sel:DWORD
	v_and_b32_e32 v14, 0x7f800000, v2
	v_mov_b32_e32 v15, v39
	v_and_b32_e32 v38, 0x7fffff, v2
	v_or_b32_e32 v51, 0x7e, v10
	v_cmp_ne_u64_e32 vcc, s[38:39], v[14:15]
	s_and_saveexec_b64 s[20:21], vcc
	s_xor_b64 s[52:53], exec, s[20:21]
	s_cbranch_execz .LBB6_7268
; %bb.7259:                             ;   in Loop: Header=BB6_6254 Depth=2
	v_and_b32_e32 v14, 0x7fffffff, v2
	v_mov_b32_e32 v15, v39
	v_cmp_gt_u64_e32 vcc, s[40:41], v[14:15]
	s_and_saveexec_b64 s[54:55], vcc
	s_cbranch_execz .LBB6_7267
; %bb.7260:                             ;   in Loop: Header=BB6_6254 Depth=2
	v_cmp_ne_u32_e32 vcc, 0, v2
	v_mov_b32_e32 v51, 0
	s_and_saveexec_b64 s[56:57], vcc
	s_cbranch_execz .LBB6_7266
; %bb.7261:                             ;   in Loop: Header=BB6_6254 Depth=2
	v_bfe_u32 v2, v2, 23, 8
	v_cmp_eq_u32_e32 vcc, 0, v2
	v_add_u32_e32 v3, 0xffffff81, v2
	v_cmp_gt_u32_e64 s[20:21], s70, v2
	v_sub_u32_e32 v2, 0x79, v2
	v_mov_b32_e32 v14, 0xffffff82
	v_cndmask_b32_e64 v2, 0, v2, s[20:21]
	v_cndmask_b32_e32 v25, v3, v14, vcc
	v_mov_b32_e32 v3, 0x78
	v_cndmask_b32_e32 v28, v2, v3, vcc
	v_add_u32_e32 v2, 20, v28
	v_or_b32_e32 v11, 0x800000, v38
	v_lshlrev_b64 v[2:3], v2, -1
	v_cndmask_b32_e32 v38, v11, v38, vcc
	v_not_b32_e32 v3, v3
	v_not_b32_e32 v2, v2
	v_add_u32_e32 v11, 19, v28
	v_and_b32_e32 v3, 0, v3
	v_and_b32_e32 v2, v38, v2
	v_lshlrev_b64 v[14:15], v11, 1
	v_cmp_eq_u64_e32 vcc, v[2:3], v[14:15]
	v_lshrrev_b64 v[2:3], v28, v[38:39]
	v_lshrrev_b32_e32 v11, 23, v2
	v_add3_u32 v15, v28, v25, v11
	v_bfe_u32 v11, v2, 20, 1
	v_add_u32_e32 v11, -1, v11
	v_cndmask_b32_e32 v11, 0, v11, vcc
	v_add_u32_e32 v11, v11, v2
	v_and_b32_e32 v11, 0xfffff, v11
	v_add_co_u32_e32 v2, vcc, v11, v2
	v_add_u32_e32 v14, 6, v15
	v_addc_co_u32_e32 v3, vcc, 0, v3, vcc
	v_cmp_ne_u32_e32 vcc, 0, v14
                                        ; implicit-def: $vgpr11
	s_and_saveexec_b64 s[20:21], vcc
	s_xor_b64 s[20:21], exec, s[20:21]
; %bb.7262:                             ;   in Loop: Header=BB6_6254 Depth=2
	v_add_u32_e32 v11, 7, v15
	v_cmp_lt_u64_e32 vcc, s[44:45], v[2:3]
	v_cndmask_b32_e32 v11, v14, v11, vcc
	v_cndmask_b32_e64 v14, 0, 1, vcc
	v_lshrrev_b64 v[2:3], v14, v[2:3]
; %bb.7263:                             ;   in Loop: Header=BB6_6254 Depth=2
	s_andn2_saveexec_b64 s[20:21], s[20:21]
; %bb.7264:                             ;   in Loop: Header=BB6_6254 Depth=2
	v_bfe_u32 v11, v2, 23, 1
; %bb.7265:                             ;   in Loop: Header=BB6_6254 Depth=2
	s_or_b64 exec, exec, s[20:21]
	v_lshrrev_b64 v[2:3], 20, v[2:3]
	v_cmp_gt_i32_e32 vcc, 16, v11
	v_cndmask_b32_e32 v3, 0, v3, vcc
	v_cndmask_b32_e32 v2, 7, v2, vcc
	v_cmp_eq_u64_e64 s[20:21], 0, v[2:3]
	v_min_i32_e32 v3, 15, v11
	v_lshlrev_b32_e32 v3, 3, v3
	v_cmp_eq_u32_e32 vcc, 0, v11
	v_and_b32_e32 v3, 0xf8, v3
	v_and_or_b32 v2, v2, 7, v3
	s_and_b64 s[20:21], vcc, s[20:21]
	v_cndmask_b32_e64 v2, v2, 0, s[20:21]
	v_or_b32_e32 v51, v2, v10
.LBB6_7266:                             ;   in Loop: Header=BB6_6254 Depth=2
	s_or_b64 exec, exec, s[56:57]
.LBB6_7267:                             ;   in Loop: Header=BB6_6254 Depth=2
	s_or_b64 exec, exec, s[54:55]
                                        ; implicit-def: $vgpr2
.LBB6_7268:                             ;   in Loop: Header=BB6_6254 Depth=2
	s_andn2_saveexec_b64 s[20:21], s[52:53]
; %bb.7269:                             ;   in Loop: Header=BB6_6254 Depth=2
	v_or_b32_sdwa v2, v2, s68 dst_sel:DWORD dst_unused:UNUSED_PAD src0_sel:BYTE_3 src1_sel:DWORD
	v_cmp_eq_u64_e32 vcc, 0, v[38:39]
	v_cndmask_b32_e32 v51, v2, v51, vcc
; %bb.7270:                             ;   in Loop: Header=BB6_6254 Depth=2
	s_or_b64 exec, exec, s[20:21]
	v_cmp_ne_u16_sdwa vcc, v12, v39 src0_sel:BYTE_0 src1_sel:DWORD
	v_mov_b32_e32 v2, 0
	s_and_saveexec_b64 s[20:21], vcc
	s_cbranch_execz .LBB6_7276
; %bb.7271:                             ;   in Loop: Header=BB6_6254 Depth=2
	v_cmp_ne_u16_sdwa vcc, v12, s69 src0_sel:BYTE_0 src1_sel:DWORD
	v_bfrev_b32_e32 v2, 1
	s_and_saveexec_b64 s[52:53], vcc
	s_cbranch_execz .LBB6_7275
; %bb.7272:                             ;   in Loop: Header=BB6_6254 Depth=2
	v_and_b32_e32 v3, 0x7f, v12
	v_cmp_ne_u32_e32 vcc, s68, v3
	v_mov_b32_e32 v2, 0x7f800001
	s_and_saveexec_b64 s[54:55], vcc
	s_cbranch_execz .LBB6_7274
; %bb.7273:                             ;   in Loop: Header=BB6_6254 Depth=2
	v_and_b32_e32 v2, 7, v12
	v_ffbh_u32_e32 v2, v2
	v_min_u32_e32 v2, 32, v2
	v_lshrrev_b32_e32 v10, 3, v3
	v_subrev_u32_e32 v11, 28, v2
	v_sub_u32_e32 v2, 29, v2
	v_cmp_gt_u32_e32 vcc, 8, v3
	v_cndmask_b32_e32 v10, v10, v2, vcc
	v_cndmask_b32_e32 v2, 0, v11, vcc
	v_lshlrev_b64 v[2:3], v2, v[12:13]
	v_lshlrev_b32_e32 v2, 20, v2
	v_lshlrev_b32_e32 v3, 24, v12
	v_bfrev_b32_e32 v11, 60
	v_and_b32_e32 v2, 0x700000, v2
	v_and_b32_e32 v3, 0x80000000, v3
	v_lshl_add_u32 v10, v10, 23, v11
	v_or3_b32 v2, v3, v10, v2
.LBB6_7274:                             ;   in Loop: Header=BB6_6254 Depth=2
	s_or_b64 exec, exec, s[54:55]
.LBB6_7275:                             ;   in Loop: Header=BB6_6254 Depth=2
	s_or_b64 exec, exec, s[52:53]
.LBB6_7276:                             ;   in Loop: Header=BB6_6254 Depth=2
	s_or_b64 exec, exec, s[20:21]
	v_mul_f32_e32 v2, v16, v2
	v_and_b32_sdwa v10, v2, s69 dst_sel:DWORD dst_unused:UNUSED_PAD src0_sel:BYTE_3 src1_sel:DWORD
	v_and_b32_e32 v14, 0x7f800000, v2
	v_mov_b32_e32 v15, v39
	v_and_b32_e32 v38, 0x7fffff, v2
	v_or_b32_e32 v56, 0x7e, v10
	v_cmp_ne_u64_e32 vcc, s[38:39], v[14:15]
	s_and_saveexec_b64 s[20:21], vcc
	s_xor_b64 s[52:53], exec, s[20:21]
	s_cbranch_execz .LBB6_7286
; %bb.7277:                             ;   in Loop: Header=BB6_6254 Depth=2
	v_and_b32_e32 v14, 0x7fffffff, v2
	v_mov_b32_e32 v15, v39
	v_cmp_gt_u64_e32 vcc, s[40:41], v[14:15]
	s_and_saveexec_b64 s[54:55], vcc
	s_cbranch_execz .LBB6_7285
; %bb.7278:                             ;   in Loop: Header=BB6_6254 Depth=2
	v_cmp_ne_u32_e32 vcc, 0, v2
	v_mov_b32_e32 v56, 0
	s_and_saveexec_b64 s[56:57], vcc
	s_cbranch_execz .LBB6_7284
; %bb.7279:                             ;   in Loop: Header=BB6_6254 Depth=2
	v_bfe_u32 v2, v2, 23, 8
	v_cmp_eq_u32_e32 vcc, 0, v2
	v_add_u32_e32 v3, 0xffffff81, v2
	v_cmp_gt_u32_e64 s[20:21], s70, v2
	v_sub_u32_e32 v2, 0x79, v2
	v_mov_b32_e32 v14, 0xffffff82
	v_cndmask_b32_e64 v2, 0, v2, s[20:21]
	v_cndmask_b32_e32 v25, v3, v14, vcc
	v_mov_b32_e32 v3, 0x78
	v_cndmask_b32_e32 v28, v2, v3, vcc
	v_add_u32_e32 v2, 20, v28
	v_or_b32_e32 v11, 0x800000, v38
	v_lshlrev_b64 v[2:3], v2, -1
	v_cndmask_b32_e32 v38, v11, v38, vcc
	v_not_b32_e32 v3, v3
	v_not_b32_e32 v2, v2
	v_add_u32_e32 v11, 19, v28
	v_and_b32_e32 v3, 0, v3
	v_and_b32_e32 v2, v38, v2
	v_lshlrev_b64 v[14:15], v11, 1
	v_cmp_eq_u64_e32 vcc, v[2:3], v[14:15]
	v_lshrrev_b64 v[2:3], v28, v[38:39]
	v_lshrrev_b32_e32 v11, 23, v2
	v_add3_u32 v15, v28, v25, v11
	v_bfe_u32 v11, v2, 20, 1
	v_add_u32_e32 v11, -1, v11
	v_cndmask_b32_e32 v11, 0, v11, vcc
	v_add_u32_e32 v11, v11, v2
	v_and_b32_e32 v11, 0xfffff, v11
	v_add_co_u32_e32 v2, vcc, v11, v2
	v_add_u32_e32 v14, 6, v15
	v_addc_co_u32_e32 v3, vcc, 0, v3, vcc
	v_cmp_ne_u32_e32 vcc, 0, v14
                                        ; implicit-def: $vgpr11
	s_and_saveexec_b64 s[20:21], vcc
	s_xor_b64 s[20:21], exec, s[20:21]
; %bb.7280:                             ;   in Loop: Header=BB6_6254 Depth=2
	v_add_u32_e32 v11, 7, v15
	v_cmp_lt_u64_e32 vcc, s[44:45], v[2:3]
	v_cndmask_b32_e32 v11, v14, v11, vcc
	v_cndmask_b32_e64 v14, 0, 1, vcc
	v_lshrrev_b64 v[2:3], v14, v[2:3]
; %bb.7281:                             ;   in Loop: Header=BB6_6254 Depth=2
	s_andn2_saveexec_b64 s[20:21], s[20:21]
; %bb.7282:                             ;   in Loop: Header=BB6_6254 Depth=2
	v_bfe_u32 v11, v2, 23, 1
; %bb.7283:                             ;   in Loop: Header=BB6_6254 Depth=2
	s_or_b64 exec, exec, s[20:21]
	v_lshrrev_b64 v[2:3], 20, v[2:3]
	v_cmp_gt_i32_e32 vcc, 16, v11
	v_cndmask_b32_e32 v3, 0, v3, vcc
	v_cndmask_b32_e32 v2, 7, v2, vcc
	v_cmp_eq_u64_e64 s[20:21], 0, v[2:3]
	v_min_i32_e32 v3, 15, v11
	v_cmp_eq_u32_e32 vcc, 0, v11
	v_lshlrev_b32_e32 v3, 3, v3
	v_and_or_b32 v2, v2, 7, v3
	s_and_b64 s[20:21], vcc, s[20:21]
	v_cndmask_b32_e64 v2, v2, 0, s[20:21]
	v_or_b32_e32 v56, v2, v10
.LBB6_7284:                             ;   in Loop: Header=BB6_6254 Depth=2
	s_or_b64 exec, exec, s[56:57]
.LBB6_7285:                             ;   in Loop: Header=BB6_6254 Depth=2
	s_or_b64 exec, exec, s[54:55]
                                        ; implicit-def: $vgpr2
.LBB6_7286:                             ;   in Loop: Header=BB6_6254 Depth=2
	s_andn2_saveexec_b64 s[20:21], s[52:53]
; %bb.7287:                             ;   in Loop: Header=BB6_6254 Depth=2
	v_or_b32_sdwa v2, v2, s68 dst_sel:DWORD dst_unused:UNUSED_PAD src0_sel:BYTE_3 src1_sel:DWORD
	v_cmp_eq_u64_e32 vcc, 0, v[38:39]
	v_cndmask_b32_e32 v56, v2, v56, vcc
; %bb.7288:                             ;   in Loop: Header=BB6_6254 Depth=2
	s_or_b64 exec, exec, s[20:21]
	v_lshrrev_b16_e32 v2, 8, v12
	v_cmp_ne_u16_e32 vcc, 0, v2
	v_mov_b32_e32 v3, 0
	s_and_saveexec_b64 s[20:21], vcc
	s_cbranch_execz .LBB6_7294
; %bb.7289:                             ;   in Loop: Header=BB6_6254 Depth=2
	v_cmp_ne_u16_e32 vcc, s69, v2
	v_bfrev_b32_e32 v3, 1
	s_and_saveexec_b64 s[52:53], vcc
	s_cbranch_execz .LBB6_7293
; %bb.7290:                             ;   in Loop: Header=BB6_6254 Depth=2
	v_and_b32_e32 v10, 0x7f, v2
	v_cmp_ne_u32_e32 vcc, s68, v10
	v_mov_b32_e32 v3, 0x7f800001
	s_and_saveexec_b64 s[54:55], vcc
	s_cbranch_execz .LBB6_7292
; %bb.7291:                             ;   in Loop: Header=BB6_6254 Depth=2
	v_and_b32_e32 v11, 7, v2
	v_ffbh_u32_e32 v3, v11
	v_lshrrev_b32_e32 v14, 3, v10
	v_cmp_gt_u32_e32 vcc, 8, v10
	v_min_u32_e32 v10, 32, v3
	v_subrev_u32_e32 v3, 28, v10
	v_lshlrev_b64 v[2:3], v3, v[2:3]
	v_sub_u32_e32 v3, 29, v10
	v_and_b32_e32 v2, 7, v2
	v_cndmask_b32_e32 v3, v14, v3, vcc
	v_cndmask_b32_e32 v2, v11, v2, vcc
	v_lshlrev_b32_e32 v10, 16, v12
	v_bfrev_b32_e32 v11, 60
	v_lshlrev_b32_e32 v2, 20, v2
	v_and_b32_e32 v10, 0x80000000, v10
	v_lshl_add_u32 v3, v3, 23, v11
	v_or3_b32 v3, v10, v3, v2
.LBB6_7292:                             ;   in Loop: Header=BB6_6254 Depth=2
	s_or_b64 exec, exec, s[54:55]
.LBB6_7293:                             ;   in Loop: Header=BB6_6254 Depth=2
	s_or_b64 exec, exec, s[52:53]
.LBB6_7294:                             ;   in Loop: Header=BB6_6254 Depth=2
	s_or_b64 exec, exec, s[20:21]
	v_mul_f32_e32 v2, v16, v3
	v_and_b32_sdwa v10, v2, s69 dst_sel:DWORD dst_unused:UNUSED_PAD src0_sel:BYTE_3 src1_sel:DWORD
	v_and_b32_e32 v14, 0x7f800000, v2
	v_mov_b32_e32 v15, v39
	v_and_b32_e32 v38, 0x7fffff, v2
	v_or_b32_e32 v28, 0x7e, v10
	v_cmp_ne_u64_e32 vcc, s[38:39], v[14:15]
	s_and_saveexec_b64 s[20:21], vcc
	s_xor_b64 s[52:53], exec, s[20:21]
	s_cbranch_execz .LBB6_7304
; %bb.7295:                             ;   in Loop: Header=BB6_6254 Depth=2
	v_and_b32_e32 v14, 0x7fffffff, v2
	v_mov_b32_e32 v15, v39
	v_cmp_gt_u64_e32 vcc, s[40:41], v[14:15]
	s_and_saveexec_b64 s[54:55], vcc
	s_cbranch_execz .LBB6_7303
; %bb.7296:                             ;   in Loop: Header=BB6_6254 Depth=2
	v_cmp_ne_u32_e32 vcc, 0, v2
	v_mov_b32_e32 v28, 0
	s_and_saveexec_b64 s[56:57], vcc
	s_cbranch_execz .LBB6_7302
; %bb.7297:                             ;   in Loop: Header=BB6_6254 Depth=2
	v_bfe_u32 v2, v2, 23, 8
	v_cmp_eq_u32_e32 vcc, 0, v2
	v_add_u32_e32 v3, 0xffffff81, v2
	v_cmp_gt_u32_e64 s[20:21], s70, v2
	v_sub_u32_e32 v2, 0x79, v2
	v_mov_b32_e32 v14, 0xffffff82
	v_cndmask_b32_e64 v2, 0, v2, s[20:21]
	v_cndmask_b32_e32 v25, v3, v14, vcc
	v_mov_b32_e32 v3, 0x78
	v_cndmask_b32_e32 v28, v2, v3, vcc
	v_add_u32_e32 v2, 20, v28
	v_or_b32_e32 v11, 0x800000, v38
	v_lshlrev_b64 v[2:3], v2, -1
	v_cndmask_b32_e32 v38, v11, v38, vcc
	v_not_b32_e32 v3, v3
	v_not_b32_e32 v2, v2
	v_add_u32_e32 v11, 19, v28
	v_and_b32_e32 v3, 0, v3
	v_and_b32_e32 v2, v38, v2
	v_lshlrev_b64 v[14:15], v11, 1
	v_cmp_eq_u64_e32 vcc, v[2:3], v[14:15]
	v_lshrrev_b64 v[2:3], v28, v[38:39]
	v_lshrrev_b32_e32 v11, 23, v2
	v_add3_u32 v15, v28, v25, v11
	v_bfe_u32 v11, v2, 20, 1
	v_add_u32_e32 v11, -1, v11
	v_cndmask_b32_e32 v11, 0, v11, vcc
	v_add_u32_e32 v11, v11, v2
	v_and_b32_e32 v11, 0xfffff, v11
	v_add_co_u32_e32 v2, vcc, v11, v2
	v_add_u32_e32 v14, 6, v15
	v_addc_co_u32_e32 v3, vcc, 0, v3, vcc
	v_cmp_ne_u32_e32 vcc, 0, v14
                                        ; implicit-def: $vgpr11
	s_and_saveexec_b64 s[20:21], vcc
	s_xor_b64 s[20:21], exec, s[20:21]
; %bb.7298:                             ;   in Loop: Header=BB6_6254 Depth=2
	v_add_u32_e32 v11, 7, v15
	v_cmp_lt_u64_e32 vcc, s[44:45], v[2:3]
	v_cndmask_b32_e32 v11, v14, v11, vcc
	v_cndmask_b32_e64 v14, 0, 1, vcc
	v_lshrrev_b64 v[2:3], v14, v[2:3]
; %bb.7299:                             ;   in Loop: Header=BB6_6254 Depth=2
	s_andn2_saveexec_b64 s[20:21], s[20:21]
; %bb.7300:                             ;   in Loop: Header=BB6_6254 Depth=2
	v_bfe_u32 v11, v2, 23, 1
; %bb.7301:                             ;   in Loop: Header=BB6_6254 Depth=2
	s_or_b64 exec, exec, s[20:21]
	v_lshrrev_b64 v[2:3], 20, v[2:3]
	v_cmp_gt_i32_e32 vcc, 16, v11
	v_cndmask_b32_e32 v3, 0, v3, vcc
	v_cndmask_b32_e32 v2, 7, v2, vcc
	v_cmp_eq_u64_e64 s[20:21], 0, v[2:3]
	v_min_i32_e32 v3, 15, v11
	v_cmp_eq_u32_e32 vcc, 0, v11
	v_lshlrev_b32_e32 v3, 3, v3
	v_and_or_b32 v2, v2, 7, v3
	s_and_b64 s[20:21], vcc, s[20:21]
	v_cndmask_b32_e64 v2, v2, 0, s[20:21]
	v_or_b32_e32 v28, v2, v10
.LBB6_7302:                             ;   in Loop: Header=BB6_6254 Depth=2
	s_or_b64 exec, exec, s[56:57]
.LBB6_7303:                             ;   in Loop: Header=BB6_6254 Depth=2
	s_or_b64 exec, exec, s[54:55]
                                        ; implicit-def: $vgpr2
.LBB6_7304:                             ;   in Loop: Header=BB6_6254 Depth=2
	s_andn2_saveexec_b64 s[20:21], s[52:53]
; %bb.7305:                             ;   in Loop: Header=BB6_6254 Depth=2
	v_or_b32_sdwa v2, v2, s68 dst_sel:DWORD dst_unused:UNUSED_PAD src0_sel:BYTE_3 src1_sel:DWORD
	v_cmp_eq_u64_e32 vcc, 0, v[38:39]
	v_cndmask_b32_e32 v28, v2, v28, vcc
; %bb.7306:                             ;   in Loop: Header=BB6_6254 Depth=2
	s_or_b64 exec, exec, s[20:21]
	v_lshrrev_b32_e32 v2, 16, v12
	v_cmp_ne_u16_sdwa vcc, v2, v39 src0_sel:BYTE_0 src1_sel:DWORD
	v_mov_b32_e32 v3, 0
	s_and_saveexec_b64 s[20:21], vcc
	s_cbranch_execz .LBB6_7312
; %bb.7307:                             ;   in Loop: Header=BB6_6254 Depth=2
	v_cmp_ne_u16_sdwa vcc, v2, s69 src0_sel:BYTE_0 src1_sel:DWORD
	v_bfrev_b32_e32 v3, 1
	s_and_saveexec_b64 s[52:53], vcc
	s_cbranch_execz .LBB6_7311
; %bb.7308:                             ;   in Loop: Header=BB6_6254 Depth=2
	v_bfe_u32 v10, v12, 16, 7
	v_cmp_ne_u32_e32 vcc, s68, v10
	v_mov_b32_e32 v3, 0x7f800001
	s_and_saveexec_b64 s[54:55], vcc
	s_cbranch_execz .LBB6_7310
; %bb.7309:                             ;   in Loop: Header=BB6_6254 Depth=2
	v_and_b32_e32 v3, 7, v2
	v_lshrrev_b32_e32 v14, 3, v10
	v_cmp_gt_u32_e32 vcc, 8, v10
	v_ffbh_u32_e32 v10, v3
	v_min_u32_e32 v15, 32, v10
	v_subrev_u32_e32 v10, 28, v15
	v_lshlrev_b64 v[10:11], v10, v[2:3]
	v_sub_u32_e32 v11, 29, v15
	v_and_b32_e32 v10, 7, v10
	v_cndmask_b32_e32 v11, v14, v11, vcc
	v_cndmask_b32_e32 v3, v3, v10, vcc
	v_lshlrev_b32_e32 v2, 24, v2
	v_bfrev_b32_e32 v10, 60
	v_lshlrev_b32_e32 v3, 20, v3
	v_and_b32_e32 v2, 0x80000000, v2
	v_lshl_add_u32 v10, v11, 23, v10
	v_or3_b32 v3, v2, v10, v3
.LBB6_7310:                             ;   in Loop: Header=BB6_6254 Depth=2
	s_or_b64 exec, exec, s[54:55]
.LBB6_7311:                             ;   in Loop: Header=BB6_6254 Depth=2
	s_or_b64 exec, exec, s[52:53]
.LBB6_7312:                             ;   in Loop: Header=BB6_6254 Depth=2
	s_or_b64 exec, exec, s[20:21]
	v_mul_f32_e32 v2, v16, v3
	v_and_b32_sdwa v10, v2, s69 dst_sel:DWORD dst_unused:UNUSED_PAD src0_sel:BYTE_3 src1_sel:DWORD
	v_and_b32_e32 v14, 0x7f800000, v2
	v_mov_b32_e32 v15, v39
	v_and_b32_e32 v38, 0x7fffff, v2
	v_or_b32_e32 v29, 0x7e, v10
	v_cmp_ne_u64_e32 vcc, s[38:39], v[14:15]
	s_and_saveexec_b64 s[20:21], vcc
	s_xor_b64 s[52:53], exec, s[20:21]
	s_cbranch_execz .LBB6_7322
; %bb.7313:                             ;   in Loop: Header=BB6_6254 Depth=2
	v_and_b32_e32 v14, 0x7fffffff, v2
	v_mov_b32_e32 v15, v39
	v_cmp_gt_u64_e32 vcc, s[40:41], v[14:15]
	s_and_saveexec_b64 s[54:55], vcc
	s_cbranch_execz .LBB6_7321
; %bb.7314:                             ;   in Loop: Header=BB6_6254 Depth=2
	v_cmp_ne_u32_e32 vcc, 0, v2
	v_mov_b32_e32 v29, 0
	s_and_saveexec_b64 s[56:57], vcc
	s_cbranch_execz .LBB6_7320
; %bb.7315:                             ;   in Loop: Header=BB6_6254 Depth=2
	v_bfe_u32 v2, v2, 23, 8
	v_cmp_eq_u32_e32 vcc, 0, v2
	v_add_u32_e32 v3, 0xffffff81, v2
	v_cmp_gt_u32_e64 s[20:21], s70, v2
	v_sub_u32_e32 v2, 0x79, v2
	v_mov_b32_e32 v14, 0xffffff82
	v_cndmask_b32_e64 v2, 0, v2, s[20:21]
	v_cndmask_b32_e32 v25, v3, v14, vcc
	v_mov_b32_e32 v3, 0x78
	v_cndmask_b32_e32 v29, v2, v3, vcc
	v_add_u32_e32 v2, 20, v29
	v_or_b32_e32 v11, 0x800000, v38
	v_lshlrev_b64 v[2:3], v2, -1
	v_cndmask_b32_e32 v38, v11, v38, vcc
	v_not_b32_e32 v3, v3
	v_not_b32_e32 v2, v2
	v_add_u32_e32 v11, 19, v29
	v_and_b32_e32 v3, 0, v3
	v_and_b32_e32 v2, v38, v2
	v_lshlrev_b64 v[14:15], v11, 1
	v_cmp_eq_u64_e32 vcc, v[2:3], v[14:15]
	v_lshrrev_b64 v[2:3], v29, v[38:39]
	v_lshrrev_b32_e32 v11, 23, v2
	v_add3_u32 v15, v29, v25, v11
	v_bfe_u32 v11, v2, 20, 1
	v_add_u32_e32 v11, -1, v11
	v_cndmask_b32_e32 v11, 0, v11, vcc
	v_add_u32_e32 v11, v11, v2
	v_and_b32_e32 v11, 0xfffff, v11
	v_add_co_u32_e32 v2, vcc, v11, v2
	v_add_u32_e32 v14, 6, v15
	v_addc_co_u32_e32 v3, vcc, 0, v3, vcc
	v_cmp_ne_u32_e32 vcc, 0, v14
                                        ; implicit-def: $vgpr11
	s_and_saveexec_b64 s[20:21], vcc
	s_xor_b64 s[20:21], exec, s[20:21]
; %bb.7316:                             ;   in Loop: Header=BB6_6254 Depth=2
	v_add_u32_e32 v11, 7, v15
	v_cmp_lt_u64_e32 vcc, s[44:45], v[2:3]
	v_cndmask_b32_e32 v11, v14, v11, vcc
	v_cndmask_b32_e64 v14, 0, 1, vcc
	v_lshrrev_b64 v[2:3], v14, v[2:3]
; %bb.7317:                             ;   in Loop: Header=BB6_6254 Depth=2
	s_andn2_saveexec_b64 s[20:21], s[20:21]
; %bb.7318:                             ;   in Loop: Header=BB6_6254 Depth=2
	v_bfe_u32 v11, v2, 23, 1
; %bb.7319:                             ;   in Loop: Header=BB6_6254 Depth=2
	s_or_b64 exec, exec, s[20:21]
	v_lshrrev_b64 v[2:3], 20, v[2:3]
	v_cmp_gt_i32_e32 vcc, 16, v11
	v_cndmask_b32_e32 v3, 0, v3, vcc
	v_cndmask_b32_e32 v2, 7, v2, vcc
	v_cmp_eq_u64_e64 s[20:21], 0, v[2:3]
	v_min_i32_e32 v3, 15, v11
	v_cmp_eq_u32_e32 vcc, 0, v11
	v_lshlrev_b32_e32 v3, 3, v3
	v_and_or_b32 v2, v2, 7, v3
	s_and_b64 s[20:21], vcc, s[20:21]
	v_cndmask_b32_e64 v2, v2, 0, s[20:21]
	v_or_b32_e32 v29, v2, v10
.LBB6_7320:                             ;   in Loop: Header=BB6_6254 Depth=2
	s_or_b64 exec, exec, s[56:57]
.LBB6_7321:                             ;   in Loop: Header=BB6_6254 Depth=2
	s_or_b64 exec, exec, s[54:55]
                                        ; implicit-def: $vgpr2
.LBB6_7322:                             ;   in Loop: Header=BB6_6254 Depth=2
	s_andn2_saveexec_b64 s[20:21], s[52:53]
; %bb.7323:                             ;   in Loop: Header=BB6_6254 Depth=2
	v_or_b32_sdwa v2, v2, s68 dst_sel:DWORD dst_unused:UNUSED_PAD src0_sel:BYTE_3 src1_sel:DWORD
	v_cmp_eq_u64_e32 vcc, 0, v[38:39]
	v_cndmask_b32_e32 v29, v2, v29, vcc
; %bb.7324:                             ;   in Loop: Header=BB6_6254 Depth=2
	s_or_b64 exec, exec, s[20:21]
	v_cmp_lt_u32_e32 vcc, s43, v12
	v_mov_b32_e32 v3, 0
	s_and_saveexec_b64 s[20:21], vcc
	s_cbranch_execz .LBB6_7330
; %bb.7325:                             ;   in Loop: Header=BB6_6254 Depth=2
	v_lshrrev_b32_e32 v2, 24, v12
	v_cmp_ne_u32_e32 vcc, s69, v2
	v_bfrev_b32_e32 v3, 1
	s_and_saveexec_b64 s[52:53], vcc
	s_cbranch_execz .LBB6_7329
; %bb.7326:                             ;   in Loop: Header=BB6_6254 Depth=2
	v_bfe_u32 v10, v12, 24, 7
	v_cmp_ne_u32_e32 vcc, s68, v10
	v_mov_b32_e32 v3, 0x7f800001
	s_and_saveexec_b64 s[54:55], vcc
	s_cbranch_execz .LBB6_7328
; %bb.7327:                             ;   in Loop: Header=BB6_6254 Depth=2
	v_and_b32_e32 v3, 7, v2
	v_lshrrev_b32_e32 v14, 3, v10
	v_cmp_gt_u32_e32 vcc, 8, v10
	v_ffbh_u32_e32 v10, v3
	v_min_u32_e32 v15, 32, v10
	v_subrev_u32_e32 v10, 28, v15
	v_lshlrev_b64 v[10:11], v10, v[2:3]
	v_sub_u32_e32 v11, 29, v15
	v_and_b32_e32 v10, 7, v10
	v_cndmask_b32_e32 v11, v14, v11, vcc
	v_cndmask_b32_e32 v3, v3, v10, vcc
	v_lshlrev_b32_e32 v2, 24, v2
	v_bfrev_b32_e32 v10, 60
	v_lshlrev_b32_e32 v3, 20, v3
	v_and_b32_e32 v2, 0x80000000, v2
	v_lshl_add_u32 v10, v11, 23, v10
	v_or3_b32 v3, v2, v10, v3
.LBB6_7328:                             ;   in Loop: Header=BB6_6254 Depth=2
	s_or_b64 exec, exec, s[54:55]
.LBB6_7329:                             ;   in Loop: Header=BB6_6254 Depth=2
	s_or_b64 exec, exec, s[52:53]
.LBB6_7330:                             ;   in Loop: Header=BB6_6254 Depth=2
	s_or_b64 exec, exec, s[20:21]
	v_mul_f32_e32 v2, v16, v3
	v_and_b32_sdwa v10, v2, s69 dst_sel:DWORD dst_unused:UNUSED_PAD src0_sel:BYTE_3 src1_sel:DWORD
	v_and_b32_e32 v14, 0x7f800000, v2
	v_mov_b32_e32 v15, v39
	v_and_b32_e32 v38, 0x7fffff, v2
	v_or_b32_e32 v41, 0x7e, v10
	v_cmp_ne_u64_e32 vcc, s[38:39], v[14:15]
	s_and_saveexec_b64 s[20:21], vcc
	s_xor_b64 s[52:53], exec, s[20:21]
	s_cbranch_execz .LBB6_7340
; %bb.7331:                             ;   in Loop: Header=BB6_6254 Depth=2
	v_and_b32_e32 v14, 0x7fffffff, v2
	v_mov_b32_e32 v15, v39
	v_cmp_gt_u64_e32 vcc, s[40:41], v[14:15]
	s_and_saveexec_b64 s[54:55], vcc
	s_cbranch_execz .LBB6_7339
; %bb.7332:                             ;   in Loop: Header=BB6_6254 Depth=2
	v_cmp_ne_u32_e32 vcc, 0, v2
	v_mov_b32_e32 v41, 0
	s_and_saveexec_b64 s[56:57], vcc
	s_cbranch_execz .LBB6_7338
; %bb.7333:                             ;   in Loop: Header=BB6_6254 Depth=2
	v_bfe_u32 v2, v2, 23, 8
	v_cmp_eq_u32_e32 vcc, 0, v2
	v_add_u32_e32 v3, 0xffffff81, v2
	v_cmp_gt_u32_e64 s[20:21], s70, v2
	v_sub_u32_e32 v2, 0x79, v2
	v_mov_b32_e32 v14, 0xffffff82
	v_cndmask_b32_e64 v2, 0, v2, s[20:21]
	v_cndmask_b32_e32 v25, v3, v14, vcc
	v_mov_b32_e32 v3, 0x78
	v_cndmask_b32_e32 v34, v2, v3, vcc
	v_add_u32_e32 v2, 20, v34
	v_or_b32_e32 v11, 0x800000, v38
	v_lshlrev_b64 v[2:3], v2, -1
	v_cndmask_b32_e32 v38, v11, v38, vcc
	v_not_b32_e32 v3, v3
	v_not_b32_e32 v2, v2
	v_add_u32_e32 v11, 19, v34
	v_and_b32_e32 v3, 0, v3
	v_and_b32_e32 v2, v38, v2
	v_lshlrev_b64 v[14:15], v11, 1
	v_cmp_eq_u64_e32 vcc, v[2:3], v[14:15]
	v_lshrrev_b64 v[2:3], v34, v[38:39]
	v_lshrrev_b32_e32 v11, 23, v2
	v_add3_u32 v15, v34, v25, v11
	v_bfe_u32 v11, v2, 20, 1
	v_add_u32_e32 v11, -1, v11
	v_cndmask_b32_e32 v11, 0, v11, vcc
	v_add_u32_e32 v11, v11, v2
	v_and_b32_e32 v11, 0xfffff, v11
	v_add_co_u32_e32 v2, vcc, v11, v2
	v_add_u32_e32 v14, 6, v15
	v_addc_co_u32_e32 v3, vcc, 0, v3, vcc
	v_cmp_ne_u32_e32 vcc, 0, v14
                                        ; implicit-def: $vgpr11
	s_and_saveexec_b64 s[20:21], vcc
	s_xor_b64 s[20:21], exec, s[20:21]
; %bb.7334:                             ;   in Loop: Header=BB6_6254 Depth=2
	v_add_u32_e32 v11, 7, v15
	v_cmp_lt_u64_e32 vcc, s[44:45], v[2:3]
	v_cndmask_b32_e32 v11, v14, v11, vcc
	v_cndmask_b32_e64 v14, 0, 1, vcc
	v_lshrrev_b64 v[2:3], v14, v[2:3]
; %bb.7335:                             ;   in Loop: Header=BB6_6254 Depth=2
	s_andn2_saveexec_b64 s[20:21], s[20:21]
; %bb.7336:                             ;   in Loop: Header=BB6_6254 Depth=2
	v_bfe_u32 v11, v2, 23, 1
; %bb.7337:                             ;   in Loop: Header=BB6_6254 Depth=2
	s_or_b64 exec, exec, s[20:21]
	v_lshrrev_b64 v[2:3], 20, v[2:3]
	v_cmp_gt_i32_e32 vcc, 16, v11
	v_cndmask_b32_e32 v3, 0, v3, vcc
	v_cndmask_b32_e32 v2, 7, v2, vcc
	v_cmp_eq_u64_e64 s[20:21], 0, v[2:3]
	v_min_i32_e32 v3, 15, v11
	v_cmp_eq_u32_e32 vcc, 0, v11
	v_lshlrev_b32_e32 v3, 3, v3
	v_and_or_b32 v2, v2, 7, v3
	s_and_b64 s[20:21], vcc, s[20:21]
	v_cndmask_b32_e64 v2, v2, 0, s[20:21]
	v_or_b32_e32 v41, v2, v10
	v_accvgpr_read_b32 v34, a48
.LBB6_7338:                             ;   in Loop: Header=BB6_6254 Depth=2
	s_or_b64 exec, exec, s[56:57]
.LBB6_7339:                             ;   in Loop: Header=BB6_6254 Depth=2
	s_or_b64 exec, exec, s[54:55]
                                        ; implicit-def: $vgpr2
.LBB6_7340:                             ;   in Loop: Header=BB6_6254 Depth=2
	s_andn2_saveexec_b64 s[20:21], s[52:53]
; %bb.7341:                             ;   in Loop: Header=BB6_6254 Depth=2
	v_or_b32_sdwa v2, v2, s68 dst_sel:DWORD dst_unused:UNUSED_PAD src0_sel:BYTE_3 src1_sel:DWORD
	v_cmp_eq_u64_e32 vcc, 0, v[38:39]
	v_cndmask_b32_e32 v41, v2, v41, vcc
; %bb.7342:                             ;   in Loop: Header=BB6_6254 Depth=2
	s_or_b64 exec, exec, s[20:21]
	v_mov_b32_e32 v38, v13
	v_cmp_ne_u16_sdwa vcc, v13, v39 src0_sel:BYTE_0 src1_sel:DWORD
	v_mov_b32_e32 v2, 0
	s_and_saveexec_b64 s[20:21], vcc
	s_cbranch_execz .LBB6_7348
; %bb.7343:                             ;   in Loop: Header=BB6_6254 Depth=2
	v_cmp_ne_u16_sdwa vcc, v13, s69 src0_sel:BYTE_0 src1_sel:DWORD
	v_bfrev_b32_e32 v2, 1
	s_and_saveexec_b64 s[52:53], vcc
	s_cbranch_execz .LBB6_7347
; %bb.7344:                             ;   in Loop: Header=BB6_6254 Depth=2
	v_and_b32_e32 v3, 0x7f, v13
	v_cmp_ne_u32_e32 vcc, s68, v3
	v_mov_b32_e32 v2, 0x7f800001
	s_and_saveexec_b64 s[54:55], vcc
	s_cbranch_execz .LBB6_7346
; %bb.7345:                             ;   in Loop: Header=BB6_6254 Depth=2
	v_and_b32_e32 v2, 7, v13
	v_ffbh_u32_e32 v2, v2
	v_min_u32_e32 v2, 32, v2
	v_lshrrev_b32_e32 v10, 3, v3
	v_cmp_gt_u32_e32 vcc, 8, v3
	v_subrev_u32_e32 v3, 28, v2
	v_sub_u32_e32 v2, 29, v2
	v_cndmask_b32_e32 v10, v10, v2, vcc
	v_cndmask_b32_e32 v2, 0, v3, vcc
	v_lshlrev_b64 v[2:3], v2, v[38:39]
	v_lshlrev_b32_e32 v2, 20, v2
	v_lshlrev_b32_e32 v3, 24, v38
	v_bfrev_b32_e32 v11, 60
	v_and_b32_e32 v2, 0x700000, v2
	v_and_b32_e32 v3, 0x80000000, v3
	v_lshl_add_u32 v10, v10, 23, v11
	v_or3_b32 v2, v3, v10, v2
.LBB6_7346:                             ;   in Loop: Header=BB6_6254 Depth=2
	s_or_b64 exec, exec, s[54:55]
.LBB6_7347:                             ;   in Loop: Header=BB6_6254 Depth=2
	s_or_b64 exec, exec, s[52:53]
.LBB6_7348:                             ;   in Loop: Header=BB6_6254 Depth=2
	s_or_b64 exec, exec, s[20:21]
	v_mul_f32_e32 v11, v16, v2
	v_and_b32_sdwa v10, v11, s69 dst_sel:DWORD dst_unused:UNUSED_PAD src0_sel:BYTE_3 src1_sel:DWORD
	v_and_b32_e32 v14, 0x7f800000, v11
	v_mov_b32_e32 v15, v39
	v_and_b32_e32 v2, 0x7fffff, v11
	v_mov_b32_e32 v3, v39
	v_or_b32_e32 v50, 0x7e, v10
	v_cmp_ne_u64_e32 vcc, s[38:39], v[14:15]
	s_and_saveexec_b64 s[20:21], vcc
	s_xor_b64 s[52:53], exec, s[20:21]
	s_cbranch_execz .LBB6_7358
; %bb.7349:                             ;   in Loop: Header=BB6_6254 Depth=2
	v_and_b32_e32 v14, 0x7fffffff, v11
	v_mov_b32_e32 v15, v39
	v_cmp_gt_u64_e32 vcc, s[40:41], v[14:15]
	s_and_saveexec_b64 s[54:55], vcc
	s_cbranch_execz .LBB6_7357
; %bb.7350:                             ;   in Loop: Header=BB6_6254 Depth=2
	v_cmp_ne_u32_e32 vcc, 0, v11
	v_mov_b32_e32 v50, 0
	s_and_saveexec_b64 s[56:57], vcc
	s_cbranch_execz .LBB6_7356
; %bb.7351:                             ;   in Loop: Header=BB6_6254 Depth=2
	v_bfe_u32 v11, v11, 23, 8
	v_cmp_eq_u32_e32 vcc, 0, v11
	v_add_u32_e32 v14, 0xffffff81, v11
	v_cmp_gt_u32_e64 s[20:21], s70, v11
	v_sub_u32_e32 v11, 0x79, v11
	v_mov_b32_e32 v25, 0xffffff82
	v_cndmask_b32_e64 v11, 0, v11, s[20:21]
	v_cndmask_b32_e32 v25, v14, v25, vcc
	v_mov_b32_e32 v14, 0x78
	v_cndmask_b32_e32 v11, v11, v14, vcc
	v_or_b32_e32 v15, 0x800000, v2
	v_add_u32_e32 v14, 20, v11
	v_cndmask_b32_e32 v2, v15, v2, vcc
	v_lshlrev_b64 v[14:15], v14, -1
	v_not_b32_e32 v15, v15
	v_not_b32_e32 v14, v14
	v_add_u32_e32 v34, 19, v11
	v_mov_b32_e32 v48, v35
	v_and_b32_e32 v15, 0, v15
	v_and_b32_e32 v14, v2, v14
	v_lshlrev_b64 v[34:35], v34, 1
	v_lshrrev_b64 v[2:3], v11, v[2:3]
	v_cmp_eq_u64_e32 vcc, v[14:15], v[34:35]
	v_lshrrev_b32_e32 v14, 23, v2
	v_add3_u32 v15, v11, v25, v14
	v_bfe_u32 v11, v2, 20, 1
	v_add_u32_e32 v11, -1, v11
	v_cndmask_b32_e32 v11, 0, v11, vcc
	v_add_u32_e32 v11, v11, v2
	v_and_b32_e32 v11, 0xfffff, v11
	v_add_co_u32_e32 v2, vcc, v11, v2
	v_add_u32_e32 v14, 6, v15
	v_addc_co_u32_e32 v3, vcc, 0, v3, vcc
	v_cmp_ne_u32_e32 vcc, 0, v14
                                        ; implicit-def: $vgpr11
	s_and_saveexec_b64 s[20:21], vcc
	s_xor_b64 s[20:21], exec, s[20:21]
; %bb.7352:                             ;   in Loop: Header=BB6_6254 Depth=2
	v_add_u32_e32 v11, 7, v15
	v_cmp_lt_u64_e32 vcc, s[44:45], v[2:3]
	v_cndmask_b32_e32 v11, v14, v11, vcc
	v_cndmask_b32_e64 v14, 0, 1, vcc
	v_lshrrev_b64 v[2:3], v14, v[2:3]
; %bb.7353:                             ;   in Loop: Header=BB6_6254 Depth=2
	s_andn2_saveexec_b64 s[20:21], s[20:21]
; %bb.7354:                             ;   in Loop: Header=BB6_6254 Depth=2
	v_bfe_u32 v11, v2, 23, 1
; %bb.7355:                             ;   in Loop: Header=BB6_6254 Depth=2
	s_or_b64 exec, exec, s[20:21]
	v_lshrrev_b64 v[2:3], 20, v[2:3]
	v_cmp_gt_i32_e32 vcc, 16, v11
	v_cndmask_b32_e32 v3, 0, v3, vcc
	v_cndmask_b32_e32 v2, 7, v2, vcc
	v_cmp_eq_u64_e64 s[20:21], 0, v[2:3]
	v_min_i32_e32 v3, 15, v11
	v_cmp_eq_u32_e32 vcc, 0, v11
	v_lshlrev_b32_e32 v3, 3, v3
	v_and_or_b32 v2, v2, 7, v3
	s_and_b64 s[20:21], vcc, s[20:21]
	v_cndmask_b32_e64 v2, v2, 0, s[20:21]
	v_or_b32_e32 v50, v2, v10
	v_accvgpr_read_b32 v34, a48
	v_mov_b32_e32 v35, v48
.LBB6_7356:                             ;   in Loop: Header=BB6_6254 Depth=2
	s_or_b64 exec, exec, s[56:57]
.LBB6_7357:                             ;   in Loop: Header=BB6_6254 Depth=2
	s_or_b64 exec, exec, s[54:55]
                                        ; implicit-def: $vgpr11
                                        ; implicit-def: $vgpr2_vgpr3
.LBB6_7358:                             ;   in Loop: Header=BB6_6254 Depth=2
	s_andn2_saveexec_b64 s[20:21], s[52:53]
; %bb.7359:                             ;   in Loop: Header=BB6_6254 Depth=2
	v_or_b32_sdwa v10, v11, s68 dst_sel:DWORD dst_unused:UNUSED_PAD src0_sel:BYTE_3 src1_sel:DWORD
	v_cmp_eq_u64_e32 vcc, 0, v[2:3]
	v_cndmask_b32_e32 v50, v10, v50, vcc
; %bb.7360:                             ;   in Loop: Header=BB6_6254 Depth=2
	s_or_b64 exec, exec, s[20:21]
	v_lshrrev_b16_e32 v2, 8, v38
	v_cmp_ne_u16_e32 vcc, 0, v2
	v_mov_b32_e32 v3, 0
	s_and_saveexec_b64 s[20:21], vcc
	s_cbranch_execz .LBB6_7366
; %bb.7361:                             ;   in Loop: Header=BB6_6254 Depth=2
	v_cmp_ne_u16_e32 vcc, s69, v2
	v_bfrev_b32_e32 v3, 1
	s_and_saveexec_b64 s[52:53], vcc
	s_cbranch_execz .LBB6_7365
; %bb.7362:                             ;   in Loop: Header=BB6_6254 Depth=2
	v_and_b32_e32 v10, 0x7f, v2
	v_cmp_ne_u32_e32 vcc, s68, v10
	v_mov_b32_e32 v3, 0x7f800001
	s_and_saveexec_b64 s[54:55], vcc
	s_cbranch_execz .LBB6_7364
; %bb.7363:                             ;   in Loop: Header=BB6_6254 Depth=2
	v_and_b32_e32 v11, 7, v2
	v_ffbh_u32_e32 v3, v11
	v_lshrrev_b32_e32 v14, 3, v10
	v_cmp_gt_u32_e32 vcc, 8, v10
	v_min_u32_e32 v10, 32, v3
	v_subrev_u32_e32 v3, 28, v10
	v_lshlrev_b64 v[2:3], v3, v[2:3]
	v_sub_u32_e32 v3, 29, v10
	v_and_b32_e32 v2, 7, v2
	v_cndmask_b32_e32 v3, v14, v3, vcc
	v_cndmask_b32_e32 v2, v11, v2, vcc
	v_lshlrev_b32_e32 v10, 16, v38
	v_bfrev_b32_e32 v11, 60
	v_lshlrev_b32_e32 v2, 20, v2
	v_and_b32_e32 v10, 0x80000000, v10
	v_lshl_add_u32 v3, v3, 23, v11
	v_or3_b32 v3, v10, v3, v2
.LBB6_7364:                             ;   in Loop: Header=BB6_6254 Depth=2
	s_or_b64 exec, exec, s[54:55]
.LBB6_7365:                             ;   in Loop: Header=BB6_6254 Depth=2
	s_or_b64 exec, exec, s[52:53]
.LBB6_7366:                             ;   in Loop: Header=BB6_6254 Depth=2
	s_or_b64 exec, exec, s[20:21]
	v_mul_f32_e32 v2, v16, v3
	v_and_b32_sdwa v10, v2, s69 dst_sel:DWORD dst_unused:UNUSED_PAD src0_sel:BYTE_3 src1_sel:DWORD
	v_and_b32_e32 v14, 0x7f800000, v2
	v_mov_b32_e32 v15, v39
	v_and_b32_e32 v38, 0x7fffff, v2
	v_or_b32_e32 v25, 0x7e, v10
	v_cmp_ne_u64_e32 vcc, s[38:39], v[14:15]
	s_and_saveexec_b64 s[20:21], vcc
	s_xor_b64 s[52:53], exec, s[20:21]
	s_cbranch_execz .LBB6_7376
; %bb.7367:                             ;   in Loop: Header=BB6_6254 Depth=2
	v_and_b32_e32 v14, 0x7fffffff, v2
	v_mov_b32_e32 v15, v39
	v_cmp_gt_u64_e32 vcc, s[40:41], v[14:15]
	s_and_saveexec_b64 s[54:55], vcc
	s_cbranch_execz .LBB6_7375
; %bb.7368:                             ;   in Loop: Header=BB6_6254 Depth=2
	v_cmp_ne_u32_e32 vcc, 0, v2
	v_mov_b32_e32 v25, 0
	s_and_saveexec_b64 s[56:57], vcc
	s_cbranch_execz .LBB6_7374
; %bb.7369:                             ;   in Loop: Header=BB6_6254 Depth=2
	v_bfe_u32 v2, v2, 23, 8
	v_cmp_eq_u32_e32 vcc, 0, v2
	v_add_u32_e32 v3, 0xffffff81, v2
	v_cmp_gt_u32_e64 s[20:21], s70, v2
	v_sub_u32_e32 v2, 0x79, v2
	v_mov_b32_e32 v14, 0xffffff82
	v_cndmask_b32_e64 v2, 0, v2, s[20:21]
	v_cndmask_b32_e32 v25, v3, v14, vcc
	v_mov_b32_e32 v3, 0x78
	v_cndmask_b32_e32 v34, v2, v3, vcc
	v_add_u32_e32 v2, 20, v34
	v_or_b32_e32 v11, 0x800000, v38
	v_lshlrev_b64 v[2:3], v2, -1
	v_cndmask_b32_e32 v38, v11, v38, vcc
	v_not_b32_e32 v3, v3
	v_not_b32_e32 v2, v2
	v_add_u32_e32 v11, 19, v34
	v_and_b32_e32 v3, 0, v3
	v_and_b32_e32 v2, v38, v2
	v_lshlrev_b64 v[14:15], v11, 1
	v_cmp_eq_u64_e32 vcc, v[2:3], v[14:15]
	v_lshrrev_b64 v[2:3], v34, v[38:39]
	v_lshrrev_b32_e32 v11, 23, v2
	v_add3_u32 v15, v34, v25, v11
	v_bfe_u32 v11, v2, 20, 1
	v_add_u32_e32 v11, -1, v11
	v_cndmask_b32_e32 v11, 0, v11, vcc
	v_add_u32_e32 v11, v11, v2
	v_and_b32_e32 v11, 0xfffff, v11
	v_add_co_u32_e32 v2, vcc, v11, v2
	v_add_u32_e32 v14, 6, v15
	v_addc_co_u32_e32 v3, vcc, 0, v3, vcc
	v_cmp_ne_u32_e32 vcc, 0, v14
                                        ; implicit-def: $vgpr11
	s_and_saveexec_b64 s[20:21], vcc
	s_xor_b64 s[20:21], exec, s[20:21]
; %bb.7370:                             ;   in Loop: Header=BB6_6254 Depth=2
	v_add_u32_e32 v11, 7, v15
	v_cmp_lt_u64_e32 vcc, s[44:45], v[2:3]
	v_cndmask_b32_e32 v11, v14, v11, vcc
	v_cndmask_b32_e64 v14, 0, 1, vcc
	v_lshrrev_b64 v[2:3], v14, v[2:3]
; %bb.7371:                             ;   in Loop: Header=BB6_6254 Depth=2
	s_andn2_saveexec_b64 s[20:21], s[20:21]
; %bb.7372:                             ;   in Loop: Header=BB6_6254 Depth=2
	v_bfe_u32 v11, v2, 23, 1
; %bb.7373:                             ;   in Loop: Header=BB6_6254 Depth=2
	s_or_b64 exec, exec, s[20:21]
	v_lshrrev_b64 v[2:3], 20, v[2:3]
	v_cmp_gt_i32_e32 vcc, 16, v11
	v_cndmask_b32_e32 v3, 0, v3, vcc
	v_cndmask_b32_e32 v2, 7, v2, vcc
	v_cmp_eq_u64_e64 s[20:21], 0, v[2:3]
	v_min_i32_e32 v3, 15, v11
	v_lshlrev_b32_e32 v3, 3, v3
	v_cmp_eq_u32_e32 vcc, 0, v11
	v_and_b32_e32 v3, 0xf8, v3
	v_and_or_b32 v2, v2, 7, v3
	s_and_b64 s[20:21], vcc, s[20:21]
	v_cndmask_b32_e64 v2, v2, 0, s[20:21]
	v_or_b32_e32 v25, v2, v10
	v_accvgpr_read_b32 v34, a48
.LBB6_7374:                             ;   in Loop: Header=BB6_6254 Depth=2
	s_or_b64 exec, exec, s[56:57]
.LBB6_7375:                             ;   in Loop: Header=BB6_6254 Depth=2
	s_or_b64 exec, exec, s[54:55]
                                        ; implicit-def: $vgpr2
.LBB6_7376:                             ;   in Loop: Header=BB6_6254 Depth=2
	s_andn2_saveexec_b64 s[20:21], s[52:53]
; %bb.7377:                             ;   in Loop: Header=BB6_6254 Depth=2
	v_or_b32_sdwa v2, v2, s68 dst_sel:DWORD dst_unused:UNUSED_PAD src0_sel:BYTE_3 src1_sel:DWORD
	v_cmp_eq_u64_e32 vcc, 0, v[38:39]
	v_cndmask_b32_e32 v25, v2, v25, vcc
; %bb.7378:                             ;   in Loop: Header=BB6_6254 Depth=2
	s_or_b64 exec, exec, s[20:21]
	v_lshrrev_b32_e32 v2, 16, v13
	v_cmp_ne_u16_sdwa vcc, v2, v39 src0_sel:BYTE_0 src1_sel:DWORD
	v_mov_b32_e32 v3, 0
	s_and_saveexec_b64 s[20:21], vcc
	s_cbranch_execz .LBB6_7384
; %bb.7379:                             ;   in Loop: Header=BB6_6254 Depth=2
	v_cmp_ne_u16_sdwa vcc, v2, s69 src0_sel:BYTE_0 src1_sel:DWORD
	v_bfrev_b32_e32 v3, 1
	s_and_saveexec_b64 s[52:53], vcc
	s_cbranch_execz .LBB6_7383
; %bb.7380:                             ;   in Loop: Header=BB6_6254 Depth=2
	v_bfe_u32 v10, v13, 16, 7
	v_cmp_ne_u32_e32 vcc, s68, v10
	v_mov_b32_e32 v3, 0x7f800001
	s_and_saveexec_b64 s[54:55], vcc
	s_cbranch_execz .LBB6_7382
; %bb.7381:                             ;   in Loop: Header=BB6_6254 Depth=2
	v_and_b32_e32 v3, 7, v2
	v_lshrrev_b32_e32 v14, 3, v10
	v_cmp_gt_u32_e32 vcc, 8, v10
	v_ffbh_u32_e32 v10, v3
	v_min_u32_e32 v15, 32, v10
	v_subrev_u32_e32 v10, 28, v15
	v_lshlrev_b64 v[10:11], v10, v[2:3]
	v_sub_u32_e32 v11, 29, v15
	v_and_b32_e32 v10, 7, v10
	v_cndmask_b32_e32 v11, v14, v11, vcc
	v_cndmask_b32_e32 v3, v3, v10, vcc
	v_lshlrev_b32_e32 v2, 24, v2
	v_bfrev_b32_e32 v10, 60
	v_lshlrev_b32_e32 v3, 20, v3
	v_and_b32_e32 v2, 0x80000000, v2
	v_lshl_add_u32 v10, v11, 23, v10
	v_or3_b32 v3, v2, v10, v3
.LBB6_7382:                             ;   in Loop: Header=BB6_6254 Depth=2
	s_or_b64 exec, exec, s[54:55]
.LBB6_7383:                             ;   in Loop: Header=BB6_6254 Depth=2
	s_or_b64 exec, exec, s[52:53]
.LBB6_7384:                             ;   in Loop: Header=BB6_6254 Depth=2
	s_or_b64 exec, exec, s[20:21]
	v_mul_f32_e32 v2, v16, v3
	v_and_b32_sdwa v10, v2, s69 dst_sel:DWORD dst_unused:UNUSED_PAD src0_sel:BYTE_3 src1_sel:DWORD
	v_and_b32_e32 v14, 0x7f800000, v2
	v_mov_b32_e32 v15, v39
	v_and_b32_e32 v38, 0x7fffff, v2
	v_or_b32_e32 v48, 0x7e, v10
	v_cmp_ne_u64_e32 vcc, s[38:39], v[14:15]
	s_and_saveexec_b64 s[20:21], vcc
	s_xor_b64 s[52:53], exec, s[20:21]
	s_cbranch_execz .LBB6_7394
; %bb.7385:                             ;   in Loop: Header=BB6_6254 Depth=2
	v_and_b32_e32 v14, 0x7fffffff, v2
	v_mov_b32_e32 v15, v39
	v_cmp_gt_u64_e32 vcc, s[40:41], v[14:15]
	s_and_saveexec_b64 s[54:55], vcc
	s_cbranch_execz .LBB6_7393
; %bb.7386:                             ;   in Loop: Header=BB6_6254 Depth=2
	v_cmp_ne_u32_e32 vcc, 0, v2
	v_mov_b32_e32 v48, 0
	s_and_saveexec_b64 s[56:57], vcc
	s_cbranch_execz .LBB6_7392
; %bb.7387:                             ;   in Loop: Header=BB6_6254 Depth=2
	v_bfe_u32 v2, v2, 23, 8
	v_cmp_eq_u32_e32 vcc, 0, v2
	v_add_u32_e32 v3, 0xffffff81, v2
	v_cmp_gt_u32_e64 s[20:21], s70, v2
	v_sub_u32_e32 v2, 0x79, v2
	v_mov_b32_e32 v14, 0xffffff82
	v_cndmask_b32_e64 v2, 0, v2, s[20:21]
	v_cndmask_b32_e32 v34, v3, v14, vcc
	v_mov_b32_e32 v3, 0x78
	v_accvgpr_write_b32 a49, v35
	v_cndmask_b32_e32 v35, v2, v3, vcc
	v_add_u32_e32 v2, 20, v35
	v_or_b32_e32 v11, 0x800000, v38
	v_lshlrev_b64 v[2:3], v2, -1
	v_cndmask_b32_e32 v38, v11, v38, vcc
	v_not_b32_e32 v3, v3
	v_not_b32_e32 v2, v2
	v_add_u32_e32 v11, 19, v35
	v_and_b32_e32 v3, 0, v3
	v_and_b32_e32 v2, v38, v2
	v_lshlrev_b64 v[14:15], v11, 1
	v_cmp_eq_u64_e32 vcc, v[2:3], v[14:15]
	v_lshrrev_b64 v[2:3], v35, v[38:39]
	v_lshrrev_b32_e32 v11, 23, v2
	v_add3_u32 v15, v35, v34, v11
	v_bfe_u32 v11, v2, 20, 1
	v_add_u32_e32 v11, -1, v11
	v_cndmask_b32_e32 v11, 0, v11, vcc
	v_add_u32_e32 v11, v11, v2
	v_and_b32_e32 v11, 0xfffff, v11
	v_add_co_u32_e32 v2, vcc, v11, v2
	v_add_u32_e32 v14, 6, v15
	v_addc_co_u32_e32 v3, vcc, 0, v3, vcc
	v_cmp_ne_u32_e32 vcc, 0, v14
                                        ; implicit-def: $vgpr11
	s_and_saveexec_b64 s[20:21], vcc
	s_xor_b64 s[20:21], exec, s[20:21]
; %bb.7388:                             ;   in Loop: Header=BB6_6254 Depth=2
	v_add_u32_e32 v11, 7, v15
	v_cmp_lt_u64_e32 vcc, s[44:45], v[2:3]
	v_cndmask_b32_e32 v11, v14, v11, vcc
	v_cndmask_b32_e64 v14, 0, 1, vcc
	v_lshrrev_b64 v[2:3], v14, v[2:3]
; %bb.7389:                             ;   in Loop: Header=BB6_6254 Depth=2
	s_andn2_saveexec_b64 s[20:21], s[20:21]
; %bb.7390:                             ;   in Loop: Header=BB6_6254 Depth=2
	v_bfe_u32 v11, v2, 23, 1
; %bb.7391:                             ;   in Loop: Header=BB6_6254 Depth=2
	s_or_b64 exec, exec, s[20:21]
	v_lshrrev_b64 v[2:3], 20, v[2:3]
	v_cmp_gt_i32_e32 vcc, 16, v11
	v_cndmask_b32_e32 v3, 0, v3, vcc
	v_cndmask_b32_e32 v2, 7, v2, vcc
	v_cmp_eq_u64_e64 s[20:21], 0, v[2:3]
	v_min_i32_e32 v3, 15, v11
	v_lshlrev_b32_e32 v3, 3, v3
	v_cmp_eq_u32_e32 vcc, 0, v11
	v_and_b32_e32 v3, 0xf8, v3
	v_and_or_b32 v2, v2, 7, v3
	s_and_b64 s[20:21], vcc, s[20:21]
	v_cndmask_b32_e64 v2, v2, 0, s[20:21]
	v_or_b32_e32 v48, v2, v10
	v_accvgpr_read_b32 v34, a48
	v_accvgpr_read_b32 v35, a49
.LBB6_7392:                             ;   in Loop: Header=BB6_6254 Depth=2
	s_or_b64 exec, exec, s[56:57]
.LBB6_7393:                             ;   in Loop: Header=BB6_6254 Depth=2
	s_or_b64 exec, exec, s[54:55]
                                        ; implicit-def: $vgpr2
.LBB6_7394:                             ;   in Loop: Header=BB6_6254 Depth=2
	s_andn2_saveexec_b64 s[20:21], s[52:53]
; %bb.7395:                             ;   in Loop: Header=BB6_6254 Depth=2
	v_or_b32_sdwa v2, v2, s68 dst_sel:DWORD dst_unused:UNUSED_PAD src0_sel:BYTE_3 src1_sel:DWORD
	v_cmp_eq_u64_e32 vcc, 0, v[38:39]
	v_cndmask_b32_e32 v48, v2, v48, vcc
; %bb.7396:                             ;   in Loop: Header=BB6_6254 Depth=2
	s_or_b64 exec, exec, s[20:21]
	v_cmp_lt_u64_e32 vcc, s[42:43], v[12:13]
	v_mov_b32_e32 v3, 0
	s_and_saveexec_b64 s[20:21], vcc
	s_cbranch_execz .LBB6_7402
; %bb.7397:                             ;   in Loop: Header=BB6_6254 Depth=2
	v_lshrrev_b32_e32 v2, 24, v13
	v_cmp_ne_u32_e32 vcc, s69, v2
	v_bfrev_b32_e32 v3, 1
	s_and_saveexec_b64 s[52:53], vcc
	s_cbranch_execz .LBB6_7401
; %bb.7398:                             ;   in Loop: Header=BB6_6254 Depth=2
	v_bfe_u32 v10, v13, 24, 7
	v_cmp_ne_u32_e32 vcc, s68, v10
	v_mov_b32_e32 v3, 0x7f800001
	s_and_saveexec_b64 s[54:55], vcc
	s_cbranch_execz .LBB6_7400
; %bb.7399:                             ;   in Loop: Header=BB6_6254 Depth=2
	v_and_b32_e32 v3, 7, v2
	v_lshrrev_b32_e32 v12, 3, v10
	v_cmp_gt_u32_e32 vcc, 8, v10
	v_ffbh_u32_e32 v10, v3
	v_min_u32_e32 v13, 32, v10
	v_subrev_u32_e32 v10, 28, v13
	v_lshlrev_b64 v[10:11], v10, v[2:3]
	v_sub_u32_e32 v11, 29, v13
	v_and_b32_e32 v10, 7, v10
	v_cndmask_b32_e32 v11, v12, v11, vcc
	v_cndmask_b32_e32 v3, v3, v10, vcc
	v_lshlrev_b32_e32 v2, 24, v2
	v_bfrev_b32_e32 v10, 60
	v_lshlrev_b32_e32 v3, 20, v3
	v_and_b32_e32 v2, 0x80000000, v2
	v_lshl_add_u32 v10, v11, 23, v10
	v_or3_b32 v3, v2, v10, v3
.LBB6_7400:                             ;   in Loop: Header=BB6_6254 Depth=2
	s_or_b64 exec, exec, s[54:55]
.LBB6_7401:                             ;   in Loop: Header=BB6_6254 Depth=2
	s_or_b64 exec, exec, s[52:53]
.LBB6_7402:                             ;   in Loop: Header=BB6_6254 Depth=2
	s_or_b64 exec, exec, s[20:21]
	v_mul_f32_e32 v3, v16, v3
	v_and_b32_sdwa v10, v3, s69 dst_sel:DWORD dst_unused:UNUSED_PAD src0_sel:BYTE_3 src1_sel:DWORD
	v_and_b32_e32 v12, 0x7f800000, v3
	v_mov_b32_e32 v13, v39
	v_and_b32_e32 v38, 0x7fffff, v3
	v_or_b32_e32 v2, 0x7e, v10
	v_cmp_ne_u64_e32 vcc, s[38:39], v[12:13]
	s_and_saveexec_b64 s[20:21], vcc
	s_xor_b64 s[52:53], exec, s[20:21]
	s_cbranch_execz .LBB6_7412
; %bb.7403:                             ;   in Loop: Header=BB6_6254 Depth=2
	v_and_b32_e32 v12, 0x7fffffff, v3
	v_mov_b32_e32 v13, v39
	v_cmp_gt_u64_e32 vcc, s[40:41], v[12:13]
	s_and_saveexec_b64 s[54:55], vcc
	s_cbranch_execz .LBB6_7411
; %bb.7404:                             ;   in Loop: Header=BB6_6254 Depth=2
	v_cmp_ne_u32_e32 vcc, 0, v3
	v_mov_b32_e32 v2, 0
	s_and_saveexec_b64 s[56:57], vcc
	s_cbranch_execz .LBB6_7410
; %bb.7405:                             ;   in Loop: Header=BB6_6254 Depth=2
	v_bfe_u32 v2, v3, 23, 8
	v_cmp_eq_u32_e32 vcc, 0, v2
	v_add_u32_e32 v3, 0xffffff81, v2
	v_cmp_gt_u32_e64 s[20:21], s70, v2
	v_sub_u32_e32 v2, 0x79, v2
	v_mov_b32_e32 v12, 0xffffff82
	v_cndmask_b32_e64 v2, 0, v2, s[20:21]
	v_cndmask_b32_e32 v14, v3, v12, vcc
	v_mov_b32_e32 v3, 0x78
	v_cndmask_b32_e32 v15, v2, v3, vcc
	v_add_u32_e32 v2, 20, v15
	v_or_b32_e32 v11, 0x800000, v38
	v_lshlrev_b64 v[2:3], v2, -1
	v_cndmask_b32_e32 v38, v11, v38, vcc
	v_not_b32_e32 v3, v3
	v_not_b32_e32 v2, v2
	v_add_u32_e32 v11, 19, v15
	v_and_b32_e32 v3, 0, v3
	v_and_b32_e32 v2, v38, v2
	v_lshlrev_b64 v[12:13], v11, 1
	v_cmp_eq_u64_e32 vcc, v[2:3], v[12:13]
	v_lshrrev_b64 v[2:3], v15, v[38:39]
	v_lshrrev_b32_e32 v11, 23, v2
	v_add3_u32 v13, v15, v14, v11
	v_bfe_u32 v11, v2, 20, 1
	v_add_u32_e32 v11, -1, v11
	v_cndmask_b32_e32 v11, 0, v11, vcc
	v_add_u32_e32 v11, v11, v2
	v_and_b32_e32 v11, 0xfffff, v11
	v_add_co_u32_e32 v2, vcc, v11, v2
	v_add_u32_e32 v12, 6, v13
	v_addc_co_u32_e32 v3, vcc, 0, v3, vcc
	v_cmp_ne_u32_e32 vcc, 0, v12
                                        ; implicit-def: $vgpr11
	s_and_saveexec_b64 s[20:21], vcc
	s_xor_b64 s[20:21], exec, s[20:21]
; %bb.7406:                             ;   in Loop: Header=BB6_6254 Depth=2
	v_add_u32_e32 v11, 7, v13
	v_cmp_lt_u64_e32 vcc, s[44:45], v[2:3]
	v_cndmask_b32_e32 v11, v12, v11, vcc
	v_cndmask_b32_e64 v12, 0, 1, vcc
	v_lshrrev_b64 v[2:3], v12, v[2:3]
; %bb.7407:                             ;   in Loop: Header=BB6_6254 Depth=2
	s_andn2_saveexec_b64 s[20:21], s[20:21]
; %bb.7408:                             ;   in Loop: Header=BB6_6254 Depth=2
	v_bfe_u32 v11, v2, 23, 1
; %bb.7409:                             ;   in Loop: Header=BB6_6254 Depth=2
	s_or_b64 exec, exec, s[20:21]
	v_lshrrev_b64 v[2:3], 20, v[2:3]
	v_cmp_gt_i32_e32 vcc, 16, v11
	v_cndmask_b32_e32 v3, 0, v3, vcc
	v_cndmask_b32_e32 v2, 7, v2, vcc
	v_cmp_eq_u64_e64 s[20:21], 0, v[2:3]
	v_min_i32_e32 v3, 15, v11
	v_lshlrev_b32_e32 v3, 3, v3
	v_cmp_eq_u32_e32 vcc, 0, v11
	v_and_b32_e32 v3, 0xf8, v3
	v_and_or_b32 v2, v2, 7, v3
	s_and_b64 s[20:21], vcc, s[20:21]
	v_cndmask_b32_e64 v2, v2, 0, s[20:21]
	v_or_b32_e32 v2, v2, v10
.LBB6_7410:                             ;   in Loop: Header=BB6_6254 Depth=2
	s_or_b64 exec, exec, s[56:57]
.LBB6_7411:                             ;   in Loop: Header=BB6_6254 Depth=2
	s_or_b64 exec, exec, s[54:55]
                                        ; implicit-def: $vgpr3
.LBB6_7412:                             ;   in Loop: Header=BB6_6254 Depth=2
	s_andn2_saveexec_b64 s[20:21], s[52:53]
	s_cbranch_execz .LBB6_6253
; %bb.7413:                             ;   in Loop: Header=BB6_6254 Depth=2
	v_or_b32_sdwa v3, v3, s68 dst_sel:DWORD dst_unused:UNUSED_PAD src0_sel:BYTE_3 src1_sel:DWORD
	v_cmp_eq_u64_e32 vcc, 0, v[38:39]
	v_cndmask_b32_e32 v2, v3, v2, vcc
	s_branch .LBB6_6253
.LBB6_7414:                             ;   in Loop: Header=BB6_6181 Depth=1
	s_or_b64 exec, exec, s[50:51]
	v_accvgpr_read_b32 v46, a46
.LBB6_7415:                             ;   in Loop: Header=BB6_6181 Depth=1
	s_or_b64 exec, exec, s[22:23]
	v_accvgpr_read_b32 v0, a45
	v_and_b32_e32 v8, 0x3ffff000, v0
	v_cmp_ne_u32_e32 vcc, v8, v0
	s_mov_b64 s[20:21], 0
	v_mov_b32_e32 v0, 0
                                        ; implicit-def: $vgpr1
                                        ; implicit-def: $vgpr4
                                        ; implicit-def: $vgpr2
	s_and_saveexec_b64 s[50:51], vcc
	s_cbranch_execz .LBB6_7719
; %bb.7416:                             ;   in Loop: Header=BB6_6181 Depth=1
	v_lshlrev_b32_e32 v0, 6, v24
	v_accvgpr_read_b32 v1, a5
	v_sub_u32_e32 v0, v1, v0
	v_ashrrev_i32_e32 v1, 31, v0
	v_lshrrev_b32_e32 v1, 26, v1
	v_add_u32_e32 v1, v0, v1
	v_accvgpr_read_b32 v6, a45
	v_ashrrev_i32_e32 v3, 6, v1
	v_and_b32_e32 v1, 0xffffffc0, v1
	v_and_b32_e32 v2, 0xfff, v6
	v_sub_u32_e32 v5, v0, v1
	v_bfe_u32 v4, v6, 10, 2
	v_and_b32_e32 v6, 0xc00, v6
	v_lshlrev_b32_e32 v0, 4, v5
	v_sub_u32_e32 v7, v2, v6
	v_lshl_add_u32 v1, v3, 10, v0
	v_cmp_lt_i32_e64 s[20:21], 15, v7
	v_sub_u32_e32 v0, v2, v1
	v_addc_co_u32_e64 v2, vcc, 0, v4, s[20:21]
	v_sub_u32_e32 v6, v2, v3
	v_cmp_lt_i32_e32 vcc, 15, v0
	s_and_saveexec_b64 s[52:53], vcc
	s_cbranch_execz .LBB6_7716
; %bb.7417:                             ;   in Loop: Header=BB6_6181 Depth=1
	s_trap 2
	ds_read_b64 v[2:3], v0
	v_add_u32_e32 v14, v1, v8
	v_mov_b32_e32 v4, 0x7f800001
	v_ashrrev_i32_e32 v15, 31, v14
	s_waitcnt lgkmcnt(0)
	v_readfirstlane_b32 s22, v2
	s_and_b32 s23, s22, 7
	s_flbit_i32_b32 s23, s23
	s_min_u32 s23, s23, 32
	s_and_b32 vcc_lo, s22, 0x7f
	s_bfe_u32 vcc_hi, s22, 0x40003
	s_sub_i32 s54, s23, 28
	s_sub_i32 s23, 29, s23
	s_cmp_lt_u32 vcc_lo, 8
	s_cselect_b32 s23, s23, vcc_hi
	s_cselect_b32 vcc_hi, s54, 0
	s_lshl_b32 s22, s22, 24
	s_lshl_b32 s23, s23, 23
	v_lshlrev_b64 v[8:9], vcc_hi, v[2:3]
	s_and_b32 s22, s22, 0x80000000
	s_add_i32 s23, s23, 0x3c000000
	v_lshlrev_b32_e32 v1, 20, v8
	s_or_b32 s22, s22, s23
	v_and_b32_e32 v1, 0x700000, v1
	s_cmpk_lg_i32 vcc_lo, 0x7f
	v_or_b32_e32 v1, s22, v1
	s_cselect_b64 vcc, -1, 0
	v_cndmask_b32_e32 v1, v4, v1, vcc
	s_mov_b64 s[54:55], 0
	s_branch .LBB6_7419
.LBB6_7418:                             ;   in Loop: Header=BB6_7419 Depth=2
	s_or_b64 exec, exec, s[22:23]
	v_lshlrev_b32_e32 v8, 16, v22
	v_perm_b32 v11, v21, v20, s71
	v_lshlrev_b32_e32 v12, 24, v23
	v_or3_b32 v21, v8, v11, v12
	v_and_b32_e32 v8, 0xff, v18
	v_lshlrev_b32_e32 v9, 8, v9
	v_lshlrev_b32_e32 v11, 24, v19
	;; [unrolled: 1-line block ×3, first 2 shown]
	v_perm_b32 v4, v9, v4, s72
	v_or3_b32 v20, v11, v8, v4
	v_and_b32_e32 v4, 0xff, v26
	v_lshlrev_b32_e32 v9, 8, v25
	v_lshlrev_b32_e32 v8, 24, v27
	;; [unrolled: 1-line block ×3, first 2 shown]
	v_perm_b32 v9, v9, v24, s72
	v_or3_b32 v22, v8, v4, v9
	v_perm_b32 v4, v29, v28, s71
	v_lshlrev_b32_e32 v8, 24, v10
	v_lshlrev_b32_e32 v9, 16, v30
	v_or3_b32 v23, v9, v4, v8
	v_accvgpr_read_b32 v4, a37
	v_sub_u32_e32 v0, v0, v4
	v_accvgpr_read_b32 v4, a32
	v_sub_u32_e32 v6, v6, v4
	v_cmp_gt_i32_e32 vcc, 16, v0
	v_accvgpr_read_b32 v4, a38
	s_or_b64 s[54:55], vcc, s[54:55]
	v_add_co_u32_e32 v14, vcc, v14, v4
	v_accvgpr_read_b32 v4, a39
	v_addc_co_u32_e32 v15, vcc, v15, v4, vcc
	global_store_dwordx4 v[16:17], v[20:23], off glc slc
	s_andn2_b64 exec, exec, s[54:55]
	s_cbranch_execz .LBB6_7715
.LBB6_7419:                             ;   Parent Loop BB6_6181 Depth=1
                                        ; =>  This Inner Loop Header: Depth=2
	v_cmp_lt_i16_sdwa s[22:23], v2, s69 src0_sel:BYTE_0 src1_sel:DWORD
	s_and_b64 vcc, exec, s[22:23]
	s_cbranch_vccnz .LBB6_7423
; %bb.7420:                             ;   in Loop: Header=BB6_7419 Depth=2
	v_cmp_eq_u16_sdwa vcc, v2, s69 src0_sel:BYTE_0 src1_sel:DWORD
	s_mov_b64 s[22:23], -1
	s_and_b64 vcc, exec, vcc
                                        ; implicit-def: $sgpr56
	s_cbranch_vccz .LBB6_7422
; %bb.7421:                             ;   in Loop: Header=BB6_7419 Depth=2
	s_mov_b64 s[22:23], 0
	s_brev_b32 s56, 1
.LBB6_7422:                             ;   in Loop: Header=BB6_7419 Depth=2
	s_branch .LBB6_7425
.LBB6_7423:                             ;   in Loop: Header=BB6_7419 Depth=2
	s_mov_b64 s[22:23], 0
                                        ; implicit-def: $sgpr56
	s_cbranch_execz .LBB6_7425
; %bb.7424:                             ;   in Loop: Header=BB6_7419 Depth=2
	v_cmp_ne_u16_sdwa s[22:23], v2, v39 src0_sel:BYTE_0 src1_sel:DWORD
	s_mov_b32 s56, 0
.LBB6_7425:                             ;   in Loop: Header=BB6_7419 Depth=2
	s_andn2_b64 vcc, exec, s[22:23]
	v_mov_b32_e32 v8, s56
	s_cbranch_vccnz .LBB6_7427
; %bb.7426:                             ;   in Loop: Header=BB6_7419 Depth=2
	v_mov_b32_e32 v8, v1
.LBB6_7427:                             ;   in Loop: Header=BB6_7419 Depth=2
	v_add_co_u32_e32 v16, vcc, v2, v14
	v_addc_co_u32_e32 v17, vcc, v3, v15, vcc
	global_load_dwordx4 v[10:13], v[16:17], off glc slc
	v_mov_b32_e32 v4, 0
	s_waitcnt vmcnt(0)
	v_cmp_ne_u16_sdwa vcc, v10, v39 src0_sel:BYTE_0 src1_sel:DWORD
	s_and_saveexec_b64 s[22:23], vcc
	s_cbranch_execz .LBB6_7433
; %bb.7428:                             ;   in Loop: Header=BB6_7419 Depth=2
	v_cmp_ne_u16_sdwa vcc, v10, s69 src0_sel:BYTE_0 src1_sel:DWORD
	v_bfrev_b32_e32 v4, 1
	s_and_saveexec_b64 s[56:57], vcc
	s_cbranch_execz .LBB6_7432
; %bb.7429:                             ;   in Loop: Header=BB6_7419 Depth=2
	v_and_b32_e32 v9, 0x7f, v10
	v_cmp_ne_u32_e32 vcc, s68, v9
	v_mov_b32_e32 v4, 0x7f800001
	s_and_saveexec_b64 s[58:59], vcc
	s_cbranch_execz .LBB6_7431
; %bb.7430:                             ;   in Loop: Header=BB6_7419 Depth=2
	v_and_b32_e32 v4, 7, v10
	v_ffbh_u32_e32 v4, v4
	v_min_u32_e32 v4, 32, v4
	v_subrev_u32_e32 v19, 28, v4
	v_cmp_gt_u32_e32 vcc, 8, v9
	v_lshrrev_b32_e32 v18, 3, v9
	v_sub_u32_e32 v4, 29, v4
	v_cndmask_b32_e32 v9, 0, v19, vcc
	v_cndmask_b32_e32 v4, v18, v4, vcc
	v_lshlrev_b64 v[18:19], v9, v[10:11]
	v_lshlrev_b32_e32 v9, 20, v18
	v_lshlrev_b32_e32 v18, 24, v10
	v_bfrev_b32_e32 v19, 60
	v_and_b32_e32 v9, 0x700000, v9
	v_and_b32_e32 v18, 0x80000000, v18
	v_lshl_add_u32 v4, v4, 23, v19
	v_or3_b32 v4, v18, v4, v9
.LBB6_7431:                             ;   in Loop: Header=BB6_7419 Depth=2
	s_or_b64 exec, exec, s[58:59]
.LBB6_7432:                             ;   in Loop: Header=BB6_7419 Depth=2
	s_or_b64 exec, exec, s[56:57]
.LBB6_7433:                             ;   in Loop: Header=BB6_7419 Depth=2
	s_or_b64 exec, exec, s[22:23]
	v_mul_f32_e32 v18, v8, v4
	v_and_b32_sdwa v9, v18, s69 dst_sel:DWORD dst_unused:UNUSED_PAD src0_sel:BYTE_3 src1_sel:DWORD
	v_and_b32_e32 v20, 0x7f800000, v18
	v_mov_b32_e32 v21, v39
	v_and_b32_e32 v38, 0x7fffff, v18
	v_or_b32_e32 v4, 0x7e, v9
	v_cmp_ne_u64_e32 vcc, s[38:39], v[20:21]
	s_and_saveexec_b64 s[22:23], vcc
	s_xor_b64 s[56:57], exec, s[22:23]
	s_cbranch_execz .LBB6_7443
; %bb.7434:                             ;   in Loop: Header=BB6_7419 Depth=2
	v_and_b32_e32 v20, 0x7fffffff, v18
	v_mov_b32_e32 v21, v39
	v_cmp_gt_u64_e32 vcc, s[40:41], v[20:21]
	s_and_saveexec_b64 s[58:59], vcc
	s_cbranch_execz .LBB6_7442
; %bb.7435:                             ;   in Loop: Header=BB6_7419 Depth=2
	v_cmp_ne_u32_e32 vcc, 0, v18
	v_mov_b32_e32 v4, 0
	s_and_saveexec_b64 s[60:61], vcc
	s_cbranch_execz .LBB6_7441
; %bb.7436:                             ;   in Loop: Header=BB6_7419 Depth=2
	v_bfe_u32 v4, v18, 23, 8
	v_sub_u32_e32 v19, 0x79, v4
	v_cmp_gt_u32_e32 vcc, s70, v4
	v_add_u32_e32 v18, 0xffffff81, v4
	v_cndmask_b32_e32 v19, 0, v19, vcc
	v_cmp_eq_u32_e32 vcc, 0, v4
	v_mov_b32_e32 v4, 0xffffff82
	v_cndmask_b32_e32 v4, v18, v4, vcc
	v_mov_b32_e32 v18, 0x78
	v_cndmask_b32_e32 v26, v19, v18, vcc
	v_add_u32_e32 v18, 20, v26
	v_or_b32_e32 v20, 0x800000, v38
	v_lshlrev_b64 v[18:19], v18, -1
	v_cndmask_b32_e32 v38, v20, v38, vcc
	v_not_b32_e32 v18, v18
	v_and_b32_e32 v20, v38, v18
	v_add_u32_e32 v18, 19, v26
	v_lshrrev_b64 v[24:25], v26, v[38:39]
	v_not_b32_e32 v19, v19
	v_lshlrev_b64 v[22:23], v18, 1
	v_lshrrev_b32_e32 v18, 23, v24
	v_and_b32_e32 v21, 0, v19
	v_add3_u32 v19, v26, v4, v18
	v_bfe_u32 v4, v24, 20, 1
	v_add_u32_e32 v4, -1, v4
	v_cmp_eq_u64_e32 vcc, v[20:21], v[22:23]
	v_cndmask_b32_e32 v4, 0, v4, vcc
	v_add_u32_e32 v4, v4, v24
	v_and_b32_e32 v4, 0xfffff, v4
	v_add_co_u32_e32 v42, vcc, v4, v24
	v_add_u32_e32 v18, 6, v19
	v_addc_co_u32_e32 v43, vcc, 0, v25, vcc
	v_cmp_ne_u32_e32 vcc, 0, v18
                                        ; implicit-def: $vgpr4
	s_and_saveexec_b64 s[22:23], vcc
	s_xor_b64 s[22:23], exec, s[22:23]
; %bb.7437:                             ;   in Loop: Header=BB6_7419 Depth=2
	v_add_u32_e32 v4, 7, v19
	v_cmp_lt_u64_e32 vcc, s[44:45], v[42:43]
	v_cndmask_b32_e32 v4, v18, v4, vcc
	v_cndmask_b32_e64 v18, 0, 1, vcc
	v_lshrrev_b64 v[42:43], v18, v[42:43]
; %bb.7438:                             ;   in Loop: Header=BB6_7419 Depth=2
	s_andn2_saveexec_b64 s[22:23], s[22:23]
; %bb.7439:                             ;   in Loop: Header=BB6_7419 Depth=2
	v_bfe_u32 v4, v42, 23, 1
; %bb.7440:                             ;   in Loop: Header=BB6_7419 Depth=2
	s_or_b64 exec, exec, s[22:23]
	v_lshrrev_b64 v[18:19], 20, v[42:43]
	v_cmp_gt_i32_e32 vcc, 16, v4
	v_cndmask_b32_e32 v19, 0, v19, vcc
	v_cndmask_b32_e32 v18, 7, v18, vcc
	v_cmp_eq_u32_e32 vcc, 0, v4
	v_min_i32_e32 v4, 15, v4
	v_cmp_eq_u64_e64 s[22:23], 0, v[18:19]
	v_lshlrev_b32_e32 v4, 3, v4
	v_and_or_b32 v4, v18, 7, v4
	s_and_b64 s[22:23], vcc, s[22:23]
	v_cndmask_b32_e64 v4, v4, 0, s[22:23]
	v_or_b32_e32 v4, v4, v9
.LBB6_7441:                             ;   in Loop: Header=BB6_7419 Depth=2
	s_or_b64 exec, exec, s[60:61]
.LBB6_7442:                             ;   in Loop: Header=BB6_7419 Depth=2
	s_or_b64 exec, exec, s[58:59]
                                        ; implicit-def: $vgpr18
.LBB6_7443:                             ;   in Loop: Header=BB6_7419 Depth=2
	s_andn2_saveexec_b64 s[22:23], s[56:57]
; %bb.7444:                             ;   in Loop: Header=BB6_7419 Depth=2
	v_or_b32_sdwa v9, v18, s68 dst_sel:DWORD dst_unused:UNUSED_PAD src0_sel:BYTE_3 src1_sel:DWORD
	v_cmp_eq_u64_e32 vcc, 0, v[38:39]
	v_cndmask_b32_e32 v4, v9, v4, vcc
; %bb.7445:                             ;   in Loop: Header=BB6_7419 Depth=2
	s_or_b64 exec, exec, s[22:23]
	v_lshrrev_b16_e32 v24, 8, v10
	v_cmp_ne_u16_e32 vcc, 0, v24
	v_mov_b32_e32 v9, 0
	s_and_saveexec_b64 s[22:23], vcc
	s_cbranch_execz .LBB6_7451
; %bb.7446:                             ;   in Loop: Header=BB6_7419 Depth=2
	v_cmp_ne_u16_e32 vcc, s69, v24
	v_bfrev_b32_e32 v9, 1
	s_and_saveexec_b64 s[56:57], vcc
	s_cbranch_execz .LBB6_7450
; %bb.7447:                             ;   in Loop: Header=BB6_7419 Depth=2
	v_and_b32_e32 v18, 0x7f, v24
	v_cmp_ne_u32_e32 vcc, s68, v18
	v_mov_b32_e32 v9, 0x7f800001
	s_and_saveexec_b64 s[58:59], vcc
	s_cbranch_execz .LBB6_7449
; %bb.7448:                             ;   in Loop: Header=BB6_7419 Depth=2
	v_and_b32_e32 v9, 7, v24
	v_ffbh_u32_e32 v20, v9
	v_min_u32_e32 v22, 32, v20
	v_subrev_u32_e32 v20, 28, v22
	v_lshlrev_b64 v[20:21], v20, v[24:25]
	v_lshrrev_b32_e32 v19, 3, v18
	v_sub_u32_e32 v21, 29, v22
	v_and_b32_e32 v20, 7, v20
	v_cmp_gt_u32_e32 vcc, 8, v18
	v_cndmask_b32_e32 v18, v19, v21, vcc
	v_cndmask_b32_e32 v9, v9, v20, vcc
	v_lshlrev_b32_e32 v19, 16, v10
	v_bfrev_b32_e32 v20, 60
	v_lshlrev_b32_e32 v9, 20, v9
	v_and_b32_e32 v19, 0x80000000, v19
	v_lshl_add_u32 v18, v18, 23, v20
	v_or3_b32 v9, v19, v18, v9
.LBB6_7449:                             ;   in Loop: Header=BB6_7419 Depth=2
	s_or_b64 exec, exec, s[58:59]
.LBB6_7450:                             ;   in Loop: Header=BB6_7419 Depth=2
	s_or_b64 exec, exec, s[56:57]
.LBB6_7451:                             ;   in Loop: Header=BB6_7419 Depth=2
	s_or_b64 exec, exec, s[22:23]
	v_mul_f32_e32 v19, v8, v9
	v_and_b32_sdwa v18, v19, s69 dst_sel:DWORD dst_unused:UNUSED_PAD src0_sel:BYTE_3 src1_sel:DWORD
	v_and_b32_e32 v20, 0x7f800000, v19
	v_mov_b32_e32 v21, v39
	v_and_b32_e32 v38, 0x7fffff, v19
	v_or_b32_e32 v9, 0x7e, v18
	v_cmp_ne_u64_e32 vcc, s[38:39], v[20:21]
	s_and_saveexec_b64 s[22:23], vcc
	s_xor_b64 s[56:57], exec, s[22:23]
	s_cbranch_execz .LBB6_7461
; %bb.7452:                             ;   in Loop: Header=BB6_7419 Depth=2
	v_and_b32_e32 v20, 0x7fffffff, v19
	v_mov_b32_e32 v21, v39
	v_cmp_gt_u64_e32 vcc, s[40:41], v[20:21]
	s_and_saveexec_b64 s[58:59], vcc
	s_cbranch_execz .LBB6_7460
; %bb.7453:                             ;   in Loop: Header=BB6_7419 Depth=2
	v_cmp_ne_u32_e32 vcc, 0, v19
	v_mov_b32_e32 v9, 0
	s_and_saveexec_b64 s[60:61], vcc
	s_cbranch_execz .LBB6_7459
; %bb.7454:                             ;   in Loop: Header=BB6_7419 Depth=2
	v_bfe_u32 v9, v19, 23, 8
	v_sub_u32_e32 v20, 0x79, v9
	v_cmp_gt_u32_e32 vcc, s70, v9
	v_add_u32_e32 v19, 0xffffff81, v9
	v_cndmask_b32_e32 v20, 0, v20, vcc
	v_cmp_eq_u32_e32 vcc, 0, v9
	v_mov_b32_e32 v9, 0xffffff82
	v_cndmask_b32_e32 v9, v19, v9, vcc
	v_mov_b32_e32 v19, 0x78
	v_cndmask_b32_e32 v19, v20, v19, vcc
	v_or_b32_e32 v21, 0x800000, v38
	v_add_u32_e32 v20, 20, v19
	v_cndmask_b32_e32 v38, v21, v38, vcc
	v_lshlrev_b64 v[20:21], v20, -1
	v_not_b32_e32 v20, v20
	v_and_b32_e32 v22, v38, v20
	v_add_u32_e32 v20, 19, v19
	v_lshrrev_b64 v[26:27], v19, v[38:39]
	v_not_b32_e32 v21, v21
	v_lshlrev_b64 v[24:25], v20, 1
	v_lshrrev_b32_e32 v20, 23, v26
	v_and_b32_e32 v23, 0, v21
	v_add3_u32 v20, v19, v9, v20
	v_bfe_u32 v9, v26, 20, 1
	v_add_u32_e32 v9, -1, v9
	v_cmp_eq_u64_e32 vcc, v[22:23], v[24:25]
	v_cndmask_b32_e32 v9, 0, v9, vcc
	v_add_u32_e32 v9, v9, v26
	v_and_b32_e32 v9, 0xfffff, v9
	v_add_co_u32_e32 v42, vcc, v9, v26
	v_add_u32_e32 v19, 6, v20
	v_addc_co_u32_e32 v43, vcc, 0, v27, vcc
	v_cmp_ne_u32_e32 vcc, 0, v19
                                        ; implicit-def: $vgpr9
	s_and_saveexec_b64 s[22:23], vcc
	s_xor_b64 s[22:23], exec, s[22:23]
; %bb.7455:                             ;   in Loop: Header=BB6_7419 Depth=2
	v_add_u32_e32 v9, 7, v20
	v_cmp_lt_u64_e32 vcc, s[44:45], v[42:43]
	v_cndmask_b32_e32 v9, v19, v9, vcc
	v_cndmask_b32_e64 v19, 0, 1, vcc
	v_lshrrev_b64 v[42:43], v19, v[42:43]
; %bb.7456:                             ;   in Loop: Header=BB6_7419 Depth=2
	s_andn2_saveexec_b64 s[22:23], s[22:23]
; %bb.7457:                             ;   in Loop: Header=BB6_7419 Depth=2
	v_bfe_u32 v9, v42, 23, 1
; %bb.7458:                             ;   in Loop: Header=BB6_7419 Depth=2
	s_or_b64 exec, exec, s[22:23]
	v_lshrrev_b64 v[20:21], 20, v[42:43]
	v_cmp_gt_i32_e32 vcc, 16, v9
	v_cndmask_b32_e32 v21, 0, v21, vcc
	v_cndmask_b32_e32 v20, 7, v20, vcc
	v_cmp_eq_u32_e32 vcc, 0, v9
	v_min_i32_e32 v9, 15, v9
	v_cmp_eq_u64_e64 s[22:23], 0, v[20:21]
	v_lshlrev_b32_e32 v9, 3, v9
	v_and_or_b32 v9, v20, 7, v9
	s_and_b64 s[22:23], vcc, s[22:23]
	v_cndmask_b32_e64 v9, v9, 0, s[22:23]
	v_or_b32_e32 v9, v9, v18
.LBB6_7459:                             ;   in Loop: Header=BB6_7419 Depth=2
	s_or_b64 exec, exec, s[60:61]
.LBB6_7460:                             ;   in Loop: Header=BB6_7419 Depth=2
	s_or_b64 exec, exec, s[58:59]
                                        ; implicit-def: $vgpr19
.LBB6_7461:                             ;   in Loop: Header=BB6_7419 Depth=2
	s_andn2_saveexec_b64 s[22:23], s[56:57]
; %bb.7462:                             ;   in Loop: Header=BB6_7419 Depth=2
	v_or_b32_sdwa v18, v19, s68 dst_sel:DWORD dst_unused:UNUSED_PAD src0_sel:BYTE_3 src1_sel:DWORD
	v_cmp_eq_u64_e32 vcc, 0, v[38:39]
	v_cndmask_b32_e32 v9, v18, v9, vcc
; %bb.7463:                             ;   in Loop: Header=BB6_7419 Depth=2
	s_or_b64 exec, exec, s[22:23]
	v_lshrrev_b32_e32 v24, 16, v10
	v_cmp_ne_u16_sdwa vcc, v24, v39 src0_sel:BYTE_0 src1_sel:DWORD
	v_mov_b32_e32 v18, 0
	s_and_saveexec_b64 s[22:23], vcc
	s_cbranch_execz .LBB6_7469
; %bb.7464:                             ;   in Loop: Header=BB6_7419 Depth=2
	v_cmp_ne_u16_sdwa vcc, v24, s69 src0_sel:BYTE_0 src1_sel:DWORD
	v_bfrev_b32_e32 v18, 1
	s_and_saveexec_b64 s[56:57], vcc
	s_cbranch_execz .LBB6_7468
; %bb.7465:                             ;   in Loop: Header=BB6_7419 Depth=2
	v_bfe_u32 v19, v10, 16, 7
	v_cmp_ne_u32_e32 vcc, s68, v19
	v_mov_b32_e32 v18, 0x7f800001
	s_and_saveexec_b64 s[58:59], vcc
	s_cbranch_execz .LBB6_7467
; %bb.7466:                             ;   in Loop: Header=BB6_7419 Depth=2
	v_and_b32_e32 v18, 7, v24
	v_ffbh_u32_e32 v20, v18
	v_min_u32_e32 v23, 32, v20
	v_subrev_u32_e32 v20, 28, v23
	v_lshlrev_b64 v[20:21], v20, v[24:25]
	v_lshrrev_b32_e32 v22, 3, v19
	v_sub_u32_e32 v21, 29, v23
	v_and_b32_e32 v20, 7, v20
	v_cmp_gt_u32_e32 vcc, 8, v19
	v_cndmask_b32_e32 v19, v22, v21, vcc
	v_cndmask_b32_e32 v18, v18, v20, vcc
	v_lshlrev_b32_e32 v20, 24, v24
	v_bfrev_b32_e32 v21, 60
	v_lshlrev_b32_e32 v18, 20, v18
	v_and_b32_e32 v20, 0x80000000, v20
	v_lshl_add_u32 v19, v19, 23, v21
	v_or3_b32 v18, v20, v19, v18
.LBB6_7467:                             ;   in Loop: Header=BB6_7419 Depth=2
	s_or_b64 exec, exec, s[58:59]
.LBB6_7468:                             ;   in Loop: Header=BB6_7419 Depth=2
	s_or_b64 exec, exec, s[56:57]
.LBB6_7469:                             ;   in Loop: Header=BB6_7419 Depth=2
	s_or_b64 exec, exec, s[22:23]
	v_mul_f32_e32 v20, v8, v18
	v_and_b32_sdwa v19, v20, s69 dst_sel:DWORD dst_unused:UNUSED_PAD src0_sel:BYTE_3 src1_sel:DWORD
	v_and_b32_e32 v22, 0x7f800000, v20
	v_mov_b32_e32 v23, v39
	v_and_b32_e32 v38, 0x7fffff, v20
	v_or_b32_e32 v18, 0x7e, v19
	v_cmp_ne_u64_e32 vcc, s[38:39], v[22:23]
	s_and_saveexec_b64 s[22:23], vcc
	s_xor_b64 s[56:57], exec, s[22:23]
	s_cbranch_execz .LBB6_7479
; %bb.7470:                             ;   in Loop: Header=BB6_7419 Depth=2
	v_and_b32_e32 v22, 0x7fffffff, v20
	v_mov_b32_e32 v23, v39
	v_cmp_gt_u64_e32 vcc, s[40:41], v[22:23]
	s_and_saveexec_b64 s[58:59], vcc
	s_cbranch_execz .LBB6_7478
; %bb.7471:                             ;   in Loop: Header=BB6_7419 Depth=2
	v_cmp_ne_u32_e32 vcc, 0, v20
	v_mov_b32_e32 v18, 0
	s_and_saveexec_b64 s[60:61], vcc
	s_cbranch_execz .LBB6_7477
; %bb.7472:                             ;   in Loop: Header=BB6_7419 Depth=2
	v_bfe_u32 v18, v20, 23, 8
	v_sub_u32_e32 v21, 0x79, v18
	v_cmp_gt_u32_e32 vcc, s70, v18
	v_add_u32_e32 v20, 0xffffff81, v18
	v_cndmask_b32_e32 v21, 0, v21, vcc
	v_cmp_eq_u32_e32 vcc, 0, v18
	v_mov_b32_e32 v18, 0xffffff82
	v_cndmask_b32_e32 v18, v20, v18, vcc
	v_mov_b32_e32 v20, 0x78
	v_cndmask_b32_e32 v28, v21, v20, vcc
	v_add_u32_e32 v20, 20, v28
	v_or_b32_e32 v22, 0x800000, v38
	v_lshlrev_b64 v[20:21], v20, -1
	v_cndmask_b32_e32 v38, v22, v38, vcc
	v_not_b32_e32 v20, v20
	v_and_b32_e32 v22, v38, v20
	v_add_u32_e32 v20, 19, v28
	v_lshrrev_b64 v[26:27], v28, v[38:39]
	v_not_b32_e32 v21, v21
	v_lshlrev_b64 v[24:25], v20, 1
	v_lshrrev_b32_e32 v20, 23, v26
	v_and_b32_e32 v23, 0, v21
	v_add3_u32 v21, v28, v18, v20
	v_bfe_u32 v18, v26, 20, 1
	v_add_u32_e32 v18, -1, v18
	v_cmp_eq_u64_e32 vcc, v[22:23], v[24:25]
	v_cndmask_b32_e32 v18, 0, v18, vcc
	v_add_u32_e32 v18, v18, v26
	v_and_b32_e32 v18, 0xfffff, v18
	v_add_co_u32_e32 v42, vcc, v18, v26
	v_add_u32_e32 v20, 6, v21
	v_addc_co_u32_e32 v43, vcc, 0, v27, vcc
	v_cmp_ne_u32_e32 vcc, 0, v20
                                        ; implicit-def: $vgpr18
	s_and_saveexec_b64 s[22:23], vcc
	s_xor_b64 s[22:23], exec, s[22:23]
; %bb.7473:                             ;   in Loop: Header=BB6_7419 Depth=2
	v_add_u32_e32 v18, 7, v21
	v_cmp_lt_u64_e32 vcc, s[44:45], v[42:43]
	v_cndmask_b32_e32 v18, v20, v18, vcc
	v_cndmask_b32_e64 v20, 0, 1, vcc
	v_lshrrev_b64 v[42:43], v20, v[42:43]
; %bb.7474:                             ;   in Loop: Header=BB6_7419 Depth=2
	s_andn2_saveexec_b64 s[22:23], s[22:23]
; %bb.7475:                             ;   in Loop: Header=BB6_7419 Depth=2
	v_bfe_u32 v18, v42, 23, 1
; %bb.7476:                             ;   in Loop: Header=BB6_7419 Depth=2
	s_or_b64 exec, exec, s[22:23]
	v_lshrrev_b64 v[20:21], 20, v[42:43]
	v_cmp_gt_i32_e32 vcc, 16, v18
	v_cndmask_b32_e32 v21, 0, v21, vcc
	v_cndmask_b32_e32 v20, 7, v20, vcc
	v_cmp_eq_u32_e32 vcc, 0, v18
	v_min_i32_e32 v18, 15, v18
	v_cmp_eq_u64_e64 s[22:23], 0, v[20:21]
	v_lshlrev_b32_e32 v18, 3, v18
	v_and_or_b32 v18, v20, 7, v18
	s_and_b64 s[22:23], vcc, s[22:23]
	v_cndmask_b32_e64 v18, v18, 0, s[22:23]
	v_or_b32_e32 v18, v18, v19
.LBB6_7477:                             ;   in Loop: Header=BB6_7419 Depth=2
	s_or_b64 exec, exec, s[60:61]
.LBB6_7478:                             ;   in Loop: Header=BB6_7419 Depth=2
	s_or_b64 exec, exec, s[58:59]
                                        ; implicit-def: $vgpr20
.LBB6_7479:                             ;   in Loop: Header=BB6_7419 Depth=2
	s_andn2_saveexec_b64 s[22:23], s[56:57]
; %bb.7480:                             ;   in Loop: Header=BB6_7419 Depth=2
	v_or_b32_sdwa v19, v20, s68 dst_sel:DWORD dst_unused:UNUSED_PAD src0_sel:BYTE_3 src1_sel:DWORD
	v_cmp_eq_u64_e32 vcc, 0, v[38:39]
	v_cndmask_b32_e32 v18, v19, v18, vcc
; %bb.7481:                             ;   in Loop: Header=BB6_7419 Depth=2
	s_or_b64 exec, exec, s[22:23]
	v_cmp_lt_u32_e32 vcc, s43, v10
	v_mov_b32_e32 v19, 0
	s_and_saveexec_b64 s[22:23], vcc
	s_cbranch_execz .LBB6_7487
; %bb.7482:                             ;   in Loop: Header=BB6_7419 Depth=2
	v_lshrrev_b32_e32 v24, 24, v10
	v_cmp_ne_u32_e32 vcc, s69, v24
	v_bfrev_b32_e32 v19, 1
	s_and_saveexec_b64 s[56:57], vcc
	s_cbranch_execz .LBB6_7486
; %bb.7483:                             ;   in Loop: Header=BB6_7419 Depth=2
	v_bfe_u32 v20, v10, 24, 7
	v_cmp_ne_u32_e32 vcc, s68, v20
	v_mov_b32_e32 v19, 0x7f800001
	s_and_saveexec_b64 s[58:59], vcc
	s_cbranch_execz .LBB6_7485
; %bb.7484:                             ;   in Loop: Header=BB6_7419 Depth=2
	v_and_b32_e32 v19, 7, v24
	v_ffbh_u32_e32 v22, v19
	v_min_u32_e32 v25, 32, v22
	v_subrev_u32_e32 v22, 28, v25
	v_lshlrev_b64 v[22:23], v22, v[24:25]
	v_lshrrev_b32_e32 v21, 3, v20
	v_sub_u32_e32 v23, 29, v25
	v_and_b32_e32 v22, 7, v22
	v_cmp_gt_u32_e32 vcc, 8, v20
	v_cndmask_b32_e32 v20, v21, v23, vcc
	v_cndmask_b32_e32 v19, v19, v22, vcc
	v_lshlrev_b32_e32 v21, 24, v24
	v_bfrev_b32_e32 v22, 60
	v_lshlrev_b32_e32 v19, 20, v19
	v_and_b32_e32 v21, 0x80000000, v21
	v_lshl_add_u32 v20, v20, 23, v22
	v_or3_b32 v19, v21, v20, v19
.LBB6_7485:                             ;   in Loop: Header=BB6_7419 Depth=2
	s_or_b64 exec, exec, s[58:59]
.LBB6_7486:                             ;   in Loop: Header=BB6_7419 Depth=2
	s_or_b64 exec, exec, s[56:57]
.LBB6_7487:                             ;   in Loop: Header=BB6_7419 Depth=2
	s_or_b64 exec, exec, s[22:23]
	v_mul_f32_e32 v21, v8, v19
	v_and_b32_sdwa v20, v21, s69 dst_sel:DWORD dst_unused:UNUSED_PAD src0_sel:BYTE_3 src1_sel:DWORD
	v_and_b32_e32 v22, 0x7f800000, v21
	v_mov_b32_e32 v23, v39
	v_and_b32_e32 v38, 0x7fffff, v21
	v_or_b32_e32 v19, 0x7e, v20
	v_cmp_ne_u64_e32 vcc, s[38:39], v[22:23]
	s_and_saveexec_b64 s[22:23], vcc
	s_xor_b64 s[56:57], exec, s[22:23]
	s_cbranch_execz .LBB6_7497
; %bb.7488:                             ;   in Loop: Header=BB6_7419 Depth=2
	v_and_b32_e32 v22, 0x7fffffff, v21
	v_mov_b32_e32 v23, v39
	v_cmp_gt_u64_e32 vcc, s[40:41], v[22:23]
	s_and_saveexec_b64 s[58:59], vcc
	s_cbranch_execz .LBB6_7496
; %bb.7489:                             ;   in Loop: Header=BB6_7419 Depth=2
	v_cmp_ne_u32_e32 vcc, 0, v21
	v_mov_b32_e32 v19, 0
	s_and_saveexec_b64 s[60:61], vcc
	s_cbranch_execz .LBB6_7495
; %bb.7490:                             ;   in Loop: Header=BB6_7419 Depth=2
	v_bfe_u32 v19, v21, 23, 8
	v_sub_u32_e32 v22, 0x79, v19
	v_cmp_gt_u32_e32 vcc, s70, v19
	v_add_u32_e32 v21, 0xffffff81, v19
	v_cndmask_b32_e32 v22, 0, v22, vcc
	v_cmp_eq_u32_e32 vcc, 0, v19
	v_mov_b32_e32 v19, 0xffffff82
	v_cndmask_b32_e32 v19, v21, v19, vcc
	v_mov_b32_e32 v21, 0x78
	v_cndmask_b32_e32 v21, v22, v21, vcc
	v_or_b32_e32 v23, 0x800000, v38
	v_add_u32_e32 v22, 20, v21
	v_cndmask_b32_e32 v38, v23, v38, vcc
	v_lshlrev_b64 v[22:23], v22, -1
	v_not_b32_e32 v22, v22
	v_and_b32_e32 v24, v38, v22
	v_add_u32_e32 v22, 19, v21
	v_lshrrev_b64 v[28:29], v21, v[38:39]
	v_not_b32_e32 v23, v23
	v_lshlrev_b64 v[26:27], v22, 1
	v_lshrrev_b32_e32 v22, 23, v28
	v_and_b32_e32 v25, 0, v23
	v_add3_u32 v22, v21, v19, v22
	v_bfe_u32 v19, v28, 20, 1
	v_add_u32_e32 v19, -1, v19
	v_cmp_eq_u64_e32 vcc, v[24:25], v[26:27]
	v_cndmask_b32_e32 v19, 0, v19, vcc
	v_add_u32_e32 v19, v19, v28
	v_and_b32_e32 v19, 0xfffff, v19
	v_add_co_u32_e32 v42, vcc, v19, v28
	v_add_u32_e32 v21, 6, v22
	v_addc_co_u32_e32 v43, vcc, 0, v29, vcc
	v_cmp_ne_u32_e32 vcc, 0, v21
                                        ; implicit-def: $vgpr19
	s_and_saveexec_b64 s[22:23], vcc
	s_xor_b64 s[22:23], exec, s[22:23]
; %bb.7491:                             ;   in Loop: Header=BB6_7419 Depth=2
	v_add_u32_e32 v19, 7, v22
	v_cmp_lt_u64_e32 vcc, s[44:45], v[42:43]
	v_cndmask_b32_e32 v19, v21, v19, vcc
	v_cndmask_b32_e64 v21, 0, 1, vcc
	v_lshrrev_b64 v[42:43], v21, v[42:43]
; %bb.7492:                             ;   in Loop: Header=BB6_7419 Depth=2
	s_andn2_saveexec_b64 s[22:23], s[22:23]
; %bb.7493:                             ;   in Loop: Header=BB6_7419 Depth=2
	v_bfe_u32 v19, v42, 23, 1
; %bb.7494:                             ;   in Loop: Header=BB6_7419 Depth=2
	s_or_b64 exec, exec, s[22:23]
	v_lshrrev_b64 v[22:23], 20, v[42:43]
	v_cmp_gt_i32_e32 vcc, 16, v19
	v_cndmask_b32_e32 v23, 0, v23, vcc
	v_cndmask_b32_e32 v22, 7, v22, vcc
	v_cmp_eq_u32_e32 vcc, 0, v19
	v_min_i32_e32 v19, 15, v19
	v_cmp_eq_u64_e64 s[22:23], 0, v[22:23]
	v_lshlrev_b32_e32 v19, 3, v19
	v_and_or_b32 v19, v22, 7, v19
	s_and_b64 s[22:23], vcc, s[22:23]
	v_cndmask_b32_e64 v19, v19, 0, s[22:23]
	v_or_b32_e32 v19, v19, v20
.LBB6_7495:                             ;   in Loop: Header=BB6_7419 Depth=2
	s_or_b64 exec, exec, s[60:61]
.LBB6_7496:                             ;   in Loop: Header=BB6_7419 Depth=2
	s_or_b64 exec, exec, s[58:59]
                                        ; implicit-def: $vgpr21
.LBB6_7497:                             ;   in Loop: Header=BB6_7419 Depth=2
	s_andn2_saveexec_b64 s[22:23], s[56:57]
; %bb.7498:                             ;   in Loop: Header=BB6_7419 Depth=2
	v_or_b32_sdwa v20, v21, s68 dst_sel:DWORD dst_unused:UNUSED_PAD src0_sel:BYTE_3 src1_sel:DWORD
	v_cmp_eq_u64_e32 vcc, 0, v[38:39]
	v_cndmask_b32_e32 v19, v20, v19, vcc
; %bb.7499:                             ;   in Loop: Header=BB6_7419 Depth=2
	s_or_b64 exec, exec, s[22:23]
	v_mov_b32_e32 v38, v11
	v_cmp_ne_u16_sdwa vcc, v11, v39 src0_sel:BYTE_0 src1_sel:DWORD
	v_mov_b32_e32 v20, 0
	s_and_saveexec_b64 s[22:23], vcc
	s_cbranch_execz .LBB6_7505
; %bb.7500:                             ;   in Loop: Header=BB6_7419 Depth=2
	v_cmp_ne_u16_sdwa vcc, v11, s69 src0_sel:BYTE_0 src1_sel:DWORD
	v_bfrev_b32_e32 v20, 1
	s_and_saveexec_b64 s[56:57], vcc
	s_cbranch_execz .LBB6_7504
; %bb.7501:                             ;   in Loop: Header=BB6_7419 Depth=2
	v_and_b32_e32 v21, 0x7f, v11
	v_cmp_ne_u32_e32 vcc, s68, v21
	v_mov_b32_e32 v20, 0x7f800001
	s_and_saveexec_b64 s[58:59], vcc
	s_cbranch_execz .LBB6_7503
; %bb.7502:                             ;   in Loop: Header=BB6_7419 Depth=2
	v_and_b32_e32 v20, 7, v11
	v_ffbh_u32_e32 v20, v20
	v_min_u32_e32 v20, 32, v20
	v_lshrrev_b32_e32 v22, 3, v21
	v_subrev_u32_e32 v23, 28, v20
	v_sub_u32_e32 v20, 29, v20
	v_cmp_gt_u32_e32 vcc, 8, v21
	v_cndmask_b32_e32 v22, v22, v20, vcc
	v_cndmask_b32_e32 v20, 0, v23, vcc
	v_lshlrev_b64 v[20:21], v20, v[38:39]
	v_lshlrev_b32_e32 v20, 20, v20
	v_lshlrev_b32_e32 v21, 24, v38
	v_bfrev_b32_e32 v23, 60
	v_and_b32_e32 v20, 0x700000, v20
	v_and_b32_e32 v21, 0x80000000, v21
	v_lshl_add_u32 v22, v22, 23, v23
	v_or3_b32 v20, v21, v22, v20
.LBB6_7503:                             ;   in Loop: Header=BB6_7419 Depth=2
	s_or_b64 exec, exec, s[58:59]
.LBB6_7504:                             ;   in Loop: Header=BB6_7419 Depth=2
	s_or_b64 exec, exec, s[56:57]
.LBB6_7505:                             ;   in Loop: Header=BB6_7419 Depth=2
	s_or_b64 exec, exec, s[22:23]
	v_mul_f32_e32 v22, v8, v20
	v_and_b32_sdwa v21, v22, s69 dst_sel:DWORD dst_unused:UNUSED_PAD src0_sel:BYTE_3 src1_sel:DWORD
	v_and_b32_e32 v24, 0x7f800000, v22
	v_mov_b32_e32 v25, v39
	v_and_b32_e32 v42, 0x7fffff, v22
	v_mov_b32_e32 v43, v39
	v_or_b32_e32 v20, 0x7e, v21
	v_cmp_ne_u64_e32 vcc, s[38:39], v[24:25]
	s_and_saveexec_b64 s[22:23], vcc
	s_xor_b64 s[56:57], exec, s[22:23]
	s_cbranch_execz .LBB6_7515
; %bb.7506:                             ;   in Loop: Header=BB6_7419 Depth=2
	v_and_b32_e32 v24, 0x7fffffff, v22
	v_mov_b32_e32 v25, v39
	v_cmp_gt_u64_e32 vcc, s[40:41], v[24:25]
	s_and_saveexec_b64 s[58:59], vcc
	s_cbranch_execz .LBB6_7514
; %bb.7507:                             ;   in Loop: Header=BB6_7419 Depth=2
	v_cmp_ne_u32_e32 vcc, 0, v22
	v_mov_b32_e32 v20, 0
	s_and_saveexec_b64 s[60:61], vcc
	s_cbranch_execz .LBB6_7513
; %bb.7508:                             ;   in Loop: Header=BB6_7419 Depth=2
	v_bfe_u32 v20, v22, 23, 8
	v_sub_u32_e32 v23, 0x79, v20
	v_cmp_gt_u32_e32 vcc, s70, v20
	v_add_u32_e32 v22, 0xffffff81, v20
	v_cndmask_b32_e32 v23, 0, v23, vcc
	v_cmp_eq_u32_e32 vcc, 0, v20
	v_mov_b32_e32 v20, 0xffffff82
	v_cndmask_b32_e32 v20, v22, v20, vcc
	v_mov_b32_e32 v22, 0x78
	v_cndmask_b32_e32 v30, v23, v22, vcc
	v_add_u32_e32 v22, 20, v30
	v_or_b32_e32 v24, 0x800000, v42
	v_lshlrev_b64 v[22:23], v22, -1
	v_cndmask_b32_e32 v42, v24, v42, vcc
	v_not_b32_e32 v22, v22
	v_and_b32_e32 v24, v42, v22
	v_add_u32_e32 v22, 19, v30
	v_lshrrev_b64 v[28:29], v30, v[42:43]
	v_not_b32_e32 v23, v23
	v_lshlrev_b64 v[26:27], v22, 1
	v_lshrrev_b32_e32 v22, 23, v28
	v_and_b32_e32 v25, 0, v23
	v_add3_u32 v23, v30, v20, v22
	v_bfe_u32 v20, v28, 20, 1
	v_add_u32_e32 v20, -1, v20
	v_cmp_eq_u64_e32 vcc, v[24:25], v[26:27]
	v_cndmask_b32_e32 v20, 0, v20, vcc
	v_add_u32_e32 v20, v20, v28
	v_and_b32_e32 v20, 0xfffff, v20
	v_add_co_u32_e32 v42, vcc, v20, v28
	v_add_u32_e32 v22, 6, v23
	v_addc_co_u32_e32 v43, vcc, 0, v29, vcc
	v_cmp_ne_u32_e32 vcc, 0, v22
                                        ; implicit-def: $vgpr20
	s_and_saveexec_b64 s[22:23], vcc
	s_xor_b64 s[22:23], exec, s[22:23]
; %bb.7509:                             ;   in Loop: Header=BB6_7419 Depth=2
	v_add_u32_e32 v20, 7, v23
	v_cmp_lt_u64_e32 vcc, s[44:45], v[42:43]
	v_cndmask_b32_e32 v20, v22, v20, vcc
	v_cndmask_b32_e64 v22, 0, 1, vcc
	v_lshrrev_b64 v[42:43], v22, v[42:43]
; %bb.7510:                             ;   in Loop: Header=BB6_7419 Depth=2
	s_andn2_saveexec_b64 s[22:23], s[22:23]
; %bb.7511:                             ;   in Loop: Header=BB6_7419 Depth=2
	v_bfe_u32 v20, v42, 23, 1
; %bb.7512:                             ;   in Loop: Header=BB6_7419 Depth=2
	s_or_b64 exec, exec, s[22:23]
	v_lshrrev_b64 v[22:23], 20, v[42:43]
	v_cmp_gt_i32_e32 vcc, 16, v20
	v_cndmask_b32_e32 v23, 0, v23, vcc
	v_cndmask_b32_e32 v22, 7, v22, vcc
	v_cmp_eq_u32_e32 vcc, 0, v20
	v_min_i32_e32 v20, 15, v20
	v_cmp_eq_u64_e64 s[22:23], 0, v[22:23]
	v_lshlrev_b32_e32 v20, 3, v20
	v_and_or_b32 v20, v22, 7, v20
	s_and_b64 s[22:23], vcc, s[22:23]
	v_cndmask_b32_e64 v20, v20, 0, s[22:23]
	v_or_b32_e32 v20, v20, v21
.LBB6_7513:                             ;   in Loop: Header=BB6_7419 Depth=2
	s_or_b64 exec, exec, s[60:61]
.LBB6_7514:                             ;   in Loop: Header=BB6_7419 Depth=2
	s_or_b64 exec, exec, s[58:59]
                                        ; implicit-def: $vgpr22
                                        ; implicit-def: $vgpr42_vgpr43
.LBB6_7515:                             ;   in Loop: Header=BB6_7419 Depth=2
	s_andn2_saveexec_b64 s[22:23], s[56:57]
; %bb.7516:                             ;   in Loop: Header=BB6_7419 Depth=2
	v_or_b32_sdwa v21, v22, s68 dst_sel:DWORD dst_unused:UNUSED_PAD src0_sel:BYTE_3 src1_sel:DWORD
	v_cmp_eq_u64_e32 vcc, 0, v[42:43]
	v_cndmask_b32_e32 v20, v21, v20, vcc
; %bb.7517:                             ;   in Loop: Header=BB6_7419 Depth=2
	s_or_b64 exec, exec, s[22:23]
	v_lshrrev_b16_e32 v24, 8, v38
	v_cmp_ne_u16_e32 vcc, 0, v24
	v_mov_b32_e32 v21, 0
	s_and_saveexec_b64 s[22:23], vcc
	s_cbranch_execz .LBB6_7523
; %bb.7518:                             ;   in Loop: Header=BB6_7419 Depth=2
	v_cmp_ne_u16_e32 vcc, s69, v24
	v_bfrev_b32_e32 v21, 1
	s_and_saveexec_b64 s[56:57], vcc
	s_cbranch_execz .LBB6_7522
; %bb.7519:                             ;   in Loop: Header=BB6_7419 Depth=2
	v_and_b32_e32 v22, 0x7f, v24
	v_cmp_ne_u32_e32 vcc, s68, v22
	v_mov_b32_e32 v21, 0x7f800001
	s_and_saveexec_b64 s[58:59], vcc
	s_cbranch_execz .LBB6_7521
; %bb.7520:                             ;   in Loop: Header=BB6_7419 Depth=2
	v_and_b32_e32 v21, 7, v24
	v_ffbh_u32_e32 v25, v21
	v_min_u32_e32 v26, 32, v25
	v_subrev_u32_e32 v25, 28, v26
	v_lshlrev_b64 v[24:25], v25, v[24:25]
	v_lshrrev_b32_e32 v23, 3, v22
	v_sub_u32_e32 v25, 29, v26
	v_and_b32_e32 v24, 7, v24
	v_cmp_gt_u32_e32 vcc, 8, v22
	v_cndmask_b32_e32 v22, v23, v25, vcc
	v_cndmask_b32_e32 v21, v21, v24, vcc
	v_lshlrev_b32_e32 v23, 16, v38
	v_bfrev_b32_e32 v24, 60
	v_lshlrev_b32_e32 v21, 20, v21
	v_and_b32_e32 v23, 0x80000000, v23
	v_lshl_add_u32 v22, v22, 23, v24
	v_or3_b32 v21, v23, v22, v21
.LBB6_7521:                             ;   in Loop: Header=BB6_7419 Depth=2
	s_or_b64 exec, exec, s[58:59]
.LBB6_7522:                             ;   in Loop: Header=BB6_7419 Depth=2
	s_or_b64 exec, exec, s[56:57]
.LBB6_7523:                             ;   in Loop: Header=BB6_7419 Depth=2
	s_or_b64 exec, exec, s[22:23]
	v_mul_f32_e32 v23, v8, v21
	v_and_b32_sdwa v22, v23, s69 dst_sel:DWORD dst_unused:UNUSED_PAD src0_sel:BYTE_3 src1_sel:DWORD
	v_and_b32_e32 v24, 0x7f800000, v23
	v_mov_b32_e32 v25, v39
	v_and_b32_e32 v38, 0x7fffff, v23
	v_or_b32_e32 v21, 0x7e, v22
	v_cmp_ne_u64_e32 vcc, s[38:39], v[24:25]
	s_and_saveexec_b64 s[22:23], vcc
	s_xor_b64 s[56:57], exec, s[22:23]
	s_cbranch_execz .LBB6_7533
; %bb.7524:                             ;   in Loop: Header=BB6_7419 Depth=2
	v_and_b32_e32 v24, 0x7fffffff, v23
	v_mov_b32_e32 v25, v39
	v_cmp_gt_u64_e32 vcc, s[40:41], v[24:25]
	s_and_saveexec_b64 s[58:59], vcc
	s_cbranch_execz .LBB6_7532
; %bb.7525:                             ;   in Loop: Header=BB6_7419 Depth=2
	v_cmp_ne_u32_e32 vcc, 0, v23
	v_mov_b32_e32 v21, 0
	s_and_saveexec_b64 s[60:61], vcc
	s_cbranch_execz .LBB6_7531
; %bb.7526:                             ;   in Loop: Header=BB6_7419 Depth=2
	v_bfe_u32 v21, v23, 23, 8
	v_sub_u32_e32 v24, 0x79, v21
	v_cmp_gt_u32_e32 vcc, s70, v21
	v_add_u32_e32 v23, 0xffffff81, v21
	v_cndmask_b32_e32 v24, 0, v24, vcc
	v_cmp_eq_u32_e32 vcc, 0, v21
	v_mov_b32_e32 v21, 0xffffff82
	v_cndmask_b32_e32 v21, v23, v21, vcc
	v_mov_b32_e32 v23, 0x78
	v_cndmask_b32_e32 v23, v24, v23, vcc
	v_or_b32_e32 v25, 0x800000, v38
	v_add_u32_e32 v24, 20, v23
	v_cndmask_b32_e32 v38, v25, v38, vcc
	v_lshlrev_b64 v[24:25], v24, -1
	v_not_b32_e32 v24, v24
	v_and_b32_e32 v26, v38, v24
	v_add_u32_e32 v24, 19, v23
	v_lshrrev_b64 v[30:31], v23, v[38:39]
	v_not_b32_e32 v25, v25
	v_lshlrev_b64 v[28:29], v24, 1
	v_lshrrev_b32_e32 v24, 23, v30
	v_and_b32_e32 v27, 0, v25
	v_add3_u32 v24, v23, v21, v24
	v_bfe_u32 v21, v30, 20, 1
	v_add_u32_e32 v21, -1, v21
	v_cmp_eq_u64_e32 vcc, v[26:27], v[28:29]
	v_cndmask_b32_e32 v21, 0, v21, vcc
	v_add_u32_e32 v21, v21, v30
	v_and_b32_e32 v21, 0xfffff, v21
	v_add_co_u32_e32 v42, vcc, v21, v30
	v_add_u32_e32 v23, 6, v24
	v_addc_co_u32_e32 v43, vcc, 0, v31, vcc
	v_cmp_ne_u32_e32 vcc, 0, v23
                                        ; implicit-def: $vgpr21
	s_and_saveexec_b64 s[22:23], vcc
	s_xor_b64 s[22:23], exec, s[22:23]
; %bb.7527:                             ;   in Loop: Header=BB6_7419 Depth=2
	v_add_u32_e32 v21, 7, v24
	v_cmp_lt_u64_e32 vcc, s[44:45], v[42:43]
	v_cndmask_b32_e32 v21, v23, v21, vcc
	v_cndmask_b32_e64 v23, 0, 1, vcc
	v_lshrrev_b64 v[42:43], v23, v[42:43]
; %bb.7528:                             ;   in Loop: Header=BB6_7419 Depth=2
	s_andn2_saveexec_b64 s[22:23], s[22:23]
; %bb.7529:                             ;   in Loop: Header=BB6_7419 Depth=2
	v_bfe_u32 v21, v42, 23, 1
; %bb.7530:                             ;   in Loop: Header=BB6_7419 Depth=2
	s_or_b64 exec, exec, s[22:23]
	v_lshrrev_b64 v[24:25], 20, v[42:43]
	v_cmp_gt_i32_e32 vcc, 16, v21
	v_cndmask_b32_e32 v25, 0, v25, vcc
	v_cndmask_b32_e32 v24, 7, v24, vcc
	v_cmp_eq_u32_e32 vcc, 0, v21
	v_min_i32_e32 v21, 15, v21
	v_lshlrev_b32_e32 v21, 3, v21
	v_cmp_eq_u64_e64 s[22:23], 0, v[24:25]
	v_and_b32_e32 v21, 0xf8, v21
	v_and_or_b32 v21, v24, 7, v21
	s_and_b64 s[22:23], vcc, s[22:23]
	v_cndmask_b32_e64 v21, v21, 0, s[22:23]
	v_or_b32_e32 v21, v21, v22
.LBB6_7531:                             ;   in Loop: Header=BB6_7419 Depth=2
	s_or_b64 exec, exec, s[60:61]
.LBB6_7532:                             ;   in Loop: Header=BB6_7419 Depth=2
	s_or_b64 exec, exec, s[58:59]
                                        ; implicit-def: $vgpr23
.LBB6_7533:                             ;   in Loop: Header=BB6_7419 Depth=2
	s_andn2_saveexec_b64 s[22:23], s[56:57]
; %bb.7534:                             ;   in Loop: Header=BB6_7419 Depth=2
	v_or_b32_sdwa v22, v23, s68 dst_sel:DWORD dst_unused:UNUSED_PAD src0_sel:BYTE_3 src1_sel:DWORD
	v_cmp_eq_u64_e32 vcc, 0, v[38:39]
	v_cndmask_b32_e32 v21, v22, v21, vcc
; %bb.7535:                             ;   in Loop: Header=BB6_7419 Depth=2
	s_or_b64 exec, exec, s[22:23]
	v_lshrrev_b32_e32 v24, 16, v11
	v_cmp_ne_u16_sdwa vcc, v24, v39 src0_sel:BYTE_0 src1_sel:DWORD
	v_mov_b32_e32 v22, 0
	s_and_saveexec_b64 s[22:23], vcc
	s_cbranch_execz .LBB6_7541
; %bb.7536:                             ;   in Loop: Header=BB6_7419 Depth=2
	v_cmp_ne_u16_sdwa vcc, v24, s69 src0_sel:BYTE_0 src1_sel:DWORD
	v_bfrev_b32_e32 v22, 1
	s_and_saveexec_b64 s[56:57], vcc
	s_cbranch_execz .LBB6_7540
; %bb.7537:                             ;   in Loop: Header=BB6_7419 Depth=2
	v_bfe_u32 v23, v11, 16, 7
	v_cmp_ne_u32_e32 vcc, s68, v23
	v_mov_b32_e32 v22, 0x7f800001
	s_and_saveexec_b64 s[58:59], vcc
	s_cbranch_execz .LBB6_7539
; %bb.7538:                             ;   in Loop: Header=BB6_7419 Depth=2
	v_and_b32_e32 v22, 7, v24
	v_ffbh_u32_e32 v26, v22
	v_min_u32_e32 v28, 32, v26
	v_lshrrev_b32_e32 v25, 3, v23
	v_subrev_u32_e32 v26, 28, v28
	v_lshlrev_b64 v[26:27], v26, v[24:25]
	v_sub_u32_e32 v27, 29, v28
	v_and_b32_e32 v26, 7, v26
	v_cmp_gt_u32_e32 vcc, 8, v23
	v_cndmask_b32_e32 v23, v25, v27, vcc
	v_cndmask_b32_e32 v22, v22, v26, vcc
	v_lshlrev_b32_e32 v24, 24, v24
	v_bfrev_b32_e32 v25, 60
	v_lshlrev_b32_e32 v22, 20, v22
	v_and_b32_e32 v24, 0x80000000, v24
	v_lshl_add_u32 v23, v23, 23, v25
	v_or3_b32 v22, v24, v23, v22
.LBB6_7539:                             ;   in Loop: Header=BB6_7419 Depth=2
	s_or_b64 exec, exec, s[58:59]
.LBB6_7540:                             ;   in Loop: Header=BB6_7419 Depth=2
	s_or_b64 exec, exec, s[56:57]
.LBB6_7541:                             ;   in Loop: Header=BB6_7419 Depth=2
	s_or_b64 exec, exec, s[22:23]
	v_mul_f32_e32 v24, v8, v22
	v_and_b32_sdwa v23, v24, s69 dst_sel:DWORD dst_unused:UNUSED_PAD src0_sel:BYTE_3 src1_sel:DWORD
	v_and_b32_e32 v26, 0x7f800000, v24
	v_mov_b32_e32 v27, v39
	v_and_b32_e32 v38, 0x7fffff, v24
	v_or_b32_e32 v22, 0x7e, v23
	v_cmp_ne_u64_e32 vcc, s[38:39], v[26:27]
	s_and_saveexec_b64 s[22:23], vcc
	s_xor_b64 s[56:57], exec, s[22:23]
	s_cbranch_execz .LBB6_7551
; %bb.7542:                             ;   in Loop: Header=BB6_7419 Depth=2
	v_and_b32_e32 v26, 0x7fffffff, v24
	v_mov_b32_e32 v27, v39
	v_cmp_gt_u64_e32 vcc, s[40:41], v[26:27]
	s_and_saveexec_b64 s[58:59], vcc
	s_cbranch_execz .LBB6_7550
; %bb.7543:                             ;   in Loop: Header=BB6_7419 Depth=2
	v_cmp_ne_u32_e32 vcc, 0, v24
	v_mov_b32_e32 v22, 0
	s_and_saveexec_b64 s[60:61], vcc
	s_cbranch_execz .LBB6_7549
; %bb.7544:                             ;   in Loop: Header=BB6_7419 Depth=2
	v_bfe_u32 v22, v24, 23, 8
	v_sub_u32_e32 v25, 0x79, v22
	v_cmp_gt_u32_e32 vcc, s70, v22
	v_add_u32_e32 v24, 0xffffff81, v22
	v_cndmask_b32_e32 v25, 0, v25, vcc
	v_cmp_eq_u32_e32 vcc, 0, v22
	v_mov_b32_e32 v22, 0xffffff82
	v_cndmask_b32_e32 v22, v24, v22, vcc
	v_mov_b32_e32 v24, 0x78
	v_cndmask_b32_e32 v32, v25, v24, vcc
	v_add_u32_e32 v24, 20, v32
	v_or_b32_e32 v26, 0x800000, v38
	v_lshlrev_b64 v[24:25], v24, -1
	v_cndmask_b32_e32 v38, v26, v38, vcc
	v_not_b32_e32 v24, v24
	v_and_b32_e32 v26, v38, v24
	v_add_u32_e32 v24, 19, v32
	v_lshrrev_b64 v[30:31], v32, v[38:39]
	v_not_b32_e32 v25, v25
	v_lshlrev_b64 v[28:29], v24, 1
	v_lshrrev_b32_e32 v24, 23, v30
	v_and_b32_e32 v27, 0, v25
	v_add3_u32 v25, v32, v22, v24
	v_bfe_u32 v22, v30, 20, 1
	v_add_u32_e32 v22, -1, v22
	v_cmp_eq_u64_e32 vcc, v[26:27], v[28:29]
	v_cndmask_b32_e32 v22, 0, v22, vcc
	v_add_u32_e32 v22, v22, v30
	v_and_b32_e32 v22, 0xfffff, v22
	v_add_co_u32_e32 v42, vcc, v22, v30
	v_add_u32_e32 v24, 6, v25
	v_addc_co_u32_e32 v43, vcc, 0, v31, vcc
	v_cmp_ne_u32_e32 vcc, 0, v24
                                        ; implicit-def: $vgpr22
	s_and_saveexec_b64 s[22:23], vcc
	s_xor_b64 s[22:23], exec, s[22:23]
; %bb.7545:                             ;   in Loop: Header=BB6_7419 Depth=2
	v_add_u32_e32 v22, 7, v25
	v_cmp_lt_u64_e32 vcc, s[44:45], v[42:43]
	v_cndmask_b32_e32 v22, v24, v22, vcc
	v_cndmask_b32_e64 v24, 0, 1, vcc
	v_lshrrev_b64 v[42:43], v24, v[42:43]
; %bb.7546:                             ;   in Loop: Header=BB6_7419 Depth=2
	s_andn2_saveexec_b64 s[22:23], s[22:23]
; %bb.7547:                             ;   in Loop: Header=BB6_7419 Depth=2
	v_bfe_u32 v22, v42, 23, 1
; %bb.7548:                             ;   in Loop: Header=BB6_7419 Depth=2
	s_or_b64 exec, exec, s[22:23]
	v_lshrrev_b64 v[24:25], 20, v[42:43]
	v_cmp_gt_i32_e32 vcc, 16, v22
	v_cndmask_b32_e32 v25, 0, v25, vcc
	v_cndmask_b32_e32 v24, 7, v24, vcc
	v_cmp_eq_u32_e32 vcc, 0, v22
	v_min_i32_e32 v22, 15, v22
	v_lshlrev_b32_e32 v22, 3, v22
	v_cmp_eq_u64_e64 s[22:23], 0, v[24:25]
	v_and_b32_e32 v22, 0xf8, v22
	v_and_or_b32 v22, v24, 7, v22
	s_and_b64 s[22:23], vcc, s[22:23]
	v_cndmask_b32_e64 v22, v22, 0, s[22:23]
	v_or_b32_e32 v22, v22, v23
.LBB6_7549:                             ;   in Loop: Header=BB6_7419 Depth=2
	s_or_b64 exec, exec, s[60:61]
.LBB6_7550:                             ;   in Loop: Header=BB6_7419 Depth=2
	s_or_b64 exec, exec, s[58:59]
                                        ; implicit-def: $vgpr24
.LBB6_7551:                             ;   in Loop: Header=BB6_7419 Depth=2
	s_andn2_saveexec_b64 s[22:23], s[56:57]
; %bb.7552:                             ;   in Loop: Header=BB6_7419 Depth=2
	v_or_b32_sdwa v23, v24, s68 dst_sel:DWORD dst_unused:UNUSED_PAD src0_sel:BYTE_3 src1_sel:DWORD
	v_cmp_eq_u64_e32 vcc, 0, v[38:39]
	v_cndmask_b32_e32 v22, v23, v22, vcc
; %bb.7553:                             ;   in Loop: Header=BB6_7419 Depth=2
	s_or_b64 exec, exec, s[22:23]
	v_cmp_lt_u64_e32 vcc, s[42:43], v[10:11]
	v_mov_b32_e32 v23, 0
	s_and_saveexec_b64 s[22:23], vcc
	s_cbranch_execz .LBB6_7559
; %bb.7554:                             ;   in Loop: Header=BB6_7419 Depth=2
	v_lshrrev_b32_e32 v10, 24, v11
	v_cmp_ne_u32_e32 vcc, s69, v10
	v_bfrev_b32_e32 v23, 1
	s_and_saveexec_b64 s[56:57], vcc
	s_cbranch_execz .LBB6_7558
; %bb.7555:                             ;   in Loop: Header=BB6_7419 Depth=2
	v_bfe_u32 v11, v11, 24, 7
	v_cmp_ne_u32_e32 vcc, s68, v11
	v_mov_b32_e32 v23, 0x7f800001
	s_and_saveexec_b64 s[58:59], vcc
	s_cbranch_execz .LBB6_7557
; %bb.7556:                             ;   in Loop: Header=BB6_7419 Depth=2
	v_and_b32_e32 v23, 7, v10
	v_ffbh_u32_e32 v24, v23
	v_min_u32_e32 v27, 32, v24
	v_subrev_u32_e32 v24, 28, v27
	v_lshlrev_b64 v[24:25], v24, v[10:11]
	v_lshrrev_b32_e32 v26, 3, v11
	v_sub_u32_e32 v25, 29, v27
	v_and_b32_e32 v24, 7, v24
	v_cmp_gt_u32_e32 vcc, 8, v11
	v_cndmask_b32_e32 v11, v26, v25, vcc
	v_cndmask_b32_e32 v23, v23, v24, vcc
	v_lshlrev_b32_e32 v10, 24, v10
	v_bfrev_b32_e32 v24, 60
	v_lshlrev_b32_e32 v23, 20, v23
	v_and_b32_e32 v10, 0x80000000, v10
	v_lshl_add_u32 v11, v11, 23, v24
	v_or3_b32 v23, v10, v11, v23
.LBB6_7557:                             ;   in Loop: Header=BB6_7419 Depth=2
	s_or_b64 exec, exec, s[58:59]
.LBB6_7558:                             ;   in Loop: Header=BB6_7419 Depth=2
	s_or_b64 exec, exec, s[56:57]
.LBB6_7559:                             ;   in Loop: Header=BB6_7419 Depth=2
	s_or_b64 exec, exec, s[22:23]
	v_mul_f32_e32 v10, v8, v23
	v_and_b32_sdwa v24, v10, s69 dst_sel:DWORD dst_unused:UNUSED_PAD src0_sel:BYTE_3 src1_sel:DWORD
	v_and_b32_e32 v26, 0x7f800000, v10
	v_mov_b32_e32 v27, v39
	v_and_b32_e32 v38, 0x7fffff, v10
	v_or_b32_e32 v23, 0x7e, v24
	v_cmp_ne_u64_e32 vcc, s[38:39], v[26:27]
	s_and_saveexec_b64 s[22:23], vcc
	s_xor_b64 s[56:57], exec, s[22:23]
	s_cbranch_execz .LBB6_7569
; %bb.7560:                             ;   in Loop: Header=BB6_7419 Depth=2
	v_and_b32_e32 v26, 0x7fffffff, v10
	v_mov_b32_e32 v27, v39
	v_cmp_gt_u64_e32 vcc, s[40:41], v[26:27]
	s_and_saveexec_b64 s[58:59], vcc
	s_cbranch_execz .LBB6_7568
; %bb.7561:                             ;   in Loop: Header=BB6_7419 Depth=2
	v_cmp_ne_u32_e32 vcc, 0, v10
	v_mov_b32_e32 v23, 0
	s_and_saveexec_b64 s[60:61], vcc
	s_cbranch_execz .LBB6_7567
; %bb.7562:                             ;   in Loop: Header=BB6_7419 Depth=2
	v_bfe_u32 v10, v10, 23, 8
	v_sub_u32_e32 v23, 0x79, v10
	v_cmp_gt_u32_e32 vcc, s70, v10
	v_add_u32_e32 v11, 0xffffff81, v10
	v_cndmask_b32_e32 v23, 0, v23, vcc
	v_cmp_eq_u32_e32 vcc, 0, v10
	v_mov_b32_e32 v10, 0xffffff82
	v_cndmask_b32_e32 v26, v11, v10, vcc
	v_mov_b32_e32 v10, 0x78
	v_or_b32_e32 v25, 0x800000, v38
	v_cndmask_b32_e32 v23, v23, v10, vcc
	v_cndmask_b32_e32 v38, v25, v38, vcc
	v_add_u32_e32 v10, 20, v23
	v_lshlrev_b64 v[10:11], v10, -1
	v_add_u32_e32 v25, 19, v23
	v_lshrrev_b64 v[30:31], v23, v[38:39]
	v_not_b32_e32 v11, v11
	v_not_b32_e32 v10, v10
	v_lshlrev_b64 v[28:29], v25, 1
	v_lshrrev_b32_e32 v25, 23, v30
	v_and_b32_e32 v11, 0, v11
	v_and_b32_e32 v10, v38, v10
	v_add3_u32 v26, v23, v26, v25
	v_bfe_u32 v23, v30, 20, 1
	v_add_u32_e32 v23, -1, v23
	v_cmp_eq_u64_e32 vcc, v[10:11], v[28:29]
	v_cndmask_b32_e32 v10, 0, v23, vcc
	v_add_u32_e32 v10, v10, v30
	v_and_b32_e32 v10, 0xfffff, v10
	v_add_co_u32_e32 v10, vcc, v10, v30
	v_add_u32_e32 v25, 6, v26
	v_addc_co_u32_e32 v11, vcc, 0, v31, vcc
	v_cmp_ne_u32_e32 vcc, 0, v25
                                        ; implicit-def: $vgpr23
	s_and_saveexec_b64 s[22:23], vcc
	s_xor_b64 s[22:23], exec, s[22:23]
; %bb.7563:                             ;   in Loop: Header=BB6_7419 Depth=2
	v_add_u32_e32 v23, 7, v26
	v_cmp_lt_u64_e32 vcc, s[44:45], v[10:11]
	v_cndmask_b32_e32 v23, v25, v23, vcc
	v_cndmask_b32_e64 v25, 0, 1, vcc
	v_lshrrev_b64 v[10:11], v25, v[10:11]
; %bb.7564:                             ;   in Loop: Header=BB6_7419 Depth=2
	s_andn2_saveexec_b64 s[22:23], s[22:23]
; %bb.7565:                             ;   in Loop: Header=BB6_7419 Depth=2
	v_bfe_u32 v23, v10, 23, 1
; %bb.7566:                             ;   in Loop: Header=BB6_7419 Depth=2
	s_or_b64 exec, exec, s[22:23]
	v_lshrrev_b64 v[10:11], 20, v[10:11]
	v_cmp_gt_i32_e32 vcc, 16, v23
	v_cndmask_b32_e32 v11, 0, v11, vcc
	v_cndmask_b32_e32 v10, 7, v10, vcc
	v_cmp_eq_u64_e64 s[22:23], 0, v[10:11]
	v_min_i32_e32 v11, 15, v23
	v_lshlrev_b32_e32 v11, 3, v11
	v_cmp_eq_u32_e32 vcc, 0, v23
	v_and_b32_e32 v11, 0xf8, v11
	v_and_or_b32 v10, v10, 7, v11
	s_and_b64 s[22:23], vcc, s[22:23]
	v_cndmask_b32_e64 v10, v10, 0, s[22:23]
	v_or_b32_e32 v23, v10, v24
.LBB6_7567:                             ;   in Loop: Header=BB6_7419 Depth=2
	s_or_b64 exec, exec, s[60:61]
.LBB6_7568:                             ;   in Loop: Header=BB6_7419 Depth=2
	s_or_b64 exec, exec, s[58:59]
                                        ; implicit-def: $vgpr10
.LBB6_7569:                             ;   in Loop: Header=BB6_7419 Depth=2
	s_andn2_saveexec_b64 s[22:23], s[56:57]
; %bb.7570:                             ;   in Loop: Header=BB6_7419 Depth=2
	v_or_b32_sdwa v10, v10, s68 dst_sel:DWORD dst_unused:UNUSED_PAD src0_sel:BYTE_3 src1_sel:DWORD
	v_cmp_eq_u64_e32 vcc, 0, v[38:39]
	v_cndmask_b32_e32 v23, v10, v23, vcc
; %bb.7571:                             ;   in Loop: Header=BB6_7419 Depth=2
	s_or_b64 exec, exec, s[22:23]
	v_cmp_ne_u16_sdwa vcc, v12, v39 src0_sel:BYTE_0 src1_sel:DWORD
	v_mov_b32_e32 v10, 0
	s_and_saveexec_b64 s[22:23], vcc
	s_cbranch_execz .LBB6_7577
; %bb.7572:                             ;   in Loop: Header=BB6_7419 Depth=2
	v_cmp_ne_u16_sdwa vcc, v12, s69 src0_sel:BYTE_0 src1_sel:DWORD
	v_bfrev_b32_e32 v10, 1
	s_and_saveexec_b64 s[56:57], vcc
	s_cbranch_execz .LBB6_7576
; %bb.7573:                             ;   in Loop: Header=BB6_7419 Depth=2
	v_and_b32_e32 v11, 0x7f, v12
	v_cmp_ne_u32_e32 vcc, s68, v11
	v_mov_b32_e32 v10, 0x7f800001
	s_and_saveexec_b64 s[58:59], vcc
	s_cbranch_execz .LBB6_7575
; %bb.7574:                             ;   in Loop: Header=BB6_7419 Depth=2
	v_and_b32_e32 v10, 7, v12
	v_ffbh_u32_e32 v10, v10
	v_min_u32_e32 v10, 32, v10
	v_lshrrev_b32_e32 v24, 3, v11
	v_subrev_u32_e32 v25, 28, v10
	v_sub_u32_e32 v10, 29, v10
	v_cmp_gt_u32_e32 vcc, 8, v11
	v_cndmask_b32_e32 v24, v24, v10, vcc
	v_cndmask_b32_e32 v10, 0, v25, vcc
	v_lshlrev_b64 v[10:11], v10, v[12:13]
	v_lshlrev_b32_e32 v10, 20, v10
	v_lshlrev_b32_e32 v11, 24, v12
	v_bfrev_b32_e32 v25, 60
	v_and_b32_e32 v10, 0x700000, v10
	v_and_b32_e32 v11, 0x80000000, v11
	v_lshl_add_u32 v24, v24, 23, v25
	v_or3_b32 v10, v11, v24, v10
.LBB6_7575:                             ;   in Loop: Header=BB6_7419 Depth=2
	s_or_b64 exec, exec, s[58:59]
.LBB6_7576:                             ;   in Loop: Header=BB6_7419 Depth=2
	s_or_b64 exec, exec, s[56:57]
.LBB6_7577:                             ;   in Loop: Header=BB6_7419 Depth=2
	s_or_b64 exec, exec, s[22:23]
	v_mul_f32_e32 v10, v8, v10
	v_and_b32_sdwa v25, v10, s69 dst_sel:DWORD dst_unused:UNUSED_PAD src0_sel:BYTE_3 src1_sel:DWORD
	v_and_b32_e32 v26, 0x7f800000, v10
	v_mov_b32_e32 v27, v39
	v_and_b32_e32 v38, 0x7fffff, v10
	v_or_b32_e32 v24, 0x7e, v25
	v_cmp_ne_u64_e32 vcc, s[38:39], v[26:27]
	s_and_saveexec_b64 s[22:23], vcc
	s_xor_b64 s[56:57], exec, s[22:23]
	s_cbranch_execz .LBB6_7587
; %bb.7578:                             ;   in Loop: Header=BB6_7419 Depth=2
	v_and_b32_e32 v26, 0x7fffffff, v10
	v_mov_b32_e32 v27, v39
	v_cmp_gt_u64_e32 vcc, s[40:41], v[26:27]
	s_and_saveexec_b64 s[58:59], vcc
	s_cbranch_execz .LBB6_7586
; %bb.7579:                             ;   in Loop: Header=BB6_7419 Depth=2
	v_cmp_ne_u32_e32 vcc, 0, v10
	v_mov_b32_e32 v24, 0
	s_and_saveexec_b64 s[60:61], vcc
	s_cbranch_execz .LBB6_7585
; %bb.7580:                             ;   in Loop: Header=BB6_7419 Depth=2
	v_bfe_u32 v10, v10, 23, 8
	v_sub_u32_e32 v24, 0x79, v10
	v_cmp_gt_u32_e32 vcc, s70, v10
	v_add_u32_e32 v11, 0xffffff81, v10
	v_cndmask_b32_e32 v24, 0, v24, vcc
	v_cmp_eq_u32_e32 vcc, 0, v10
	v_mov_b32_e32 v10, 0xffffff82
	v_cndmask_b32_e32 v27, v11, v10, vcc
	v_mov_b32_e32 v10, 0x78
	v_or_b32_e32 v26, 0x800000, v38
	v_cndmask_b32_e32 v24, v24, v10, vcc
	v_cndmask_b32_e32 v38, v26, v38, vcc
	v_add_u32_e32 v10, 20, v24
	v_lshlrev_b64 v[10:11], v10, -1
	v_add_u32_e32 v26, 19, v24
	v_lshrrev_b64 v[30:31], v24, v[38:39]
	v_not_b32_e32 v11, v11
	v_not_b32_e32 v10, v10
	v_lshlrev_b64 v[28:29], v26, 1
	v_lshrrev_b32_e32 v26, 23, v30
	v_and_b32_e32 v11, 0, v11
	v_and_b32_e32 v10, v38, v10
	v_add3_u32 v27, v24, v27, v26
	v_bfe_u32 v24, v30, 20, 1
	v_add_u32_e32 v24, -1, v24
	v_cmp_eq_u64_e32 vcc, v[10:11], v[28:29]
	v_cndmask_b32_e32 v10, 0, v24, vcc
	v_add_u32_e32 v10, v10, v30
	v_and_b32_e32 v10, 0xfffff, v10
	v_add_co_u32_e32 v10, vcc, v10, v30
	v_add_u32_e32 v26, 6, v27
	v_addc_co_u32_e32 v11, vcc, 0, v31, vcc
	v_cmp_ne_u32_e32 vcc, 0, v26
                                        ; implicit-def: $vgpr24
	s_and_saveexec_b64 s[22:23], vcc
	s_xor_b64 s[22:23], exec, s[22:23]
; %bb.7581:                             ;   in Loop: Header=BB6_7419 Depth=2
	v_add_u32_e32 v24, 7, v27
	v_cmp_lt_u64_e32 vcc, s[44:45], v[10:11]
	v_cndmask_b32_e32 v24, v26, v24, vcc
	v_cndmask_b32_e64 v26, 0, 1, vcc
	v_lshrrev_b64 v[10:11], v26, v[10:11]
; %bb.7582:                             ;   in Loop: Header=BB6_7419 Depth=2
	s_andn2_saveexec_b64 s[22:23], s[22:23]
; %bb.7583:                             ;   in Loop: Header=BB6_7419 Depth=2
	v_bfe_u32 v24, v10, 23, 1
; %bb.7584:                             ;   in Loop: Header=BB6_7419 Depth=2
	s_or_b64 exec, exec, s[22:23]
	v_lshrrev_b64 v[10:11], 20, v[10:11]
	v_cmp_gt_i32_e32 vcc, 16, v24
	v_cndmask_b32_e32 v11, 0, v11, vcc
	v_cndmask_b32_e32 v10, 7, v10, vcc
	v_cmp_eq_u64_e64 s[22:23], 0, v[10:11]
	v_min_i32_e32 v11, 15, v24
	v_cmp_eq_u32_e32 vcc, 0, v24
	v_lshlrev_b32_e32 v11, 3, v11
	v_and_or_b32 v10, v10, 7, v11
	s_and_b64 s[22:23], vcc, s[22:23]
	v_cndmask_b32_e64 v10, v10, 0, s[22:23]
	v_or_b32_e32 v24, v10, v25
.LBB6_7585:                             ;   in Loop: Header=BB6_7419 Depth=2
	s_or_b64 exec, exec, s[60:61]
.LBB6_7586:                             ;   in Loop: Header=BB6_7419 Depth=2
	s_or_b64 exec, exec, s[58:59]
                                        ; implicit-def: $vgpr10
.LBB6_7587:                             ;   in Loop: Header=BB6_7419 Depth=2
	s_andn2_saveexec_b64 s[22:23], s[56:57]
; %bb.7588:                             ;   in Loop: Header=BB6_7419 Depth=2
	v_or_b32_sdwa v10, v10, s68 dst_sel:DWORD dst_unused:UNUSED_PAD src0_sel:BYTE_3 src1_sel:DWORD
	v_cmp_eq_u64_e32 vcc, 0, v[38:39]
	v_cndmask_b32_e32 v24, v10, v24, vcc
; %bb.7589:                             ;   in Loop: Header=BB6_7419 Depth=2
	s_or_b64 exec, exec, s[22:23]
	v_lshrrev_b16_e32 v10, 8, v12
	v_cmp_ne_u16_e32 vcc, 0, v10
	v_mov_b32_e32 v11, 0
	s_and_saveexec_b64 s[22:23], vcc
	s_cbranch_execz .LBB6_7595
; %bb.7590:                             ;   in Loop: Header=BB6_7419 Depth=2
	v_cmp_ne_u16_e32 vcc, s69, v10
	v_bfrev_b32_e32 v11, 1
	s_and_saveexec_b64 s[56:57], vcc
	s_cbranch_execz .LBB6_7594
; %bb.7591:                             ;   in Loop: Header=BB6_7419 Depth=2
	v_and_b32_e32 v25, 0x7f, v10
	v_cmp_ne_u32_e32 vcc, s68, v25
	v_mov_b32_e32 v11, 0x7f800001
	s_and_saveexec_b64 s[58:59], vcc
	s_cbranch_execz .LBB6_7593
; %bb.7592:                             ;   in Loop: Header=BB6_7419 Depth=2
	v_and_b32_e32 v26, 7, v10
	v_ffbh_u32_e32 v11, v26
	v_min_u32_e32 v28, 32, v11
	v_subrev_u32_e32 v11, 28, v28
	v_lshlrev_b64 v[10:11], v11, v[10:11]
	v_lshrrev_b32_e32 v27, 3, v25
	v_sub_u32_e32 v11, 29, v28
	v_and_b32_e32 v10, 7, v10
	v_cmp_gt_u32_e32 vcc, 8, v25
	v_cndmask_b32_e32 v11, v27, v11, vcc
	v_cndmask_b32_e32 v10, v26, v10, vcc
	v_lshlrev_b32_e32 v25, 16, v12
	v_bfrev_b32_e32 v26, 60
	v_lshlrev_b32_e32 v10, 20, v10
	v_and_b32_e32 v25, 0x80000000, v25
	v_lshl_add_u32 v11, v11, 23, v26
	v_or3_b32 v11, v25, v11, v10
.LBB6_7593:                             ;   in Loop: Header=BB6_7419 Depth=2
	s_or_b64 exec, exec, s[58:59]
.LBB6_7594:                             ;   in Loop: Header=BB6_7419 Depth=2
	s_or_b64 exec, exec, s[56:57]
.LBB6_7595:                             ;   in Loop: Header=BB6_7419 Depth=2
	s_or_b64 exec, exec, s[22:23]
	v_mul_f32_e32 v10, v8, v11
	v_and_b32_sdwa v26, v10, s69 dst_sel:DWORD dst_unused:UNUSED_PAD src0_sel:BYTE_3 src1_sel:DWORD
	v_and_b32_e32 v28, 0x7f800000, v10
	v_mov_b32_e32 v29, v39
	v_and_b32_e32 v38, 0x7fffff, v10
	v_or_b32_e32 v25, 0x7e, v26
	v_cmp_ne_u64_e32 vcc, s[38:39], v[28:29]
	s_and_saveexec_b64 s[22:23], vcc
	s_xor_b64 s[56:57], exec, s[22:23]
	s_cbranch_execz .LBB6_7605
; %bb.7596:                             ;   in Loop: Header=BB6_7419 Depth=2
	v_and_b32_e32 v28, 0x7fffffff, v10
	v_mov_b32_e32 v29, v39
	v_cmp_gt_u64_e32 vcc, s[40:41], v[28:29]
	s_and_saveexec_b64 s[58:59], vcc
	s_cbranch_execz .LBB6_7604
; %bb.7597:                             ;   in Loop: Header=BB6_7419 Depth=2
	v_cmp_ne_u32_e32 vcc, 0, v10
	v_mov_b32_e32 v25, 0
	s_and_saveexec_b64 s[60:61], vcc
	s_cbranch_execz .LBB6_7603
; %bb.7598:                             ;   in Loop: Header=BB6_7419 Depth=2
	v_bfe_u32 v10, v10, 23, 8
	v_sub_u32_e32 v25, 0x79, v10
	v_cmp_gt_u32_e32 vcc, s70, v10
	v_add_u32_e32 v11, 0xffffff81, v10
	v_cndmask_b32_e32 v25, 0, v25, vcc
	v_cmp_eq_u32_e32 vcc, 0, v10
	v_mov_b32_e32 v10, 0xffffff82
	v_cndmask_b32_e32 v28, v11, v10, vcc
	v_mov_b32_e32 v10, 0x78
	v_or_b32_e32 v27, 0x800000, v38
	v_cndmask_b32_e32 v25, v25, v10, vcc
	v_cndmask_b32_e32 v38, v27, v38, vcc
	v_add_u32_e32 v10, 20, v25
	v_lshlrev_b64 v[10:11], v10, -1
	v_add_u32_e32 v27, 19, v25
	v_lshrrev_b64 v[32:33], v25, v[38:39]
	v_not_b32_e32 v11, v11
	v_not_b32_e32 v10, v10
	v_lshlrev_b64 v[30:31], v27, 1
	v_lshrrev_b32_e32 v27, 23, v32
	v_and_b32_e32 v11, 0, v11
	v_and_b32_e32 v10, v38, v10
	v_add3_u32 v28, v25, v28, v27
	v_bfe_u32 v25, v32, 20, 1
	v_add_u32_e32 v25, -1, v25
	v_cmp_eq_u64_e32 vcc, v[10:11], v[30:31]
	v_cndmask_b32_e32 v10, 0, v25, vcc
	v_add_u32_e32 v10, v10, v32
	v_and_b32_e32 v10, 0xfffff, v10
	v_add_co_u32_e32 v10, vcc, v10, v32
	v_add_u32_e32 v27, 6, v28
	v_addc_co_u32_e32 v11, vcc, 0, v33, vcc
	v_cmp_ne_u32_e32 vcc, 0, v27
                                        ; implicit-def: $vgpr25
	s_and_saveexec_b64 s[22:23], vcc
	s_xor_b64 s[22:23], exec, s[22:23]
; %bb.7599:                             ;   in Loop: Header=BB6_7419 Depth=2
	v_add_u32_e32 v25, 7, v28
	v_cmp_lt_u64_e32 vcc, s[44:45], v[10:11]
	v_cndmask_b32_e32 v25, v27, v25, vcc
	v_cndmask_b32_e64 v27, 0, 1, vcc
	v_lshrrev_b64 v[10:11], v27, v[10:11]
; %bb.7600:                             ;   in Loop: Header=BB6_7419 Depth=2
	s_andn2_saveexec_b64 s[22:23], s[22:23]
; %bb.7601:                             ;   in Loop: Header=BB6_7419 Depth=2
	v_bfe_u32 v25, v10, 23, 1
; %bb.7602:                             ;   in Loop: Header=BB6_7419 Depth=2
	s_or_b64 exec, exec, s[22:23]
	v_lshrrev_b64 v[10:11], 20, v[10:11]
	v_cmp_gt_i32_e32 vcc, 16, v25
	v_cndmask_b32_e32 v11, 0, v11, vcc
	v_cndmask_b32_e32 v10, 7, v10, vcc
	v_cmp_eq_u64_e64 s[22:23], 0, v[10:11]
	v_min_i32_e32 v11, 15, v25
	v_cmp_eq_u32_e32 vcc, 0, v25
	v_lshlrev_b32_e32 v11, 3, v11
	v_and_or_b32 v10, v10, 7, v11
	s_and_b64 s[22:23], vcc, s[22:23]
	v_cndmask_b32_e64 v10, v10, 0, s[22:23]
	v_or_b32_e32 v25, v10, v26
.LBB6_7603:                             ;   in Loop: Header=BB6_7419 Depth=2
	s_or_b64 exec, exec, s[60:61]
.LBB6_7604:                             ;   in Loop: Header=BB6_7419 Depth=2
	s_or_b64 exec, exec, s[58:59]
                                        ; implicit-def: $vgpr10
.LBB6_7605:                             ;   in Loop: Header=BB6_7419 Depth=2
	s_andn2_saveexec_b64 s[22:23], s[56:57]
; %bb.7606:                             ;   in Loop: Header=BB6_7419 Depth=2
	v_or_b32_sdwa v10, v10, s68 dst_sel:DWORD dst_unused:UNUSED_PAD src0_sel:BYTE_3 src1_sel:DWORD
	v_cmp_eq_u64_e32 vcc, 0, v[38:39]
	v_cndmask_b32_e32 v25, v10, v25, vcc
; %bb.7607:                             ;   in Loop: Header=BB6_7419 Depth=2
	s_or_b64 exec, exec, s[22:23]
	v_lshrrev_b32_e32 v10, 16, v12
	v_cmp_ne_u16_sdwa vcc, v10, v39 src0_sel:BYTE_0 src1_sel:DWORD
	v_mov_b32_e32 v11, 0
	s_and_saveexec_b64 s[22:23], vcc
	s_cbranch_execz .LBB6_7613
; %bb.7608:                             ;   in Loop: Header=BB6_7419 Depth=2
	v_cmp_ne_u16_sdwa vcc, v10, s69 src0_sel:BYTE_0 src1_sel:DWORD
	v_bfrev_b32_e32 v11, 1
	s_and_saveexec_b64 s[56:57], vcc
	s_cbranch_execz .LBB6_7612
; %bb.7609:                             ;   in Loop: Header=BB6_7419 Depth=2
	v_bfe_u32 v26, v12, 16, 7
	v_cmp_ne_u32_e32 vcc, s68, v26
	v_mov_b32_e32 v11, 0x7f800001
	s_and_saveexec_b64 s[58:59], vcc
	s_cbranch_execz .LBB6_7611
; %bb.7610:                             ;   in Loop: Header=BB6_7419 Depth=2
	v_and_b32_e32 v11, 7, v10
	v_ffbh_u32_e32 v28, v11
	v_min_u32_e32 v30, 32, v28
	v_subrev_u32_e32 v28, 28, v30
	v_lshlrev_b64 v[28:29], v28, v[10:11]
	v_lshrrev_b32_e32 v27, 3, v26
	v_sub_u32_e32 v29, 29, v30
	v_and_b32_e32 v28, 7, v28
	v_cmp_gt_u32_e32 vcc, 8, v26
	v_cndmask_b32_e32 v26, v27, v29, vcc
	v_cndmask_b32_e32 v11, v11, v28, vcc
	v_lshlrev_b32_e32 v10, 24, v10
	v_bfrev_b32_e32 v27, 60
	v_lshlrev_b32_e32 v11, 20, v11
	v_and_b32_e32 v10, 0x80000000, v10
	v_lshl_add_u32 v26, v26, 23, v27
	v_or3_b32 v11, v10, v26, v11
.LBB6_7611:                             ;   in Loop: Header=BB6_7419 Depth=2
	s_or_b64 exec, exec, s[58:59]
.LBB6_7612:                             ;   in Loop: Header=BB6_7419 Depth=2
	s_or_b64 exec, exec, s[56:57]
.LBB6_7613:                             ;   in Loop: Header=BB6_7419 Depth=2
	s_or_b64 exec, exec, s[22:23]
	v_mul_f32_e32 v10, v8, v11
	v_and_b32_sdwa v27, v10, s69 dst_sel:DWORD dst_unused:UNUSED_PAD src0_sel:BYTE_3 src1_sel:DWORD
	v_and_b32_e32 v28, 0x7f800000, v10
	v_mov_b32_e32 v29, v39
	v_and_b32_e32 v38, 0x7fffff, v10
	v_or_b32_e32 v26, 0x7e, v27
	v_cmp_ne_u64_e32 vcc, s[38:39], v[28:29]
	s_and_saveexec_b64 s[22:23], vcc
	s_xor_b64 s[56:57], exec, s[22:23]
	s_cbranch_execz .LBB6_7623
; %bb.7614:                             ;   in Loop: Header=BB6_7419 Depth=2
	v_and_b32_e32 v28, 0x7fffffff, v10
	v_mov_b32_e32 v29, v39
	v_cmp_gt_u64_e32 vcc, s[40:41], v[28:29]
	s_and_saveexec_b64 s[58:59], vcc
	s_cbranch_execz .LBB6_7622
; %bb.7615:                             ;   in Loop: Header=BB6_7419 Depth=2
	v_cmp_ne_u32_e32 vcc, 0, v10
	v_mov_b32_e32 v26, 0
	s_and_saveexec_b64 s[60:61], vcc
	s_cbranch_execz .LBB6_7621
; %bb.7616:                             ;   in Loop: Header=BB6_7419 Depth=2
	v_bfe_u32 v10, v10, 23, 8
	v_sub_u32_e32 v26, 0x79, v10
	v_cmp_gt_u32_e32 vcc, s70, v10
	v_add_u32_e32 v11, 0xffffff81, v10
	v_cndmask_b32_e32 v26, 0, v26, vcc
	v_cmp_eq_u32_e32 vcc, 0, v10
	v_mov_b32_e32 v10, 0xffffff82
	v_cndmask_b32_e32 v29, v11, v10, vcc
	v_mov_b32_e32 v10, 0x78
	v_or_b32_e32 v28, 0x800000, v38
	v_cndmask_b32_e32 v26, v26, v10, vcc
	v_cndmask_b32_e32 v38, v28, v38, vcc
	v_add_u32_e32 v10, 20, v26
	v_lshlrev_b64 v[10:11], v10, -1
	v_add_u32_e32 v28, 19, v26
	v_lshrrev_b64 v[32:33], v26, v[38:39]
	v_not_b32_e32 v11, v11
	v_not_b32_e32 v10, v10
	v_lshlrev_b64 v[30:31], v28, 1
	v_lshrrev_b32_e32 v28, 23, v32
	v_and_b32_e32 v11, 0, v11
	v_and_b32_e32 v10, v38, v10
	v_add3_u32 v29, v26, v29, v28
	v_bfe_u32 v26, v32, 20, 1
	v_add_u32_e32 v26, -1, v26
	v_cmp_eq_u64_e32 vcc, v[10:11], v[30:31]
	v_cndmask_b32_e32 v10, 0, v26, vcc
	v_add_u32_e32 v10, v10, v32
	v_and_b32_e32 v10, 0xfffff, v10
	v_add_co_u32_e32 v10, vcc, v10, v32
	v_add_u32_e32 v28, 6, v29
	v_addc_co_u32_e32 v11, vcc, 0, v33, vcc
	v_cmp_ne_u32_e32 vcc, 0, v28
                                        ; implicit-def: $vgpr26
	s_and_saveexec_b64 s[22:23], vcc
	s_xor_b64 s[22:23], exec, s[22:23]
; %bb.7617:                             ;   in Loop: Header=BB6_7419 Depth=2
	v_add_u32_e32 v26, 7, v29
	v_cmp_lt_u64_e32 vcc, s[44:45], v[10:11]
	v_cndmask_b32_e32 v26, v28, v26, vcc
	v_cndmask_b32_e64 v28, 0, 1, vcc
	v_lshrrev_b64 v[10:11], v28, v[10:11]
; %bb.7618:                             ;   in Loop: Header=BB6_7419 Depth=2
	s_andn2_saveexec_b64 s[22:23], s[22:23]
; %bb.7619:                             ;   in Loop: Header=BB6_7419 Depth=2
	v_bfe_u32 v26, v10, 23, 1
; %bb.7620:                             ;   in Loop: Header=BB6_7419 Depth=2
	s_or_b64 exec, exec, s[22:23]
	v_lshrrev_b64 v[10:11], 20, v[10:11]
	v_cmp_gt_i32_e32 vcc, 16, v26
	v_cndmask_b32_e32 v11, 0, v11, vcc
	v_cndmask_b32_e32 v10, 7, v10, vcc
	v_cmp_eq_u64_e64 s[22:23], 0, v[10:11]
	v_min_i32_e32 v11, 15, v26
	v_cmp_eq_u32_e32 vcc, 0, v26
	v_lshlrev_b32_e32 v11, 3, v11
	v_and_or_b32 v10, v10, 7, v11
	s_and_b64 s[22:23], vcc, s[22:23]
	v_cndmask_b32_e64 v10, v10, 0, s[22:23]
	v_or_b32_e32 v26, v10, v27
.LBB6_7621:                             ;   in Loop: Header=BB6_7419 Depth=2
	s_or_b64 exec, exec, s[60:61]
.LBB6_7622:                             ;   in Loop: Header=BB6_7419 Depth=2
	s_or_b64 exec, exec, s[58:59]
                                        ; implicit-def: $vgpr10
.LBB6_7623:                             ;   in Loop: Header=BB6_7419 Depth=2
	s_andn2_saveexec_b64 s[22:23], s[56:57]
; %bb.7624:                             ;   in Loop: Header=BB6_7419 Depth=2
	v_or_b32_sdwa v10, v10, s68 dst_sel:DWORD dst_unused:UNUSED_PAD src0_sel:BYTE_3 src1_sel:DWORD
	v_cmp_eq_u64_e32 vcc, 0, v[38:39]
	v_cndmask_b32_e32 v26, v10, v26, vcc
; %bb.7625:                             ;   in Loop: Header=BB6_7419 Depth=2
	s_or_b64 exec, exec, s[22:23]
	v_cmp_lt_u32_e32 vcc, s43, v12
	v_mov_b32_e32 v11, 0
	s_and_saveexec_b64 s[22:23], vcc
	s_cbranch_execz .LBB6_7631
; %bb.7626:                             ;   in Loop: Header=BB6_7419 Depth=2
	v_lshrrev_b32_e32 v10, 24, v12
	v_cmp_ne_u32_e32 vcc, s69, v10
	v_bfrev_b32_e32 v11, 1
	s_and_saveexec_b64 s[56:57], vcc
	s_cbranch_execz .LBB6_7630
; %bb.7627:                             ;   in Loop: Header=BB6_7419 Depth=2
	v_bfe_u32 v27, v12, 24, 7
	v_cmp_ne_u32_e32 vcc, s68, v27
	v_mov_b32_e32 v11, 0x7f800001
	s_and_saveexec_b64 s[58:59], vcc
	s_cbranch_execz .LBB6_7629
; %bb.7628:                             ;   in Loop: Header=BB6_7419 Depth=2
	v_and_b32_e32 v11, 7, v10
	v_ffbh_u32_e32 v28, v11
	v_min_u32_e32 v31, 32, v28
	v_subrev_u32_e32 v28, 28, v31
	v_lshlrev_b64 v[28:29], v28, v[10:11]
	v_lshrrev_b32_e32 v30, 3, v27
	v_sub_u32_e32 v29, 29, v31
	v_and_b32_e32 v28, 7, v28
	v_cmp_gt_u32_e32 vcc, 8, v27
	v_cndmask_b32_e32 v27, v30, v29, vcc
	v_cndmask_b32_e32 v11, v11, v28, vcc
	v_lshlrev_b32_e32 v10, 24, v10
	v_bfrev_b32_e32 v28, 60
	v_lshlrev_b32_e32 v11, 20, v11
	v_and_b32_e32 v10, 0x80000000, v10
	v_lshl_add_u32 v27, v27, 23, v28
	v_or3_b32 v11, v10, v27, v11
.LBB6_7629:                             ;   in Loop: Header=BB6_7419 Depth=2
	s_or_b64 exec, exec, s[58:59]
.LBB6_7630:                             ;   in Loop: Header=BB6_7419 Depth=2
	s_or_b64 exec, exec, s[56:57]
.LBB6_7631:                             ;   in Loop: Header=BB6_7419 Depth=2
	s_or_b64 exec, exec, s[22:23]
	v_mul_f32_e32 v10, v8, v11
	v_and_b32_sdwa v28, v10, s69 dst_sel:DWORD dst_unused:UNUSED_PAD src0_sel:BYTE_3 src1_sel:DWORD
	v_and_b32_e32 v30, 0x7f800000, v10
	v_mov_b32_e32 v31, v39
	v_and_b32_e32 v38, 0x7fffff, v10
	v_or_b32_e32 v27, 0x7e, v28
	v_cmp_ne_u64_e32 vcc, s[38:39], v[30:31]
	s_and_saveexec_b64 s[22:23], vcc
	s_xor_b64 s[56:57], exec, s[22:23]
	s_cbranch_execz .LBB6_7641
; %bb.7632:                             ;   in Loop: Header=BB6_7419 Depth=2
	v_and_b32_e32 v30, 0x7fffffff, v10
	v_mov_b32_e32 v31, v39
	v_cmp_gt_u64_e32 vcc, s[40:41], v[30:31]
	s_and_saveexec_b64 s[58:59], vcc
	s_cbranch_execz .LBB6_7640
; %bb.7633:                             ;   in Loop: Header=BB6_7419 Depth=2
	v_cmp_ne_u32_e32 vcc, 0, v10
	v_mov_b32_e32 v27, 0
	s_and_saveexec_b64 s[60:61], vcc
	s_cbranch_execz .LBB6_7639
; %bb.7634:                             ;   in Loop: Header=BB6_7419 Depth=2
	v_bfe_u32 v10, v10, 23, 8
	v_sub_u32_e32 v27, 0x79, v10
	v_cmp_gt_u32_e32 vcc, s70, v10
	v_add_u32_e32 v11, 0xffffff81, v10
	v_cndmask_b32_e32 v27, 0, v27, vcc
	v_cmp_eq_u32_e32 vcc, 0, v10
	v_mov_b32_e32 v10, 0xffffff82
	v_cndmask_b32_e32 v30, v11, v10, vcc
	v_mov_b32_e32 v10, 0x78
	v_or_b32_e32 v29, 0x800000, v38
	v_cndmask_b32_e32 v27, v27, v10, vcc
	v_cndmask_b32_e32 v38, v29, v38, vcc
	v_add_u32_e32 v10, 20, v27
	v_lshlrev_b64 v[10:11], v10, -1
	v_add_u32_e32 v29, 19, v27
	v_lshrrev_b64 v[34:35], v27, v[38:39]
	v_not_b32_e32 v11, v11
	v_not_b32_e32 v10, v10
	v_lshlrev_b64 v[32:33], v29, 1
	v_lshrrev_b32_e32 v29, 23, v34
	v_and_b32_e32 v11, 0, v11
	v_and_b32_e32 v10, v38, v10
	v_add3_u32 v30, v27, v30, v29
	v_bfe_u32 v27, v34, 20, 1
	v_add_u32_e32 v27, -1, v27
	v_cmp_eq_u64_e32 vcc, v[10:11], v[32:33]
	v_cndmask_b32_e32 v10, 0, v27, vcc
	v_add_u32_e32 v10, v10, v34
	v_and_b32_e32 v10, 0xfffff, v10
	v_add_co_u32_e32 v10, vcc, v10, v34
	v_add_u32_e32 v29, 6, v30
	v_addc_co_u32_e32 v11, vcc, 0, v35, vcc
	v_cmp_ne_u32_e32 vcc, 0, v29
                                        ; implicit-def: $vgpr27
	s_and_saveexec_b64 s[22:23], vcc
	s_xor_b64 s[22:23], exec, s[22:23]
; %bb.7635:                             ;   in Loop: Header=BB6_7419 Depth=2
	v_add_u32_e32 v27, 7, v30
	v_cmp_lt_u64_e32 vcc, s[44:45], v[10:11]
	v_cndmask_b32_e32 v27, v29, v27, vcc
	v_cndmask_b32_e64 v29, 0, 1, vcc
	v_lshrrev_b64 v[10:11], v29, v[10:11]
; %bb.7636:                             ;   in Loop: Header=BB6_7419 Depth=2
	s_andn2_saveexec_b64 s[22:23], s[22:23]
; %bb.7637:                             ;   in Loop: Header=BB6_7419 Depth=2
	v_bfe_u32 v27, v10, 23, 1
; %bb.7638:                             ;   in Loop: Header=BB6_7419 Depth=2
	s_or_b64 exec, exec, s[22:23]
	v_lshrrev_b64 v[10:11], 20, v[10:11]
	v_cmp_gt_i32_e32 vcc, 16, v27
	v_cndmask_b32_e32 v11, 0, v11, vcc
	v_cndmask_b32_e32 v10, 7, v10, vcc
	v_cmp_eq_u64_e64 s[22:23], 0, v[10:11]
	v_min_i32_e32 v11, 15, v27
	v_cmp_eq_u32_e32 vcc, 0, v27
	v_lshlrev_b32_e32 v11, 3, v11
	v_and_or_b32 v10, v10, 7, v11
	s_and_b64 s[22:23], vcc, s[22:23]
	v_cndmask_b32_e64 v10, v10, 0, s[22:23]
	v_or_b32_e32 v27, v10, v28
.LBB6_7639:                             ;   in Loop: Header=BB6_7419 Depth=2
	s_or_b64 exec, exec, s[60:61]
.LBB6_7640:                             ;   in Loop: Header=BB6_7419 Depth=2
	s_or_b64 exec, exec, s[58:59]
                                        ; implicit-def: $vgpr10
.LBB6_7641:                             ;   in Loop: Header=BB6_7419 Depth=2
	s_andn2_saveexec_b64 s[22:23], s[56:57]
; %bb.7642:                             ;   in Loop: Header=BB6_7419 Depth=2
	v_or_b32_sdwa v10, v10, s68 dst_sel:DWORD dst_unused:UNUSED_PAD src0_sel:BYTE_3 src1_sel:DWORD
	v_cmp_eq_u64_e32 vcc, 0, v[38:39]
	v_cndmask_b32_e32 v27, v10, v27, vcc
; %bb.7643:                             ;   in Loop: Header=BB6_7419 Depth=2
	s_or_b64 exec, exec, s[22:23]
	v_mov_b32_e32 v38, v13
	v_cmp_ne_u16_sdwa vcc, v13, v39 src0_sel:BYTE_0 src1_sel:DWORD
	v_mov_b32_e32 v10, 0
	s_and_saveexec_b64 s[22:23], vcc
	s_cbranch_execz .LBB6_7649
; %bb.7644:                             ;   in Loop: Header=BB6_7419 Depth=2
	v_cmp_ne_u16_sdwa vcc, v13, s69 src0_sel:BYTE_0 src1_sel:DWORD
	v_bfrev_b32_e32 v10, 1
	s_and_saveexec_b64 s[56:57], vcc
	s_cbranch_execz .LBB6_7648
; %bb.7645:                             ;   in Loop: Header=BB6_7419 Depth=2
	v_and_b32_e32 v11, 0x7f, v13
	v_cmp_ne_u32_e32 vcc, s68, v11
	v_mov_b32_e32 v10, 0x7f800001
	s_and_saveexec_b64 s[58:59], vcc
	s_cbranch_execz .LBB6_7647
; %bb.7646:                             ;   in Loop: Header=BB6_7419 Depth=2
	v_and_b32_e32 v10, 7, v13
	v_ffbh_u32_e32 v10, v10
	v_min_u32_e32 v10, 32, v10
	v_lshrrev_b32_e32 v28, 3, v11
	v_subrev_u32_e32 v29, 28, v10
	v_sub_u32_e32 v10, 29, v10
	v_cmp_gt_u32_e32 vcc, 8, v11
	v_cndmask_b32_e32 v28, v28, v10, vcc
	v_cndmask_b32_e32 v10, 0, v29, vcc
	v_lshlrev_b64 v[10:11], v10, v[38:39]
	v_lshlrev_b32_e32 v10, 20, v10
	v_lshlrev_b32_e32 v11, 24, v38
	v_bfrev_b32_e32 v29, 60
	v_and_b32_e32 v10, 0x700000, v10
	v_and_b32_e32 v11, 0x80000000, v11
	v_lshl_add_u32 v28, v28, 23, v29
	v_or3_b32 v10, v11, v28, v10
.LBB6_7647:                             ;   in Loop: Header=BB6_7419 Depth=2
	s_or_b64 exec, exec, s[58:59]
.LBB6_7648:                             ;   in Loop: Header=BB6_7419 Depth=2
	s_or_b64 exec, exec, s[56:57]
.LBB6_7649:                             ;   in Loop: Header=BB6_7419 Depth=2
	s_or_b64 exec, exec, s[22:23]
	v_mul_f32_e32 v30, v8, v10
	v_and_b32_sdwa v29, v30, s69 dst_sel:DWORD dst_unused:UNUSED_PAD src0_sel:BYTE_3 src1_sel:DWORD
	v_and_b32_e32 v32, 0x7f800000, v30
	v_mov_b32_e32 v33, v39
	v_and_b32_e32 v10, 0x7fffff, v30
	v_mov_b32_e32 v11, v39
	v_or_b32_e32 v28, 0x7e, v29
	v_cmp_ne_u64_e32 vcc, s[38:39], v[32:33]
	s_and_saveexec_b64 s[22:23], vcc
	s_xor_b64 s[56:57], exec, s[22:23]
	s_cbranch_execz .LBB6_7659
; %bb.7650:                             ;   in Loop: Header=BB6_7419 Depth=2
	v_and_b32_e32 v32, 0x7fffffff, v30
	v_mov_b32_e32 v33, v39
	v_cmp_gt_u64_e32 vcc, s[40:41], v[32:33]
	s_and_saveexec_b64 s[58:59], vcc
	s_cbranch_execz .LBB6_7658
; %bb.7651:                             ;   in Loop: Header=BB6_7419 Depth=2
	v_cmp_ne_u32_e32 vcc, 0, v30
	v_mov_b32_e32 v28, 0
	s_and_saveexec_b64 s[60:61], vcc
	s_cbranch_execz .LBB6_7657
; %bb.7652:                             ;   in Loop: Header=BB6_7419 Depth=2
	v_bfe_u32 v28, v30, 23, 8
	v_sub_u32_e32 v31, 0x79, v28
	v_cmp_gt_u32_e32 vcc, s70, v28
	v_add_u32_e32 v30, 0xffffff81, v28
	v_cndmask_b32_e32 v31, 0, v31, vcc
	v_cmp_eq_u32_e32 vcc, 0, v28
	v_mov_b32_e32 v28, 0xffffff82
	v_cndmask_b32_e32 v28, v30, v28, vcc
	v_mov_b32_e32 v30, 0x78
	v_cndmask_b32_e32 v36, v31, v30, vcc
	v_add_u32_e32 v30, 20, v36
	v_or_b32_e32 v32, 0x800000, v10
	v_lshlrev_b64 v[30:31], v30, -1
	v_cndmask_b32_e32 v10, v32, v10, vcc
	v_not_b32_e32 v30, v30
	v_and_b32_e32 v32, v10, v30
	v_add_u32_e32 v30, 19, v36
	v_lshrrev_b64 v[10:11], v36, v[10:11]
	v_not_b32_e32 v31, v31
	v_lshlrev_b64 v[34:35], v30, 1
	v_lshrrev_b32_e32 v30, 23, v10
	v_and_b32_e32 v33, 0, v31
	v_add3_u32 v31, v36, v28, v30
	v_bfe_u32 v28, v10, 20, 1
	v_add_u32_e32 v28, -1, v28
	v_cmp_eq_u64_e32 vcc, v[32:33], v[34:35]
	v_cndmask_b32_e32 v28, 0, v28, vcc
	v_add_u32_e32 v28, v28, v10
	v_and_b32_e32 v28, 0xfffff, v28
	v_add_co_u32_e32 v10, vcc, v28, v10
	v_add_u32_e32 v30, 6, v31
	v_addc_co_u32_e32 v11, vcc, 0, v11, vcc
	v_cmp_ne_u32_e32 vcc, 0, v30
                                        ; implicit-def: $vgpr28
	s_and_saveexec_b64 s[22:23], vcc
	s_xor_b64 s[22:23], exec, s[22:23]
; %bb.7653:                             ;   in Loop: Header=BB6_7419 Depth=2
	v_add_u32_e32 v28, 7, v31
	v_cmp_lt_u64_e32 vcc, s[44:45], v[10:11]
	v_cndmask_b32_e32 v28, v30, v28, vcc
	v_cndmask_b32_e64 v30, 0, 1, vcc
	v_lshrrev_b64 v[10:11], v30, v[10:11]
; %bb.7654:                             ;   in Loop: Header=BB6_7419 Depth=2
	s_andn2_saveexec_b64 s[22:23], s[22:23]
; %bb.7655:                             ;   in Loop: Header=BB6_7419 Depth=2
	v_bfe_u32 v28, v10, 23, 1
; %bb.7656:                             ;   in Loop: Header=BB6_7419 Depth=2
	s_or_b64 exec, exec, s[22:23]
	v_lshrrev_b64 v[10:11], 20, v[10:11]
	v_cmp_gt_i32_e32 vcc, 16, v28
	v_cndmask_b32_e32 v11, 0, v11, vcc
	v_cndmask_b32_e32 v10, 7, v10, vcc
	v_cmp_eq_u64_e64 s[22:23], 0, v[10:11]
	v_min_i32_e32 v11, 15, v28
	v_cmp_eq_u32_e32 vcc, 0, v28
	v_lshlrev_b32_e32 v11, 3, v11
	v_and_or_b32 v10, v10, 7, v11
	s_and_b64 s[22:23], vcc, s[22:23]
	v_cndmask_b32_e64 v10, v10, 0, s[22:23]
	v_or_b32_e32 v28, v10, v29
.LBB6_7657:                             ;   in Loop: Header=BB6_7419 Depth=2
	s_or_b64 exec, exec, s[60:61]
.LBB6_7658:                             ;   in Loop: Header=BB6_7419 Depth=2
	s_or_b64 exec, exec, s[58:59]
                                        ; implicit-def: $vgpr30
                                        ; implicit-def: $vgpr10_vgpr11
.LBB6_7659:                             ;   in Loop: Header=BB6_7419 Depth=2
	s_andn2_saveexec_b64 s[22:23], s[56:57]
; %bb.7660:                             ;   in Loop: Header=BB6_7419 Depth=2
	v_or_b32_sdwa v29, v30, s68 dst_sel:DWORD dst_unused:UNUSED_PAD src0_sel:BYTE_3 src1_sel:DWORD
	v_cmp_eq_u64_e32 vcc, 0, v[10:11]
	v_cndmask_b32_e32 v28, v29, v28, vcc
; %bb.7661:                             ;   in Loop: Header=BB6_7419 Depth=2
	s_or_b64 exec, exec, s[22:23]
	v_lshrrev_b16_e32 v10, 8, v38
	v_cmp_ne_u16_e32 vcc, 0, v10
	v_mov_b32_e32 v11, 0
	s_and_saveexec_b64 s[22:23], vcc
	s_cbranch_execz .LBB6_7667
; %bb.7662:                             ;   in Loop: Header=BB6_7419 Depth=2
	v_cmp_ne_u16_e32 vcc, s69, v10
	v_bfrev_b32_e32 v11, 1
	s_and_saveexec_b64 s[56:57], vcc
	s_cbranch_execz .LBB6_7666
; %bb.7663:                             ;   in Loop: Header=BB6_7419 Depth=2
	v_and_b32_e32 v29, 0x7f, v10
	v_cmp_ne_u32_e32 vcc, s68, v29
	v_mov_b32_e32 v11, 0x7f800001
	s_and_saveexec_b64 s[58:59], vcc
	s_cbranch_execz .LBB6_7665
; %bb.7664:                             ;   in Loop: Header=BB6_7419 Depth=2
	v_and_b32_e32 v30, 7, v10
	v_ffbh_u32_e32 v11, v30
	v_min_u32_e32 v32, 32, v11
	v_subrev_u32_e32 v11, 28, v32
	v_lshlrev_b64 v[10:11], v11, v[10:11]
	v_lshrrev_b32_e32 v31, 3, v29
	v_sub_u32_e32 v11, 29, v32
	v_and_b32_e32 v10, 7, v10
	v_cmp_gt_u32_e32 vcc, 8, v29
	v_cndmask_b32_e32 v11, v31, v11, vcc
	v_cndmask_b32_e32 v10, v30, v10, vcc
	v_lshlrev_b32_e32 v29, 16, v38
	v_bfrev_b32_e32 v30, 60
	v_lshlrev_b32_e32 v10, 20, v10
	v_and_b32_e32 v29, 0x80000000, v29
	v_lshl_add_u32 v11, v11, 23, v30
	v_or3_b32 v11, v29, v11, v10
.LBB6_7665:                             ;   in Loop: Header=BB6_7419 Depth=2
	s_or_b64 exec, exec, s[58:59]
.LBB6_7666:                             ;   in Loop: Header=BB6_7419 Depth=2
	s_or_b64 exec, exec, s[56:57]
.LBB6_7667:                             ;   in Loop: Header=BB6_7419 Depth=2
	s_or_b64 exec, exec, s[22:23]
	v_mul_f32_e32 v10, v8, v11
	v_and_b32_sdwa v30, v10, s69 dst_sel:DWORD dst_unused:UNUSED_PAD src0_sel:BYTE_3 src1_sel:DWORD
	v_and_b32_e32 v32, 0x7f800000, v10
	v_mov_b32_e32 v33, v39
	v_and_b32_e32 v38, 0x7fffff, v10
	v_or_b32_e32 v29, 0x7e, v30
	v_cmp_ne_u64_e32 vcc, s[38:39], v[32:33]
	s_and_saveexec_b64 s[22:23], vcc
	s_xor_b64 s[56:57], exec, s[22:23]
	s_cbranch_execz .LBB6_7677
; %bb.7668:                             ;   in Loop: Header=BB6_7419 Depth=2
	v_and_b32_e32 v32, 0x7fffffff, v10
	v_mov_b32_e32 v33, v39
	v_cmp_gt_u64_e32 vcc, s[40:41], v[32:33]
	s_and_saveexec_b64 s[58:59], vcc
	s_cbranch_execz .LBB6_7676
; %bb.7669:                             ;   in Loop: Header=BB6_7419 Depth=2
	v_cmp_ne_u32_e32 vcc, 0, v10
	v_mov_b32_e32 v29, 0
	s_and_saveexec_b64 s[60:61], vcc
	s_cbranch_execz .LBB6_7675
; %bb.7670:                             ;   in Loop: Header=BB6_7419 Depth=2
	v_bfe_u32 v10, v10, 23, 8
	v_sub_u32_e32 v29, 0x79, v10
	v_cmp_gt_u32_e32 vcc, s70, v10
	v_add_u32_e32 v11, 0xffffff81, v10
	v_cndmask_b32_e32 v29, 0, v29, vcc
	v_cmp_eq_u32_e32 vcc, 0, v10
	v_mov_b32_e32 v10, 0xffffff82
	v_cndmask_b32_e32 v32, v11, v10, vcc
	v_mov_b32_e32 v10, 0x78
	v_or_b32_e32 v31, 0x800000, v38
	v_cndmask_b32_e32 v29, v29, v10, vcc
	v_cndmask_b32_e32 v38, v31, v38, vcc
	v_add_u32_e32 v10, 20, v29
	v_lshlrev_b64 v[10:11], v10, -1
	v_add_u32_e32 v31, 19, v29
	v_lshrrev_b64 v[36:37], v29, v[38:39]
	v_not_b32_e32 v11, v11
	v_not_b32_e32 v10, v10
	v_lshlrev_b64 v[34:35], v31, 1
	v_lshrrev_b32_e32 v31, 23, v36
	v_and_b32_e32 v11, 0, v11
	v_and_b32_e32 v10, v38, v10
	v_add3_u32 v32, v29, v32, v31
	v_bfe_u32 v29, v36, 20, 1
	v_add_u32_e32 v29, -1, v29
	v_cmp_eq_u64_e32 vcc, v[10:11], v[34:35]
	v_cndmask_b32_e32 v10, 0, v29, vcc
	v_add_u32_e32 v10, v10, v36
	v_and_b32_e32 v10, 0xfffff, v10
	v_add_co_u32_e32 v10, vcc, v10, v36
	v_add_u32_e32 v31, 6, v32
	v_addc_co_u32_e32 v11, vcc, 0, v37, vcc
	v_cmp_ne_u32_e32 vcc, 0, v31
                                        ; implicit-def: $vgpr29
	s_and_saveexec_b64 s[22:23], vcc
	s_xor_b64 s[22:23], exec, s[22:23]
; %bb.7671:                             ;   in Loop: Header=BB6_7419 Depth=2
	v_add_u32_e32 v29, 7, v32
	v_cmp_lt_u64_e32 vcc, s[44:45], v[10:11]
	v_cndmask_b32_e32 v29, v31, v29, vcc
	v_cndmask_b32_e64 v31, 0, 1, vcc
	v_lshrrev_b64 v[10:11], v31, v[10:11]
; %bb.7672:                             ;   in Loop: Header=BB6_7419 Depth=2
	s_andn2_saveexec_b64 s[22:23], s[22:23]
; %bb.7673:                             ;   in Loop: Header=BB6_7419 Depth=2
	v_bfe_u32 v29, v10, 23, 1
; %bb.7674:                             ;   in Loop: Header=BB6_7419 Depth=2
	s_or_b64 exec, exec, s[22:23]
	v_lshrrev_b64 v[10:11], 20, v[10:11]
	v_cmp_gt_i32_e32 vcc, 16, v29
	v_cndmask_b32_e32 v11, 0, v11, vcc
	v_cndmask_b32_e32 v10, 7, v10, vcc
	v_cmp_eq_u64_e64 s[22:23], 0, v[10:11]
	v_min_i32_e32 v11, 15, v29
	v_lshlrev_b32_e32 v11, 3, v11
	v_cmp_eq_u32_e32 vcc, 0, v29
	v_and_b32_e32 v11, 0xf8, v11
	v_and_or_b32 v10, v10, 7, v11
	s_and_b64 s[22:23], vcc, s[22:23]
	v_cndmask_b32_e64 v10, v10, 0, s[22:23]
	v_or_b32_e32 v29, v10, v30
.LBB6_7675:                             ;   in Loop: Header=BB6_7419 Depth=2
	s_or_b64 exec, exec, s[60:61]
.LBB6_7676:                             ;   in Loop: Header=BB6_7419 Depth=2
	s_or_b64 exec, exec, s[58:59]
                                        ; implicit-def: $vgpr10
.LBB6_7677:                             ;   in Loop: Header=BB6_7419 Depth=2
	s_andn2_saveexec_b64 s[22:23], s[56:57]
; %bb.7678:                             ;   in Loop: Header=BB6_7419 Depth=2
	v_or_b32_sdwa v10, v10, s68 dst_sel:DWORD dst_unused:UNUSED_PAD src0_sel:BYTE_3 src1_sel:DWORD
	v_cmp_eq_u64_e32 vcc, 0, v[38:39]
	v_cndmask_b32_e32 v29, v10, v29, vcc
; %bb.7679:                             ;   in Loop: Header=BB6_7419 Depth=2
	s_or_b64 exec, exec, s[22:23]
	v_lshrrev_b32_e32 v10, 16, v13
	v_cmp_ne_u16_sdwa vcc, v10, v39 src0_sel:BYTE_0 src1_sel:DWORD
	v_mov_b32_e32 v11, 0
	s_and_saveexec_b64 s[22:23], vcc
	s_cbranch_execz .LBB6_7685
; %bb.7680:                             ;   in Loop: Header=BB6_7419 Depth=2
	v_cmp_ne_u16_sdwa vcc, v10, s69 src0_sel:BYTE_0 src1_sel:DWORD
	v_bfrev_b32_e32 v11, 1
	s_and_saveexec_b64 s[56:57], vcc
	s_cbranch_execz .LBB6_7684
; %bb.7681:                             ;   in Loop: Header=BB6_7419 Depth=2
	v_bfe_u32 v30, v13, 16, 7
	v_cmp_ne_u32_e32 vcc, s68, v30
	v_mov_b32_e32 v11, 0x7f800001
	s_and_saveexec_b64 s[58:59], vcc
	s_cbranch_execz .LBB6_7683
; %bb.7682:                             ;   in Loop: Header=BB6_7419 Depth=2
	v_and_b32_e32 v11, 7, v10
	v_ffbh_u32_e32 v32, v11
	v_min_u32_e32 v34, 32, v32
	v_subrev_u32_e32 v32, 28, v34
	v_lshlrev_b64 v[32:33], v32, v[10:11]
	v_lshrrev_b32_e32 v31, 3, v30
	v_sub_u32_e32 v33, 29, v34
	v_and_b32_e32 v32, 7, v32
	v_cmp_gt_u32_e32 vcc, 8, v30
	v_cndmask_b32_e32 v30, v31, v33, vcc
	v_cndmask_b32_e32 v11, v11, v32, vcc
	v_lshlrev_b32_e32 v10, 24, v10
	v_bfrev_b32_e32 v31, 60
	v_lshlrev_b32_e32 v11, 20, v11
	v_and_b32_e32 v10, 0x80000000, v10
	v_lshl_add_u32 v30, v30, 23, v31
	v_or3_b32 v11, v10, v30, v11
.LBB6_7683:                             ;   in Loop: Header=BB6_7419 Depth=2
	s_or_b64 exec, exec, s[58:59]
.LBB6_7684:                             ;   in Loop: Header=BB6_7419 Depth=2
	s_or_b64 exec, exec, s[56:57]
.LBB6_7685:                             ;   in Loop: Header=BB6_7419 Depth=2
	s_or_b64 exec, exec, s[22:23]
	v_mul_f32_e32 v10, v8, v11
	v_and_b32_sdwa v31, v10, s69 dst_sel:DWORD dst_unused:UNUSED_PAD src0_sel:BYTE_3 src1_sel:DWORD
	v_and_b32_e32 v32, 0x7f800000, v10
	v_mov_b32_e32 v33, v39
	v_and_b32_e32 v38, 0x7fffff, v10
	v_or_b32_e32 v30, 0x7e, v31
	v_cmp_ne_u64_e32 vcc, s[38:39], v[32:33]
	s_and_saveexec_b64 s[22:23], vcc
	s_xor_b64 s[56:57], exec, s[22:23]
	s_cbranch_execz .LBB6_7695
; %bb.7686:                             ;   in Loop: Header=BB6_7419 Depth=2
	v_and_b32_e32 v32, 0x7fffffff, v10
	v_mov_b32_e32 v33, v39
	v_cmp_gt_u64_e32 vcc, s[40:41], v[32:33]
	s_and_saveexec_b64 s[58:59], vcc
	s_cbranch_execz .LBB6_7694
; %bb.7687:                             ;   in Loop: Header=BB6_7419 Depth=2
	v_cmp_ne_u32_e32 vcc, 0, v10
	v_mov_b32_e32 v30, 0
	s_and_saveexec_b64 s[60:61], vcc
	s_cbranch_execz .LBB6_7693
; %bb.7688:                             ;   in Loop: Header=BB6_7419 Depth=2
	v_bfe_u32 v10, v10, 23, 8
	v_sub_u32_e32 v30, 0x79, v10
	v_cmp_gt_u32_e32 vcc, s70, v10
	v_add_u32_e32 v11, 0xffffff81, v10
	v_cndmask_b32_e32 v30, 0, v30, vcc
	v_cmp_eq_u32_e32 vcc, 0, v10
	v_mov_b32_e32 v10, 0xffffff82
	v_cndmask_b32_e32 v33, v11, v10, vcc
	v_mov_b32_e32 v10, 0x78
	v_or_b32_e32 v32, 0x800000, v38
	v_cndmask_b32_e32 v30, v30, v10, vcc
	v_cndmask_b32_e32 v38, v32, v38, vcc
	v_add_u32_e32 v10, 20, v30
	v_lshlrev_b64 v[10:11], v10, -1
	v_add_u32_e32 v32, 19, v30
	v_lshrrev_b64 v[36:37], v30, v[38:39]
	v_not_b32_e32 v11, v11
	v_not_b32_e32 v10, v10
	v_lshlrev_b64 v[34:35], v32, 1
	v_lshrrev_b32_e32 v32, 23, v36
	v_and_b32_e32 v11, 0, v11
	v_and_b32_e32 v10, v38, v10
	v_add3_u32 v33, v30, v33, v32
	v_bfe_u32 v30, v36, 20, 1
	v_add_u32_e32 v30, -1, v30
	v_cmp_eq_u64_e32 vcc, v[10:11], v[34:35]
	v_cndmask_b32_e32 v10, 0, v30, vcc
	v_add_u32_e32 v10, v10, v36
	v_and_b32_e32 v10, 0xfffff, v10
	v_add_co_u32_e32 v10, vcc, v10, v36
	v_add_u32_e32 v32, 6, v33
	v_addc_co_u32_e32 v11, vcc, 0, v37, vcc
	v_cmp_ne_u32_e32 vcc, 0, v32
                                        ; implicit-def: $vgpr30
	s_and_saveexec_b64 s[22:23], vcc
	s_xor_b64 s[22:23], exec, s[22:23]
; %bb.7689:                             ;   in Loop: Header=BB6_7419 Depth=2
	v_add_u32_e32 v30, 7, v33
	v_cmp_lt_u64_e32 vcc, s[44:45], v[10:11]
	v_cndmask_b32_e32 v30, v32, v30, vcc
	v_cndmask_b32_e64 v32, 0, 1, vcc
	v_lshrrev_b64 v[10:11], v32, v[10:11]
; %bb.7690:                             ;   in Loop: Header=BB6_7419 Depth=2
	s_andn2_saveexec_b64 s[22:23], s[22:23]
; %bb.7691:                             ;   in Loop: Header=BB6_7419 Depth=2
	v_bfe_u32 v30, v10, 23, 1
; %bb.7692:                             ;   in Loop: Header=BB6_7419 Depth=2
	s_or_b64 exec, exec, s[22:23]
	v_lshrrev_b64 v[10:11], 20, v[10:11]
	v_cmp_gt_i32_e32 vcc, 16, v30
	v_cndmask_b32_e32 v11, 0, v11, vcc
	v_cndmask_b32_e32 v10, 7, v10, vcc
	v_cmp_eq_u64_e64 s[22:23], 0, v[10:11]
	v_min_i32_e32 v11, 15, v30
	v_lshlrev_b32_e32 v11, 3, v11
	v_cmp_eq_u32_e32 vcc, 0, v30
	v_and_b32_e32 v11, 0xf8, v11
	v_and_or_b32 v10, v10, 7, v11
	s_and_b64 s[22:23], vcc, s[22:23]
	v_cndmask_b32_e64 v10, v10, 0, s[22:23]
	v_or_b32_e32 v30, v10, v31
.LBB6_7693:                             ;   in Loop: Header=BB6_7419 Depth=2
	s_or_b64 exec, exec, s[60:61]
.LBB6_7694:                             ;   in Loop: Header=BB6_7419 Depth=2
	s_or_b64 exec, exec, s[58:59]
                                        ; implicit-def: $vgpr10
.LBB6_7695:                             ;   in Loop: Header=BB6_7419 Depth=2
	s_andn2_saveexec_b64 s[22:23], s[56:57]
; %bb.7696:                             ;   in Loop: Header=BB6_7419 Depth=2
	v_or_b32_sdwa v10, v10, s68 dst_sel:DWORD dst_unused:UNUSED_PAD src0_sel:BYTE_3 src1_sel:DWORD
	v_cmp_eq_u64_e32 vcc, 0, v[38:39]
	v_cndmask_b32_e32 v30, v10, v30, vcc
; %bb.7697:                             ;   in Loop: Header=BB6_7419 Depth=2
	s_or_b64 exec, exec, s[22:23]
	v_cmp_lt_u64_e32 vcc, s[42:43], v[12:13]
	v_mov_b32_e32 v11, 0
	s_and_saveexec_b64 s[22:23], vcc
	s_cbranch_execz .LBB6_7703
; %bb.7698:                             ;   in Loop: Header=BB6_7419 Depth=2
	v_lshrrev_b32_e32 v10, 24, v13
	v_cmp_ne_u32_e32 vcc, s69, v10
	v_bfrev_b32_e32 v11, 1
	s_and_saveexec_b64 s[56:57], vcc
	s_cbranch_execz .LBB6_7702
; %bb.7699:                             ;   in Loop: Header=BB6_7419 Depth=2
	v_bfe_u32 v12, v13, 24, 7
	v_cmp_ne_u32_e32 vcc, s68, v12
	v_mov_b32_e32 v11, 0x7f800001
	s_and_saveexec_b64 s[58:59], vcc
	s_cbranch_execz .LBB6_7701
; %bb.7700:                             ;   in Loop: Header=BB6_7419 Depth=2
	v_and_b32_e32 v11, 7, v10
	v_ffbh_u32_e32 v31, v11
	v_min_u32_e32 v31, 32, v31
	v_subrev_u32_e32 v32, 28, v31
	v_lshlrev_b64 v[32:33], v32, v[10:11]
	v_lshrrev_b32_e32 v13, 3, v12
	v_sub_u32_e32 v31, 29, v31
	v_and_b32_e32 v32, 7, v32
	v_cmp_gt_u32_e32 vcc, 8, v12
	v_cndmask_b32_e32 v12, v13, v31, vcc
	v_cndmask_b32_e32 v11, v11, v32, vcc
	v_lshlrev_b32_e32 v10, 24, v10
	v_bfrev_b32_e32 v13, 60
	v_lshlrev_b32_e32 v11, 20, v11
	v_and_b32_e32 v10, 0x80000000, v10
	v_lshl_add_u32 v12, v12, 23, v13
	v_or3_b32 v11, v10, v12, v11
.LBB6_7701:                             ;   in Loop: Header=BB6_7419 Depth=2
	s_or_b64 exec, exec, s[58:59]
.LBB6_7702:                             ;   in Loop: Header=BB6_7419 Depth=2
	s_or_b64 exec, exec, s[56:57]
.LBB6_7703:                             ;   in Loop: Header=BB6_7419 Depth=2
	s_or_b64 exec, exec, s[22:23]
	v_mul_f32_e32 v11, v8, v11
	v_and_b32_sdwa v8, v11, s69 dst_sel:DWORD dst_unused:UNUSED_PAD src0_sel:BYTE_3 src1_sel:DWORD
	v_and_b32_e32 v12, 0x7f800000, v11
	v_mov_b32_e32 v13, v39
	v_and_b32_e32 v38, 0x7fffff, v11
	v_or_b32_e32 v10, 0x7e, v8
	v_cmp_ne_u64_e32 vcc, s[38:39], v[12:13]
	s_and_saveexec_b64 s[22:23], vcc
	s_xor_b64 s[56:57], exec, s[22:23]
	s_cbranch_execz .LBB6_7713
; %bb.7704:                             ;   in Loop: Header=BB6_7419 Depth=2
	v_and_b32_e32 v12, 0x7fffffff, v11
	v_mov_b32_e32 v13, v39
	v_cmp_gt_u64_e32 vcc, s[40:41], v[12:13]
	s_and_saveexec_b64 s[58:59], vcc
	s_cbranch_execz .LBB6_7712
; %bb.7705:                             ;   in Loop: Header=BB6_7419 Depth=2
	v_cmp_ne_u32_e32 vcc, 0, v11
	v_mov_b32_e32 v10, 0
	s_and_saveexec_b64 s[60:61], vcc
	s_cbranch_execz .LBB6_7711
; %bb.7706:                             ;   in Loop: Header=BB6_7419 Depth=2
	v_bfe_u32 v10, v11, 23, 8
	v_sub_u32_e32 v12, 0x79, v10
	v_cmp_gt_u32_e32 vcc, s70, v10
	v_add_u32_e32 v11, 0xffffff81, v10
	v_cndmask_b32_e32 v12, 0, v12, vcc
	v_cmp_eq_u32_e32 vcc, 0, v10
	v_mov_b32_e32 v10, 0xffffff82
	v_cndmask_b32_e32 v31, v11, v10, vcc
	v_mov_b32_e32 v10, 0x78
	v_or_b32_e32 v13, 0x800000, v38
	v_cndmask_b32_e32 v12, v12, v10, vcc
	v_cndmask_b32_e32 v38, v13, v38, vcc
	v_add_u32_e32 v10, 20, v12
	v_lshlrev_b64 v[10:11], v10, -1
	v_add_u32_e32 v13, 19, v12
	v_lshrrev_b64 v[34:35], v12, v[38:39]
	v_not_b32_e32 v11, v11
	v_not_b32_e32 v10, v10
	v_lshlrev_b64 v[32:33], v13, 1
	v_lshrrev_b32_e32 v13, 23, v34
	v_and_b32_e32 v11, 0, v11
	v_and_b32_e32 v10, v38, v10
	v_add3_u32 v31, v12, v31, v13
	v_bfe_u32 v12, v34, 20, 1
	v_add_u32_e32 v12, -1, v12
	v_cmp_eq_u64_e32 vcc, v[10:11], v[32:33]
	v_cndmask_b32_e32 v10, 0, v12, vcc
	v_add_u32_e32 v10, v10, v34
	v_and_b32_e32 v10, 0xfffff, v10
	v_add_co_u32_e32 v10, vcc, v10, v34
	v_add_u32_e32 v13, 6, v31
	v_addc_co_u32_e32 v11, vcc, 0, v35, vcc
	v_cmp_ne_u32_e32 vcc, 0, v13
                                        ; implicit-def: $vgpr12
	s_and_saveexec_b64 s[22:23], vcc
	s_xor_b64 s[22:23], exec, s[22:23]
; %bb.7707:                             ;   in Loop: Header=BB6_7419 Depth=2
	v_add_u32_e32 v12, 7, v31
	v_cmp_lt_u64_e32 vcc, s[44:45], v[10:11]
	v_cndmask_b32_e32 v12, v13, v12, vcc
	v_cndmask_b32_e64 v13, 0, 1, vcc
	v_lshrrev_b64 v[10:11], v13, v[10:11]
; %bb.7708:                             ;   in Loop: Header=BB6_7419 Depth=2
	s_andn2_saveexec_b64 s[22:23], s[22:23]
; %bb.7709:                             ;   in Loop: Header=BB6_7419 Depth=2
	v_bfe_u32 v12, v10, 23, 1
; %bb.7710:                             ;   in Loop: Header=BB6_7419 Depth=2
	s_or_b64 exec, exec, s[22:23]
	v_lshrrev_b64 v[10:11], 20, v[10:11]
	v_cmp_gt_i32_e32 vcc, 16, v12
	v_cndmask_b32_e32 v11, 0, v11, vcc
	v_cndmask_b32_e32 v10, 7, v10, vcc
	v_cmp_eq_u64_e64 s[22:23], 0, v[10:11]
	v_min_i32_e32 v11, 15, v12
	v_lshlrev_b32_e32 v11, 3, v11
	v_cmp_eq_u32_e32 vcc, 0, v12
	v_and_b32_e32 v11, 0xf8, v11
	v_and_or_b32 v10, v10, 7, v11
	s_and_b64 s[22:23], vcc, s[22:23]
	v_cndmask_b32_e64 v10, v10, 0, s[22:23]
	v_or_b32_e32 v10, v10, v8
.LBB6_7711:                             ;   in Loop: Header=BB6_7419 Depth=2
	s_or_b64 exec, exec, s[60:61]
.LBB6_7712:                             ;   in Loop: Header=BB6_7419 Depth=2
	s_or_b64 exec, exec, s[58:59]
                                        ; implicit-def: $vgpr11
.LBB6_7713:                             ;   in Loop: Header=BB6_7419 Depth=2
	s_andn2_saveexec_b64 s[22:23], s[56:57]
	s_cbranch_execz .LBB6_7418
; %bb.7714:                             ;   in Loop: Header=BB6_7419 Depth=2
	v_or_b32_sdwa v8, v11, s68 dst_sel:DWORD dst_unused:UNUSED_PAD src0_sel:BYTE_3 src1_sel:DWORD
	v_cmp_eq_u64_e32 vcc, 0, v[38:39]
	v_cndmask_b32_e32 v10, v8, v10, vcc
	s_branch .LBB6_7418
.LBB6_7715:                             ;   in Loop: Header=BB6_6181 Depth=1
	s_or_b64 exec, exec, s[54:55]
.LBB6_7716:                             ;   in Loop: Header=BB6_6181 Depth=1
	s_or_b64 exec, exec, s[52:53]
	v_accvgpr_read_b32 v0, a45
	v_and_b32_e32 v3, 15, v0
	v_cndmask_b32_e64 v1, v7, v3, s[20:21]
	v_cmp_ne_u32_e32 vcc, 0, v1
	s_mov_b64 s[22:23], 0
	v_mov_b32_e32 v0, 0
                                        ; implicit-def: $vgpr4
                                        ; implicit-def: $vgpr2
	s_and_saveexec_b64 s[52:53], vcc
	s_cbranch_execz .LBB6_7718
; %bb.7717:                             ;   in Loop: Header=BB6_6181 Depth=1
	v_accvgpr_read_b32 v0, a45
	v_sub_u32_e32 v2, v7, v3
	v_and_b32_e32 v0, 0x3ffffc00, v0
	v_cndmask_b32_e64 v2, 0, v2, s[20:21]
	v_add_u32_e32 v0, v2, v0
	v_cmp_lt_i32_e32 vcc, 0, v6
	v_accvgpr_read_b32 v2, a32
	v_cndmask_b32_e32 v2, 0, v2, vcc
	v_sub_u32_e32 v2, v2, v6
	v_lshl_add_u32 v4, v2, 6, v5
	v_ashrrev_i32_e32 v2, 31, v4
	v_lshrrev_b32_e32 v2, 26, v2
	v_add_u32_e32 v2, v4, v2
	s_mov_b64 s[22:23], exec
	v_ashrrev_i32_e32 v2, 6, v2
.LBB6_7718:                             ;   in Loop: Header=BB6_6181 Depth=1
	s_or_b64 exec, exec, s[52:53]
	s_and_b64 s[20:21], s[22:23], exec
.LBB6_7719:                             ;   in Loop: Header=BB6_6181 Depth=1
	s_or_b64 exec, exec, s[50:51]
	s_and_saveexec_b64 s[22:23], s[20:21]
	s_cbranch_execz .LBB6_8464
.LBB6_7720:                             ;   in Loop: Header=BB6_6181 Depth=1
	v_ashrrev_i32_e32 v3, 31, v1
	v_lshrrev_b32_e32 v3, 21, v3
	v_add_u32_e32 v3, v1, v3
	v_ashrrev_i32_e32 v19, 11, v3
	v_sub_u32_e32 v5, v19, v2
	v_ashrrev_i32_e32 v3, 31, v4
	v_cmp_lt_i32_e32 vcc, 0, v5
	v_lshrrev_b32_e32 v18, 26, v3
	s_and_saveexec_b64 s[50:51], vcc
	s_cbranch_execz .LBB6_8433
; %bb.7721:                             ;   in Loop: Header=BB6_6181 Depth=1
	s_trap 2
	ds_read_b64 v[10:11], v0
	v_add_u32_e32 v3, v4, v18
	v_and_b32_e32 v3, 0xffffffc0, v3
	v_sub_u32_e32 v3, v4, v3
	v_lshlrev_b32_e32 v2, 11, v2
	v_add3_u32 v12, v0, v3, v2
	v_ashrrev_i32_e32 v13, 31, v12
	s_mov_b64 s[52:53], 0
	s_waitcnt lgkmcnt(0)
	v_pk_mov_b32 v[14:15], v[10:11], v[10:11] op_sel:[0,1]
	s_branch .LBB6_7723
.LBB6_7722:                             ;   in Loop: Header=BB6_7723 Depth=2
	s_or_b64 exec, exec, s[20:21]
	v_add_co_u32_e32 v16, vcc, v12, v10
	v_accvgpr_read_b32 v2, a32
	v_addc_co_u32_e32 v17, vcc, v13, v11, vcc
	v_sub_u32_e32 v5, v5, v2
	v_accvgpr_read_b32 v2, a40
	flat_store_byte v[16:17], v21 glc slc
	flat_store_byte v[16:17], v24 offset:64 glc slc
	flat_store_byte v[16:17], v25 offset:128 glc slc
	;; [unrolled: 1-line block ×31, first 2 shown]
	v_add_co_u32_e32 v14, vcc, v14, v2
	v_accvgpr_read_b32 v3, a41
	v_addc_co_u32_e32 v15, vcc, v15, v3, vcc
	v_cmp_gt_i32_e32 vcc, 1, v5
	s_or_b64 s[52:53], vcc, s[52:53]
	v_add_co_u32_e32 v10, vcc, v10, v2
	v_addc_co_u32_e32 v11, vcc, v11, v3, vcc
	s_andn2_b64 exec, exec, s[52:53]
	s_cbranch_execz .LBB6_8432
.LBB6_7723:                             ;   Parent Loop BB6_6181 Depth=1
                                        ; =>  This Inner Loop Header: Depth=2
	s_trap 2
	ds_read_b64 v[2:3], v0
	s_waitcnt lgkmcnt(0)
	v_cmp_eq_u16_sdwa vcc, v2, v39 src0_sel:BYTE_0 src1_sel:DWORD
	v_readfirstlane_b32 s20, v2
	v_readfirstlane_b32 s21, v3
	s_and_b64 vcc, exec, vcc
	s_cbranch_vccnz .LBB6_7727
; %bb.7724:                             ;   in Loop: Header=BB6_7723 Depth=2
	v_cmp_eq_u32_sdwa vcc, v2, s69 src0_sel:BYTE_0 src1_sel:DWORD
	s_and_b64 vcc, exec, vcc
	s_brev_b32 s60, 1
	s_cbranch_vccnz .LBB6_7728
; %bb.7725:                             ;   in Loop: Header=BB6_7723 Depth=2
	s_and_b32 vcc_lo, s20, 0x7f
	s_cmpk_eq_i32 vcc_lo, 0x7f
	s_mov_b32 s60, 0x7f800001
	s_cbranch_scc1 .LBB6_7728
; %bb.7726:                             ;   in Loop: Header=BB6_7723 Depth=2
	s_and_b32 vcc_hi, s20, 7
	s_flbit_i32_b32 vcc_hi, vcc_hi
	s_min_u32 vcc_hi, vcc_hi, 32
	s_lshr_b32 s54, vcc_lo, 3
	s_sub_i32 s55, vcc_hi, 28
	s_sub_i32 vcc_hi, 29, vcc_hi
	s_cmp_lt_u32 vcc_lo, 8
	s_cselect_b32 vcc_lo, s55, 0
	s_cselect_b32 s54, vcc_hi, s54
	s_lshl_b64 vcc, s[20:21], vcc_lo
	s_lshl_b32 s21, vcc_lo, 20
	s_lshl_b32 s20, s20, 24
	s_lshl_b32 vcc_lo, s54, 23
	s_and_b32 s20, s20, 0x80000000
	s_add_i32 vcc_lo, vcc_lo, 0x3c000000
	s_and_b32 s21, s21, 0x700000
	s_or_b32 s20, s20, vcc_lo
	s_or_b32 s60, s20, s21
	s_branch .LBB6_7728
.LBB6_7727:                             ;   in Loop: Header=BB6_7723 Depth=2
	s_mov_b32 s60, 0
.LBB6_7728:                             ;   in Loop: Header=BB6_7723 Depth=2
	v_add_co_u32_e32 v16, vcc, v12, v14
	v_addc_co_u32_e32 v17, vcc, v13, v15, vcc
	flat_load_ubyte v3, v[16:17] glc slc
	v_mov_b32_e32 v6, 0
	s_waitcnt vmcnt(0) lgkmcnt(0)
	v_cmp_ne_u16_e32 vcc, 0, v3
	s_and_saveexec_b64 s[20:21], vcc
	s_cbranch_execz .LBB6_7734
; %bb.7729:                             ;   in Loop: Header=BB6_7723 Depth=2
	v_cmp_ne_u16_e32 vcc, s69, v3
	v_bfrev_b32_e32 v6, 1
	s_and_saveexec_b64 s[54:55], vcc
	s_cbranch_execz .LBB6_7733
; %bb.7730:                             ;   in Loop: Header=BB6_7723 Depth=2
	v_and_b32_e32 v2, 0xffff, v3
	v_and_b32_e32 v7, 0x7f, v2
	v_cmp_ne_u32_e32 vcc, s68, v7
	v_mov_b32_e32 v6, 0x7f800001
	s_and_saveexec_b64 s[56:57], vcc
	s_cbranch_execz .LBB6_7732
; %bb.7731:                             ;   in Loop: Header=BB6_7723 Depth=2
	v_and_b32_e32 v6, 7, v2
	v_ffbh_u32_e32 v8, v6
	v_min_u32_e32 v21, 32, v8
	v_subrev_u32_e32 v8, 28, v21
	v_lshlrev_b64 v[8:9], v8, v[2:3]
	v_lshrrev_b32_e32 v20, 3, v7
	v_sub_u32_e32 v2, 29, v21
	v_and_b32_e32 v8, 7, v8
	v_cmp_gt_u32_e32 vcc, 8, v7
	v_cndmask_b32_e32 v2, v20, v2, vcc
	v_cndmask_b32_e32 v6, v6, v8, vcc
	v_lshlrev_b32_e32 v3, 24, v3
	v_bfrev_b32_e32 v7, 60
	v_lshlrev_b32_e32 v6, 20, v6
	v_and_b32_e32 v3, 0x80000000, v3
	v_lshl_add_u32 v2, v2, 23, v7
	v_or3_b32 v6, v3, v2, v6
.LBB6_7732:                             ;   in Loop: Header=BB6_7723 Depth=2
	s_or_b64 exec, exec, s[56:57]
.LBB6_7733:                             ;   in Loop: Header=BB6_7723 Depth=2
	s_or_b64 exec, exec, s[54:55]
.LBB6_7734:                             ;   in Loop: Header=BB6_7723 Depth=2
	s_or_b64 exec, exec, s[20:21]
	v_mul_f32_e32 v2, s60, v6
	v_and_b32_sdwa v6, v2, s69 dst_sel:DWORD dst_unused:UNUSED_PAD src0_sel:BYTE_3 src1_sel:DWORD
	v_and_b32_e32 v8, 0x7f800000, v2
	v_mov_b32_e32 v9, v39
	v_and_b32_e32 v38, 0x7fffff, v2
	v_or_b32_e32 v21, 0x7e, v6
	v_cmp_ne_u64_e32 vcc, s[38:39], v[8:9]
	s_and_saveexec_b64 s[20:21], vcc
	s_xor_b64 s[54:55], exec, s[20:21]
	s_cbranch_execz .LBB6_7748
; %bb.7735:                             ;   in Loop: Header=BB6_7723 Depth=2
	v_and_b32_e32 v8, 0x7fffffff, v2
	v_mov_b32_e32 v9, v39
	v_cmp_gt_u64_e32 vcc, s[40:41], v[8:9]
	s_and_saveexec_b64 s[20:21], vcc
	s_xor_b64 s[56:57], exec, s[20:21]
	s_cbranch_execz .LBB6_7747
; %bb.7736:                             ;   in Loop: Header=BB6_7723 Depth=2
	v_cmp_ne_u32_e32 vcc, 0, v2
	v_mov_b32_e32 v21, 0
	s_and_saveexec_b64 s[58:59], vcc
	s_cbranch_execz .LBB6_7746
; %bb.7737:                             ;   in Loop: Header=BB6_7723 Depth=2
	v_bfe_u32 v2, v2, 23, 8
	v_sub_u32_e32 v7, 0x79, v2
	v_cmp_gt_u32_e32 vcc, s70, v2
	v_add_u32_e32 v3, 0xffffff81, v2
	v_cndmask_b32_e32 v7, 0, v7, vcc
	v_cmp_eq_u32_e32 vcc, 0, v2
	v_mov_b32_e32 v2, 0xffffff82
	v_cndmask_b32_e32 v9, v3, v2, vcc
	v_mov_b32_e32 v2, 0x78
	v_or_b32_e32 v8, 0x800000, v38
	v_cndmask_b32_e32 v7, v7, v2, vcc
	v_cndmask_b32_e32 v38, v8, v38, vcc
	v_add_u32_e32 v2, 20, v7
	v_lshlrev_b64 v[2:3], v2, -1
	v_add_u32_e32 v8, 19, v7
	v_lshrrev_b64 v[22:23], v7, v[38:39]
	v_not_b32_e32 v3, v3
	v_not_b32_e32 v2, v2
	v_lshlrev_b64 v[20:21], v8, 1
	v_lshrrev_b32_e32 v8, 23, v22
	v_and_b32_e32 v3, 0, v3
	v_and_b32_e32 v2, v38, v2
	v_add3_u32 v9, v7, v9, v8
	v_bfe_u32 v7, v22, 20, 1
	v_add_u32_e32 v7, -1, v7
	v_cmp_eq_u64_e32 vcc, v[2:3], v[20:21]
	v_cndmask_b32_e32 v2, 0, v7, vcc
	v_add_u32_e32 v2, v2, v22
	v_and_b32_e32 v2, 0xfffff, v2
	v_add_co_u32_e32 v2, vcc, v2, v22
	v_add_u32_e32 v8, 6, v9
	v_addc_co_u32_e32 v3, vcc, 0, v23, vcc
	v_cmp_ne_u32_e32 vcc, 0, v8
                                        ; implicit-def: $vgpr7
	s_and_saveexec_b64 s[20:21], vcc
	s_xor_b64 s[20:21], exec, s[20:21]
; %bb.7738:                             ;   in Loop: Header=BB6_7723 Depth=2
	v_add_u32_e32 v7, 7, v9
	v_cmp_lt_u64_e32 vcc, s[44:45], v[2:3]
	v_cndmask_b32_e32 v7, v8, v7, vcc
	v_cndmask_b32_e64 v8, 0, 1, vcc
	v_lshrrev_b64 v[2:3], v8, v[2:3]
; %bb.7739:                             ;   in Loop: Header=BB6_7723 Depth=2
	s_andn2_saveexec_b64 s[20:21], s[20:21]
; %bb.7740:                             ;   in Loop: Header=BB6_7723 Depth=2
	v_bfe_u32 v7, v2, 23, 1
; %bb.7741:                             ;   in Loop: Header=BB6_7723 Depth=2
	s_or_b64 exec, exec, s[20:21]
	v_lshrrev_b64 v[2:3], 20, v[2:3]
	v_cmp_gt_i32_e32 vcc, 16, v7
	v_cndmask_b32_e32 v3, 0, v3, vcc
	v_cndmask_b32_e32 v2, 7, v2, vcc
	v_cmp_ne_u32_e32 vcc, 0, v7
	v_cmp_ne_u64_e64 s[20:21], 0, v[2:3]
	s_or_b64 s[20:21], vcc, s[20:21]
                                        ; implicit-def: $vgpr21
	s_and_saveexec_b64 vcc, s[20:21]
	s_xor_b64 s[20:21], exec, vcc
; %bb.7742:                             ;   in Loop: Header=BB6_7723 Depth=2
	v_min_i32_e32 v3, 15, v7
	v_lshl_or_b32 v3, v3, 3, v6
	v_and_or_b32 v21, v2, 7, v3
                                        ; implicit-def: $vgpr6
; %bb.7743:                             ;   in Loop: Header=BB6_7723 Depth=2
	s_andn2_saveexec_b64 s[20:21], s[20:21]
; %bb.7744:                             ;   in Loop: Header=BB6_7723 Depth=2
	v_mov_b32_e32 v21, v6
; %bb.7745:                             ;   in Loop: Header=BB6_7723 Depth=2
	s_or_b64 exec, exec, s[20:21]
.LBB6_7746:                             ;   in Loop: Header=BB6_7723 Depth=2
	s_or_b64 exec, exec, s[58:59]
.LBB6_7747:                             ;   in Loop: Header=BB6_7723 Depth=2
	s_andn2_saveexec_b64 s[20:21], s[56:57]
	s_or_b64 exec, exec, s[20:21]
                                        ; implicit-def: $vgpr2
.LBB6_7748:                             ;   in Loop: Header=BB6_7723 Depth=2
	s_andn2_saveexec_b64 s[20:21], s[54:55]
; %bb.7749:                             ;   in Loop: Header=BB6_7723 Depth=2
	v_or_b32_sdwa v2, v2, s68 dst_sel:DWORD dst_unused:UNUSED_PAD src0_sel:BYTE_3 src1_sel:DWORD
	v_cmp_eq_u64_e32 vcc, 0, v[38:39]
	v_cndmask_b32_e32 v21, v2, v21, vcc
; %bb.7750:                             ;   in Loop: Header=BB6_7723 Depth=2
	s_or_b64 exec, exec, s[20:21]
	flat_load_ubyte v3, v[16:17] offset:64 glc slc
	v_mov_b32_e32 v6, 0
	s_waitcnt vmcnt(0) lgkmcnt(0)
	v_cmp_ne_u16_e32 vcc, 0, v3
	s_and_saveexec_b64 s[20:21], vcc
	s_cbranch_execz .LBB6_7756
; %bb.7751:                             ;   in Loop: Header=BB6_7723 Depth=2
	v_cmp_ne_u16_e32 vcc, s69, v3
	v_bfrev_b32_e32 v6, 1
	s_and_saveexec_b64 s[54:55], vcc
	s_cbranch_execz .LBB6_7755
; %bb.7752:                             ;   in Loop: Header=BB6_7723 Depth=2
	v_and_b32_e32 v2, 0xffff, v3
	v_and_b32_e32 v7, 0x7f, v2
	v_cmp_ne_u32_e32 vcc, s68, v7
	v_mov_b32_e32 v6, 0x7f800001
	s_and_saveexec_b64 s[56:57], vcc
	s_cbranch_execz .LBB6_7754
; %bb.7753:                             ;   in Loop: Header=BB6_7723 Depth=2
	v_and_b32_e32 v6, 7, v2
	v_ffbh_u32_e32 v8, v6
	v_min_u32_e32 v22, 32, v8
	v_subrev_u32_e32 v8, 28, v22
	v_lshlrev_b64 v[8:9], v8, v[2:3]
	v_lshrrev_b32_e32 v20, 3, v7
	v_sub_u32_e32 v2, 29, v22
	v_and_b32_e32 v8, 7, v8
	v_cmp_gt_u32_e32 vcc, 8, v7
	v_cndmask_b32_e32 v2, v20, v2, vcc
	v_cndmask_b32_e32 v6, v6, v8, vcc
	v_lshlrev_b32_e32 v3, 24, v3
	v_bfrev_b32_e32 v7, 60
	v_lshlrev_b32_e32 v6, 20, v6
	v_and_b32_e32 v3, 0x80000000, v3
	v_lshl_add_u32 v2, v2, 23, v7
	v_or3_b32 v6, v3, v2, v6
.LBB6_7754:                             ;   in Loop: Header=BB6_7723 Depth=2
	s_or_b64 exec, exec, s[56:57]
.LBB6_7755:                             ;   in Loop: Header=BB6_7723 Depth=2
	s_or_b64 exec, exec, s[54:55]
.LBB6_7756:                             ;   in Loop: Header=BB6_7723 Depth=2
	s_or_b64 exec, exec, s[20:21]
	v_mul_f32_e32 v2, s60, v6
	v_and_b32_sdwa v6, v2, s69 dst_sel:DWORD dst_unused:UNUSED_PAD src0_sel:BYTE_3 src1_sel:DWORD
	v_and_b32_e32 v8, 0x7f800000, v2
	v_mov_b32_e32 v9, v39
	v_and_b32_e32 v38, 0x7fffff, v2
	v_or_b32_e32 v24, 0x7e, v6
	v_cmp_ne_u64_e32 vcc, s[38:39], v[8:9]
	s_and_saveexec_b64 s[20:21], vcc
	s_xor_b64 s[54:55], exec, s[20:21]
	s_cbranch_execz .LBB6_7770
; %bb.7757:                             ;   in Loop: Header=BB6_7723 Depth=2
	v_and_b32_e32 v8, 0x7fffffff, v2
	v_mov_b32_e32 v9, v39
	v_cmp_gt_u64_e32 vcc, s[40:41], v[8:9]
	s_and_saveexec_b64 s[20:21], vcc
	s_xor_b64 s[56:57], exec, s[20:21]
	s_cbranch_execz .LBB6_7769
; %bb.7758:                             ;   in Loop: Header=BB6_7723 Depth=2
	v_cmp_ne_u32_e32 vcc, 0, v2
	v_mov_b32_e32 v24, 0
	s_and_saveexec_b64 s[58:59], vcc
	s_cbranch_execz .LBB6_7768
; %bb.7759:                             ;   in Loop: Header=BB6_7723 Depth=2
	v_bfe_u32 v2, v2, 23, 8
	v_sub_u32_e32 v7, 0x79, v2
	v_cmp_gt_u32_e32 vcc, s70, v2
	v_add_u32_e32 v3, 0xffffff81, v2
	v_cndmask_b32_e32 v7, 0, v7, vcc
	v_cmp_eq_u32_e32 vcc, 0, v2
	v_mov_b32_e32 v2, 0xffffff82
	v_cndmask_b32_e32 v9, v3, v2, vcc
	v_mov_b32_e32 v2, 0x78
	v_or_b32_e32 v8, 0x800000, v38
	v_cndmask_b32_e32 v7, v7, v2, vcc
	v_cndmask_b32_e32 v38, v8, v38, vcc
	v_add_u32_e32 v2, 20, v7
	v_lshlrev_b64 v[2:3], v2, -1
	v_add_u32_e32 v8, 19, v7
	v_lshrrev_b64 v[24:25], v7, v[38:39]
	v_not_b32_e32 v3, v3
	v_not_b32_e32 v2, v2
	v_lshlrev_b64 v[22:23], v8, 1
	v_lshrrev_b32_e32 v8, 23, v24
	v_and_b32_e32 v3, 0, v3
	v_and_b32_e32 v2, v38, v2
	v_add3_u32 v9, v7, v9, v8
	v_bfe_u32 v7, v24, 20, 1
	v_add_u32_e32 v7, -1, v7
	v_cmp_eq_u64_e32 vcc, v[2:3], v[22:23]
	v_cndmask_b32_e32 v2, 0, v7, vcc
	v_add_u32_e32 v2, v2, v24
	v_and_b32_e32 v2, 0xfffff, v2
	v_add_co_u32_e32 v2, vcc, v2, v24
	v_add_u32_e32 v8, 6, v9
	v_addc_co_u32_e32 v3, vcc, 0, v25, vcc
	v_cmp_ne_u32_e32 vcc, 0, v8
                                        ; implicit-def: $vgpr7
	s_and_saveexec_b64 s[20:21], vcc
	s_xor_b64 s[20:21], exec, s[20:21]
; %bb.7760:                             ;   in Loop: Header=BB6_7723 Depth=2
	v_add_u32_e32 v7, 7, v9
	v_cmp_lt_u64_e32 vcc, s[44:45], v[2:3]
	v_cndmask_b32_e32 v7, v8, v7, vcc
	v_cndmask_b32_e64 v8, 0, 1, vcc
	v_lshrrev_b64 v[2:3], v8, v[2:3]
; %bb.7761:                             ;   in Loop: Header=BB6_7723 Depth=2
	s_andn2_saveexec_b64 s[20:21], s[20:21]
; %bb.7762:                             ;   in Loop: Header=BB6_7723 Depth=2
	v_bfe_u32 v7, v2, 23, 1
; %bb.7763:                             ;   in Loop: Header=BB6_7723 Depth=2
	s_or_b64 exec, exec, s[20:21]
	v_lshrrev_b64 v[2:3], 20, v[2:3]
	v_cmp_gt_i32_e32 vcc, 16, v7
	v_cndmask_b32_e32 v3, 0, v3, vcc
	v_cndmask_b32_e32 v2, 7, v2, vcc
	v_cmp_ne_u32_e32 vcc, 0, v7
	v_cmp_ne_u64_e64 s[20:21], 0, v[2:3]
	s_or_b64 s[20:21], vcc, s[20:21]
                                        ; implicit-def: $vgpr24
	s_and_saveexec_b64 vcc, s[20:21]
	s_xor_b64 s[20:21], exec, vcc
; %bb.7764:                             ;   in Loop: Header=BB6_7723 Depth=2
	v_min_i32_e32 v3, 15, v7
	v_lshl_or_b32 v3, v3, 3, v6
	v_and_or_b32 v24, v2, 7, v3
                                        ; implicit-def: $vgpr6
; %bb.7765:                             ;   in Loop: Header=BB6_7723 Depth=2
	s_andn2_saveexec_b64 s[20:21], s[20:21]
; %bb.7766:                             ;   in Loop: Header=BB6_7723 Depth=2
	v_mov_b32_e32 v24, v6
; %bb.7767:                             ;   in Loop: Header=BB6_7723 Depth=2
	s_or_b64 exec, exec, s[20:21]
.LBB6_7768:                             ;   in Loop: Header=BB6_7723 Depth=2
	s_or_b64 exec, exec, s[58:59]
.LBB6_7769:                             ;   in Loop: Header=BB6_7723 Depth=2
	s_andn2_saveexec_b64 s[20:21], s[56:57]
	s_or_b64 exec, exec, s[20:21]
                                        ; implicit-def: $vgpr2
.LBB6_7770:                             ;   in Loop: Header=BB6_7723 Depth=2
	s_andn2_saveexec_b64 s[20:21], s[54:55]
; %bb.7771:                             ;   in Loop: Header=BB6_7723 Depth=2
	v_or_b32_sdwa v2, v2, s68 dst_sel:DWORD dst_unused:UNUSED_PAD src0_sel:BYTE_3 src1_sel:DWORD
	v_cmp_eq_u64_e32 vcc, 0, v[38:39]
	v_cndmask_b32_e32 v24, v2, v24, vcc
; %bb.7772:                             ;   in Loop: Header=BB6_7723 Depth=2
	s_or_b64 exec, exec, s[20:21]
	flat_load_ubyte v3, v[16:17] offset:128 glc slc
	v_mov_b32_e32 v6, 0
	s_waitcnt vmcnt(0) lgkmcnt(0)
	v_cmp_ne_u16_e32 vcc, 0, v3
	s_and_saveexec_b64 s[20:21], vcc
	s_cbranch_execz .LBB6_7778
; %bb.7773:                             ;   in Loop: Header=BB6_7723 Depth=2
	v_cmp_ne_u16_e32 vcc, s69, v3
	v_bfrev_b32_e32 v6, 1
	s_and_saveexec_b64 s[54:55], vcc
	s_cbranch_execz .LBB6_7777
; %bb.7774:                             ;   in Loop: Header=BB6_7723 Depth=2
	v_and_b32_e32 v2, 0xffff, v3
	v_and_b32_e32 v7, 0x7f, v2
	v_cmp_ne_u32_e32 vcc, s68, v7
	v_mov_b32_e32 v6, 0x7f800001
	s_and_saveexec_b64 s[56:57], vcc
	s_cbranch_execz .LBB6_7776
; %bb.7775:                             ;   in Loop: Header=BB6_7723 Depth=2
	v_and_b32_e32 v6, 7, v2
	v_ffbh_u32_e32 v8, v6
	v_min_u32_e32 v22, 32, v8
	v_subrev_u32_e32 v8, 28, v22
	v_lshlrev_b64 v[8:9], v8, v[2:3]
	v_lshrrev_b32_e32 v20, 3, v7
	v_sub_u32_e32 v2, 29, v22
	v_and_b32_e32 v8, 7, v8
	v_cmp_gt_u32_e32 vcc, 8, v7
	v_cndmask_b32_e32 v2, v20, v2, vcc
	v_cndmask_b32_e32 v6, v6, v8, vcc
	v_lshlrev_b32_e32 v3, 24, v3
	v_bfrev_b32_e32 v7, 60
	v_lshlrev_b32_e32 v6, 20, v6
	v_and_b32_e32 v3, 0x80000000, v3
	v_lshl_add_u32 v2, v2, 23, v7
	v_or3_b32 v6, v3, v2, v6
.LBB6_7776:                             ;   in Loop: Header=BB6_7723 Depth=2
	s_or_b64 exec, exec, s[56:57]
.LBB6_7777:                             ;   in Loop: Header=BB6_7723 Depth=2
	s_or_b64 exec, exec, s[54:55]
.LBB6_7778:                             ;   in Loop: Header=BB6_7723 Depth=2
	s_or_b64 exec, exec, s[20:21]
	v_mul_f32_e32 v2, s60, v6
	v_and_b32_sdwa v6, v2, s69 dst_sel:DWORD dst_unused:UNUSED_PAD src0_sel:BYTE_3 src1_sel:DWORD
	v_and_b32_e32 v8, 0x7f800000, v2
	v_mov_b32_e32 v9, v39
	v_and_b32_e32 v38, 0x7fffff, v2
	v_or_b32_e32 v25, 0x7e, v6
	v_cmp_ne_u64_e32 vcc, s[38:39], v[8:9]
	s_and_saveexec_b64 s[20:21], vcc
	s_xor_b64 s[54:55], exec, s[20:21]
	s_cbranch_execz .LBB6_7792
; %bb.7779:                             ;   in Loop: Header=BB6_7723 Depth=2
	v_and_b32_e32 v8, 0x7fffffff, v2
	v_mov_b32_e32 v9, v39
	v_cmp_gt_u64_e32 vcc, s[40:41], v[8:9]
	s_and_saveexec_b64 s[20:21], vcc
	s_xor_b64 s[56:57], exec, s[20:21]
	s_cbranch_execz .LBB6_7791
; %bb.7780:                             ;   in Loop: Header=BB6_7723 Depth=2
	v_cmp_ne_u32_e32 vcc, 0, v2
	v_mov_b32_e32 v25, 0
	s_and_saveexec_b64 s[58:59], vcc
	s_cbranch_execz .LBB6_7790
; %bb.7781:                             ;   in Loop: Header=BB6_7723 Depth=2
	v_bfe_u32 v2, v2, 23, 8
	v_sub_u32_e32 v7, 0x79, v2
	v_cmp_gt_u32_e32 vcc, s70, v2
	v_add_u32_e32 v3, 0xffffff81, v2
	v_cndmask_b32_e32 v7, 0, v7, vcc
	v_cmp_eq_u32_e32 vcc, 0, v2
	v_mov_b32_e32 v2, 0xffffff82
	v_cndmask_b32_e32 v9, v3, v2, vcc
	v_mov_b32_e32 v2, 0x78
	v_or_b32_e32 v8, 0x800000, v38
	v_cndmask_b32_e32 v7, v7, v2, vcc
	v_cndmask_b32_e32 v38, v8, v38, vcc
	v_add_u32_e32 v2, 20, v7
	v_lshlrev_b64 v[2:3], v2, -1
	v_add_u32_e32 v8, 19, v7
	v_lshrrev_b64 v[26:27], v7, v[38:39]
	v_not_b32_e32 v3, v3
	v_not_b32_e32 v2, v2
	v_lshlrev_b64 v[22:23], v8, 1
	v_lshrrev_b32_e32 v8, 23, v26
	v_and_b32_e32 v3, 0, v3
	v_and_b32_e32 v2, v38, v2
	v_add3_u32 v9, v7, v9, v8
	v_bfe_u32 v7, v26, 20, 1
	v_add_u32_e32 v7, -1, v7
	v_cmp_eq_u64_e32 vcc, v[2:3], v[22:23]
	v_cndmask_b32_e32 v2, 0, v7, vcc
	v_add_u32_e32 v2, v2, v26
	v_and_b32_e32 v2, 0xfffff, v2
	v_add_co_u32_e32 v2, vcc, v2, v26
	v_add_u32_e32 v8, 6, v9
	v_addc_co_u32_e32 v3, vcc, 0, v27, vcc
	v_cmp_ne_u32_e32 vcc, 0, v8
                                        ; implicit-def: $vgpr7
	s_and_saveexec_b64 s[20:21], vcc
	s_xor_b64 s[20:21], exec, s[20:21]
; %bb.7782:                             ;   in Loop: Header=BB6_7723 Depth=2
	v_add_u32_e32 v7, 7, v9
	v_cmp_lt_u64_e32 vcc, s[44:45], v[2:3]
	v_cndmask_b32_e32 v7, v8, v7, vcc
	v_cndmask_b32_e64 v8, 0, 1, vcc
	v_lshrrev_b64 v[2:3], v8, v[2:3]
; %bb.7783:                             ;   in Loop: Header=BB6_7723 Depth=2
	s_andn2_saveexec_b64 s[20:21], s[20:21]
; %bb.7784:                             ;   in Loop: Header=BB6_7723 Depth=2
	v_bfe_u32 v7, v2, 23, 1
; %bb.7785:                             ;   in Loop: Header=BB6_7723 Depth=2
	s_or_b64 exec, exec, s[20:21]
	v_lshrrev_b64 v[2:3], 20, v[2:3]
	v_cmp_gt_i32_e32 vcc, 16, v7
	v_cndmask_b32_e32 v3, 0, v3, vcc
	v_cndmask_b32_e32 v2, 7, v2, vcc
	v_cmp_ne_u32_e32 vcc, 0, v7
	v_cmp_ne_u64_e64 s[20:21], 0, v[2:3]
	s_or_b64 s[20:21], vcc, s[20:21]
                                        ; implicit-def: $vgpr25
	s_and_saveexec_b64 vcc, s[20:21]
	s_xor_b64 s[20:21], exec, vcc
; %bb.7786:                             ;   in Loop: Header=BB6_7723 Depth=2
	v_min_i32_e32 v3, 15, v7
	v_lshl_or_b32 v3, v3, 3, v6
	v_and_or_b32 v25, v2, 7, v3
                                        ; implicit-def: $vgpr6
; %bb.7787:                             ;   in Loop: Header=BB6_7723 Depth=2
	s_andn2_saveexec_b64 s[20:21], s[20:21]
; %bb.7788:                             ;   in Loop: Header=BB6_7723 Depth=2
	v_mov_b32_e32 v25, v6
; %bb.7789:                             ;   in Loop: Header=BB6_7723 Depth=2
	s_or_b64 exec, exec, s[20:21]
.LBB6_7790:                             ;   in Loop: Header=BB6_7723 Depth=2
	s_or_b64 exec, exec, s[58:59]
.LBB6_7791:                             ;   in Loop: Header=BB6_7723 Depth=2
	s_andn2_saveexec_b64 s[20:21], s[56:57]
	s_or_b64 exec, exec, s[20:21]
                                        ; implicit-def: $vgpr2
.LBB6_7792:                             ;   in Loop: Header=BB6_7723 Depth=2
	s_andn2_saveexec_b64 s[20:21], s[54:55]
; %bb.7793:                             ;   in Loop: Header=BB6_7723 Depth=2
	v_or_b32_sdwa v2, v2, s68 dst_sel:DWORD dst_unused:UNUSED_PAD src0_sel:BYTE_3 src1_sel:DWORD
	v_cmp_eq_u64_e32 vcc, 0, v[38:39]
	v_cndmask_b32_e32 v25, v2, v25, vcc
; %bb.7794:                             ;   in Loop: Header=BB6_7723 Depth=2
	s_or_b64 exec, exec, s[20:21]
	flat_load_ubyte v3, v[16:17] offset:192 glc slc
	v_mov_b32_e32 v6, 0
	s_waitcnt vmcnt(0) lgkmcnt(0)
	v_cmp_ne_u16_e32 vcc, 0, v3
	s_and_saveexec_b64 s[20:21], vcc
	s_cbranch_execz .LBB6_7800
; %bb.7795:                             ;   in Loop: Header=BB6_7723 Depth=2
	v_cmp_ne_u16_e32 vcc, s69, v3
	v_bfrev_b32_e32 v6, 1
	s_and_saveexec_b64 s[54:55], vcc
	s_cbranch_execz .LBB6_7799
; %bb.7796:                             ;   in Loop: Header=BB6_7723 Depth=2
	v_and_b32_e32 v2, 0xffff, v3
	v_and_b32_e32 v7, 0x7f, v2
	v_cmp_ne_u32_e32 vcc, s68, v7
	v_mov_b32_e32 v6, 0x7f800001
	s_and_saveexec_b64 s[56:57], vcc
	s_cbranch_execz .LBB6_7798
; %bb.7797:                             ;   in Loop: Header=BB6_7723 Depth=2
	v_and_b32_e32 v6, 7, v2
	v_ffbh_u32_e32 v8, v6
	v_min_u32_e32 v22, 32, v8
	v_subrev_u32_e32 v8, 28, v22
	v_lshlrev_b64 v[8:9], v8, v[2:3]
	v_lshrrev_b32_e32 v20, 3, v7
	v_sub_u32_e32 v2, 29, v22
	v_and_b32_e32 v8, 7, v8
	v_cmp_gt_u32_e32 vcc, 8, v7
	v_cndmask_b32_e32 v2, v20, v2, vcc
	v_cndmask_b32_e32 v6, v6, v8, vcc
	v_lshlrev_b32_e32 v3, 24, v3
	v_bfrev_b32_e32 v7, 60
	v_lshlrev_b32_e32 v6, 20, v6
	v_and_b32_e32 v3, 0x80000000, v3
	v_lshl_add_u32 v2, v2, 23, v7
	v_or3_b32 v6, v3, v2, v6
.LBB6_7798:                             ;   in Loop: Header=BB6_7723 Depth=2
	s_or_b64 exec, exec, s[56:57]
.LBB6_7799:                             ;   in Loop: Header=BB6_7723 Depth=2
	s_or_b64 exec, exec, s[54:55]
.LBB6_7800:                             ;   in Loop: Header=BB6_7723 Depth=2
	s_or_b64 exec, exec, s[20:21]
	v_mul_f32_e32 v2, s60, v6
	v_and_b32_sdwa v7, v2, s69 dst_sel:DWORD dst_unused:UNUSED_PAD src0_sel:BYTE_3 src1_sel:DWORD
	v_and_b32_e32 v8, 0x7f800000, v2
	v_mov_b32_e32 v9, v39
	v_and_b32_e32 v38, 0x7fffff, v2
	v_or_b32_e32 v6, 0x7e, v7
	v_cmp_ne_u64_e32 vcc, s[38:39], v[8:9]
	s_and_saveexec_b64 s[20:21], vcc
	s_xor_b64 s[54:55], exec, s[20:21]
	s_cbranch_execz .LBB6_7814
; %bb.7801:                             ;   in Loop: Header=BB6_7723 Depth=2
	v_and_b32_e32 v8, 0x7fffffff, v2
	v_mov_b32_e32 v9, v39
	v_cmp_gt_u64_e32 vcc, s[40:41], v[8:9]
	s_and_saveexec_b64 s[20:21], vcc
	s_xor_b64 s[56:57], exec, s[20:21]
	s_cbranch_execz .LBB6_7813
; %bb.7802:                             ;   in Loop: Header=BB6_7723 Depth=2
	v_cmp_ne_u32_e32 vcc, 0, v2
	v_mov_b32_e32 v6, 0
	s_and_saveexec_b64 s[58:59], vcc
	s_cbranch_execz .LBB6_7812
; %bb.7803:                             ;   in Loop: Header=BB6_7723 Depth=2
	v_bfe_u32 v2, v2, 23, 8
	v_sub_u32_e32 v6, 0x79, v2
	v_cmp_gt_u32_e32 vcc, s70, v2
	v_add_u32_e32 v3, 0xffffff81, v2
	v_cndmask_b32_e32 v6, 0, v6, vcc
	v_cmp_eq_u32_e32 vcc, 0, v2
	v_mov_b32_e32 v2, 0xffffff82
	v_cndmask_b32_e32 v9, v3, v2, vcc
	v_mov_b32_e32 v2, 0x78
	v_or_b32_e32 v8, 0x800000, v38
	v_cndmask_b32_e32 v6, v6, v2, vcc
	v_cndmask_b32_e32 v38, v8, v38, vcc
	v_add_u32_e32 v2, 20, v6
	v_lshlrev_b64 v[2:3], v2, -1
	v_add_u32_e32 v8, 19, v6
	v_lshrrev_b64 v[26:27], v6, v[38:39]
	v_not_b32_e32 v3, v3
	v_not_b32_e32 v2, v2
	v_lshlrev_b64 v[22:23], v8, 1
	v_lshrrev_b32_e32 v8, 23, v26
	v_and_b32_e32 v3, 0, v3
	v_and_b32_e32 v2, v38, v2
	v_add3_u32 v9, v6, v9, v8
	v_bfe_u32 v8, v26, 20, 1
	v_add_u32_e32 v8, -1, v8
	v_cmp_eq_u64_e32 vcc, v[2:3], v[22:23]
	v_cndmask_b32_e32 v2, 0, v8, vcc
	v_add_u32_e32 v2, v2, v26
	v_and_b32_e32 v2, 0xfffff, v2
	v_add_co_u32_e32 v2, vcc, v2, v26
	v_add_u32_e32 v6, 6, v9
	v_addc_co_u32_e32 v3, vcc, 0, v27, vcc
	v_cmp_ne_u32_e32 vcc, 0, v6
                                        ; implicit-def: $vgpr8
	s_and_saveexec_b64 s[20:21], vcc
	s_xor_b64 s[20:21], exec, s[20:21]
; %bb.7804:                             ;   in Loop: Header=BB6_7723 Depth=2
	v_add_u32_e32 v8, 7, v9
	v_cmp_lt_u64_e32 vcc, s[44:45], v[2:3]
	v_cndmask_b32_e32 v8, v6, v8, vcc
	v_cndmask_b32_e64 v6, 0, 1, vcc
	v_lshrrev_b64 v[2:3], v6, v[2:3]
; %bb.7805:                             ;   in Loop: Header=BB6_7723 Depth=2
	s_andn2_saveexec_b64 s[20:21], s[20:21]
; %bb.7806:                             ;   in Loop: Header=BB6_7723 Depth=2
	v_bfe_u32 v8, v2, 23, 1
; %bb.7807:                             ;   in Loop: Header=BB6_7723 Depth=2
	s_or_b64 exec, exec, s[20:21]
	v_lshrrev_b64 v[2:3], 20, v[2:3]
	v_cmp_gt_i32_e32 vcc, 16, v8
	v_cndmask_b32_e32 v3, 0, v3, vcc
	v_cndmask_b32_e32 v2, 7, v2, vcc
	v_cmp_ne_u32_e32 vcc, 0, v8
	v_cmp_ne_u64_e64 s[20:21], 0, v[2:3]
	s_or_b64 s[20:21], vcc, s[20:21]
                                        ; implicit-def: $vgpr6
	s_and_saveexec_b64 vcc, s[20:21]
	s_xor_b64 s[20:21], exec, vcc
; %bb.7808:                             ;   in Loop: Header=BB6_7723 Depth=2
	v_min_i32_e32 v3, 15, v8
	v_lshl_or_b32 v3, v3, 3, v7
	v_and_or_b32 v6, v2, 7, v3
                                        ; implicit-def: $vgpr7
; %bb.7809:                             ;   in Loop: Header=BB6_7723 Depth=2
	s_andn2_saveexec_b64 s[20:21], s[20:21]
; %bb.7810:                             ;   in Loop: Header=BB6_7723 Depth=2
	v_mov_b32_e32 v6, v7
; %bb.7811:                             ;   in Loop: Header=BB6_7723 Depth=2
	s_or_b64 exec, exec, s[20:21]
.LBB6_7812:                             ;   in Loop: Header=BB6_7723 Depth=2
	s_or_b64 exec, exec, s[58:59]
.LBB6_7813:                             ;   in Loop: Header=BB6_7723 Depth=2
	s_andn2_saveexec_b64 s[20:21], s[56:57]
	s_or_b64 exec, exec, s[20:21]
                                        ; implicit-def: $vgpr2
.LBB6_7814:                             ;   in Loop: Header=BB6_7723 Depth=2
	s_andn2_saveexec_b64 s[20:21], s[54:55]
; %bb.7815:                             ;   in Loop: Header=BB6_7723 Depth=2
	v_or_b32_sdwa v2, v2, s68 dst_sel:DWORD dst_unused:UNUSED_PAD src0_sel:BYTE_3 src1_sel:DWORD
	v_cmp_eq_u64_e32 vcc, 0, v[38:39]
	v_cndmask_b32_e32 v6, v2, v6, vcc
; %bb.7816:                             ;   in Loop: Header=BB6_7723 Depth=2
	s_or_b64 exec, exec, s[20:21]
	flat_load_ubyte v3, v[16:17] offset:256 glc slc
	v_mov_b32_e32 v7, 0
	s_waitcnt vmcnt(0) lgkmcnt(0)
	v_cmp_ne_u16_e32 vcc, 0, v3
	s_and_saveexec_b64 s[20:21], vcc
	s_cbranch_execz .LBB6_7822
; %bb.7817:                             ;   in Loop: Header=BB6_7723 Depth=2
	v_cmp_ne_u16_e32 vcc, s69, v3
	v_bfrev_b32_e32 v7, 1
	s_and_saveexec_b64 s[54:55], vcc
	s_cbranch_execz .LBB6_7821
; %bb.7818:                             ;   in Loop: Header=BB6_7723 Depth=2
	v_and_b32_e32 v2, 0xffff, v3
	v_and_b32_e32 v8, 0x7f, v2
	v_cmp_ne_u32_e32 vcc, s68, v8
	v_mov_b32_e32 v7, 0x7f800001
	s_and_saveexec_b64 s[56:57], vcc
	s_cbranch_execz .LBB6_7820
; %bb.7819:                             ;   in Loop: Header=BB6_7723 Depth=2
	v_and_b32_e32 v7, 7, v2
	v_ffbh_u32_e32 v20, v7
	v_min_u32_e32 v20, 32, v20
	v_subrev_u32_e32 v22, 28, v20
	v_lshlrev_b64 v[22:23], v22, v[2:3]
	v_lshrrev_b32_e32 v9, 3, v8
	v_sub_u32_e32 v2, 29, v20
	v_and_b32_e32 v20, 7, v22
	v_cmp_gt_u32_e32 vcc, 8, v8
	v_cndmask_b32_e32 v2, v9, v2, vcc
	v_cndmask_b32_e32 v7, v7, v20, vcc
	v_lshlrev_b32_e32 v3, 24, v3
	v_bfrev_b32_e32 v8, 60
	v_lshlrev_b32_e32 v7, 20, v7
	v_and_b32_e32 v3, 0x80000000, v3
	v_lshl_add_u32 v2, v2, 23, v8
	v_or3_b32 v7, v3, v2, v7
.LBB6_7820:                             ;   in Loop: Header=BB6_7723 Depth=2
	s_or_b64 exec, exec, s[56:57]
.LBB6_7821:                             ;   in Loop: Header=BB6_7723 Depth=2
	s_or_b64 exec, exec, s[54:55]
.LBB6_7822:                             ;   in Loop: Header=BB6_7723 Depth=2
	s_or_b64 exec, exec, s[20:21]
	v_mul_f32_e32 v2, s60, v7
	v_and_b32_sdwa v8, v2, s69 dst_sel:DWORD dst_unused:UNUSED_PAD src0_sel:BYTE_3 src1_sel:DWORD
	v_and_b32_e32 v22, 0x7f800000, v2
	v_mov_b32_e32 v23, v39
	v_and_b32_e32 v38, 0x7fffff, v2
	v_or_b32_e32 v7, 0x7e, v8
	v_cmp_ne_u64_e32 vcc, s[38:39], v[22:23]
	s_and_saveexec_b64 s[20:21], vcc
	s_xor_b64 s[54:55], exec, s[20:21]
	s_cbranch_execz .LBB6_7836
; %bb.7823:                             ;   in Loop: Header=BB6_7723 Depth=2
	v_and_b32_e32 v22, 0x7fffffff, v2
	v_mov_b32_e32 v23, v39
	v_cmp_gt_u64_e32 vcc, s[40:41], v[22:23]
	s_and_saveexec_b64 s[20:21], vcc
	s_xor_b64 s[56:57], exec, s[20:21]
	s_cbranch_execz .LBB6_7835
; %bb.7824:                             ;   in Loop: Header=BB6_7723 Depth=2
	v_cmp_ne_u32_e32 vcc, 0, v2
	v_mov_b32_e32 v7, 0
	s_and_saveexec_b64 s[58:59], vcc
	s_cbranch_execz .LBB6_7834
; %bb.7825:                             ;   in Loop: Header=BB6_7723 Depth=2
	v_bfe_u32 v2, v2, 23, 8
	v_sub_u32_e32 v7, 0x79, v2
	v_cmp_gt_u32_e32 vcc, s70, v2
	v_add_u32_e32 v3, 0xffffff81, v2
	v_cndmask_b32_e32 v7, 0, v7, vcc
	v_cmp_eq_u32_e32 vcc, 0, v2
	v_mov_b32_e32 v2, 0xffffff82
	v_cndmask_b32_e32 v20, v3, v2, vcc
	v_mov_b32_e32 v2, 0x78
	v_or_b32_e32 v9, 0x800000, v38
	v_cndmask_b32_e32 v7, v7, v2, vcc
	v_cndmask_b32_e32 v38, v9, v38, vcc
	v_add_u32_e32 v2, 20, v7
	v_lshlrev_b64 v[2:3], v2, -1
	v_add_u32_e32 v9, 19, v7
	v_lshrrev_b64 v[26:27], v7, v[38:39]
	v_not_b32_e32 v3, v3
	v_not_b32_e32 v2, v2
	v_lshlrev_b64 v[22:23], v9, 1
	v_lshrrev_b32_e32 v9, 23, v26
	v_and_b32_e32 v3, 0, v3
	v_and_b32_e32 v2, v38, v2
	v_add3_u32 v20, v7, v20, v9
	v_bfe_u32 v9, v26, 20, 1
	v_add_u32_e32 v9, -1, v9
	v_cmp_eq_u64_e32 vcc, v[2:3], v[22:23]
	v_cndmask_b32_e32 v2, 0, v9, vcc
	v_add_u32_e32 v2, v2, v26
	v_and_b32_e32 v2, 0xfffff, v2
	v_add_co_u32_e32 v2, vcc, v2, v26
	v_add_u32_e32 v7, 6, v20
	v_addc_co_u32_e32 v3, vcc, 0, v27, vcc
	v_cmp_ne_u32_e32 vcc, 0, v7
                                        ; implicit-def: $vgpr9
	s_and_saveexec_b64 s[20:21], vcc
	s_xor_b64 s[20:21], exec, s[20:21]
; %bb.7826:                             ;   in Loop: Header=BB6_7723 Depth=2
	v_add_u32_e32 v9, 7, v20
	v_cmp_lt_u64_e32 vcc, s[44:45], v[2:3]
	v_cndmask_b32_e32 v9, v7, v9, vcc
	v_cndmask_b32_e64 v7, 0, 1, vcc
	v_lshrrev_b64 v[2:3], v7, v[2:3]
; %bb.7827:                             ;   in Loop: Header=BB6_7723 Depth=2
	s_andn2_saveexec_b64 s[20:21], s[20:21]
; %bb.7828:                             ;   in Loop: Header=BB6_7723 Depth=2
	v_bfe_u32 v9, v2, 23, 1
; %bb.7829:                             ;   in Loop: Header=BB6_7723 Depth=2
	s_or_b64 exec, exec, s[20:21]
	v_lshrrev_b64 v[2:3], 20, v[2:3]
	v_cmp_gt_i32_e32 vcc, 16, v9
	v_cndmask_b32_e32 v3, 0, v3, vcc
	v_cndmask_b32_e32 v2, 7, v2, vcc
	v_cmp_ne_u32_e32 vcc, 0, v9
	v_cmp_ne_u64_e64 s[20:21], 0, v[2:3]
	s_or_b64 s[20:21], vcc, s[20:21]
                                        ; implicit-def: $vgpr7
	s_and_saveexec_b64 vcc, s[20:21]
	s_xor_b64 s[20:21], exec, vcc
; %bb.7830:                             ;   in Loop: Header=BB6_7723 Depth=2
	v_min_i32_e32 v3, 15, v9
	v_lshl_or_b32 v3, v3, 3, v8
	v_and_or_b32 v7, v2, 7, v3
                                        ; implicit-def: $vgpr8
; %bb.7831:                             ;   in Loop: Header=BB6_7723 Depth=2
	s_andn2_saveexec_b64 s[20:21], s[20:21]
; %bb.7832:                             ;   in Loop: Header=BB6_7723 Depth=2
	v_mov_b32_e32 v7, v8
; %bb.7833:                             ;   in Loop: Header=BB6_7723 Depth=2
	s_or_b64 exec, exec, s[20:21]
.LBB6_7834:                             ;   in Loop: Header=BB6_7723 Depth=2
	s_or_b64 exec, exec, s[58:59]
.LBB6_7835:                             ;   in Loop: Header=BB6_7723 Depth=2
	s_andn2_saveexec_b64 s[20:21], s[56:57]
	s_or_b64 exec, exec, s[20:21]
                                        ; implicit-def: $vgpr2
.LBB6_7836:                             ;   in Loop: Header=BB6_7723 Depth=2
	s_andn2_saveexec_b64 s[20:21], s[54:55]
; %bb.7837:                             ;   in Loop: Header=BB6_7723 Depth=2
	v_or_b32_sdwa v2, v2, s68 dst_sel:DWORD dst_unused:UNUSED_PAD src0_sel:BYTE_3 src1_sel:DWORD
	v_cmp_eq_u64_e32 vcc, 0, v[38:39]
	v_cndmask_b32_e32 v7, v2, v7, vcc
; %bb.7838:                             ;   in Loop: Header=BB6_7723 Depth=2
	s_or_b64 exec, exec, s[20:21]
	flat_load_ubyte v3, v[16:17] offset:320 glc slc
	v_mov_b32_e32 v8, 0
	s_waitcnt vmcnt(0) lgkmcnt(0)
	v_cmp_ne_u16_e32 vcc, 0, v3
	s_and_saveexec_b64 s[20:21], vcc
	s_cbranch_execz .LBB6_7844
; %bb.7839:                             ;   in Loop: Header=BB6_7723 Depth=2
	v_cmp_ne_u16_e32 vcc, s69, v3
	v_bfrev_b32_e32 v8, 1
	s_and_saveexec_b64 s[54:55], vcc
	s_cbranch_execz .LBB6_7843
; %bb.7840:                             ;   in Loop: Header=BB6_7723 Depth=2
	v_and_b32_e32 v2, 0xffff, v3
	v_and_b32_e32 v9, 0x7f, v2
	v_cmp_ne_u32_e32 vcc, s68, v9
	v_mov_b32_e32 v8, 0x7f800001
	s_and_saveexec_b64 s[56:57], vcc
	s_cbranch_execz .LBB6_7842
; %bb.7841:                             ;   in Loop: Header=BB6_7723 Depth=2
	v_and_b32_e32 v8, 7, v2
	v_ffbh_u32_e32 v22, v8
	v_min_u32_e32 v26, 32, v22
	v_subrev_u32_e32 v22, 28, v26
	v_lshlrev_b64 v[22:23], v22, v[2:3]
	v_lshrrev_b32_e32 v20, 3, v9
	v_sub_u32_e32 v2, 29, v26
	v_and_b32_e32 v22, 7, v22
	v_cmp_gt_u32_e32 vcc, 8, v9
	v_cndmask_b32_e32 v2, v20, v2, vcc
	v_cndmask_b32_e32 v8, v8, v22, vcc
	v_lshlrev_b32_e32 v3, 24, v3
	v_bfrev_b32_e32 v9, 60
	v_lshlrev_b32_e32 v8, 20, v8
	v_and_b32_e32 v3, 0x80000000, v3
	v_lshl_add_u32 v2, v2, 23, v9
	v_or3_b32 v8, v3, v2, v8
.LBB6_7842:                             ;   in Loop: Header=BB6_7723 Depth=2
	s_or_b64 exec, exec, s[56:57]
.LBB6_7843:                             ;   in Loop: Header=BB6_7723 Depth=2
	s_or_b64 exec, exec, s[54:55]
.LBB6_7844:                             ;   in Loop: Header=BB6_7723 Depth=2
	s_or_b64 exec, exec, s[20:21]
	v_mul_f32_e32 v2, s60, v8
	v_and_b32_sdwa v9, v2, s69 dst_sel:DWORD dst_unused:UNUSED_PAD src0_sel:BYTE_3 src1_sel:DWORD
	v_and_b32_e32 v22, 0x7f800000, v2
	v_mov_b32_e32 v23, v39
	v_and_b32_e32 v38, 0x7fffff, v2
	v_or_b32_e32 v8, 0x7e, v9
	v_cmp_ne_u64_e32 vcc, s[38:39], v[22:23]
	s_and_saveexec_b64 s[20:21], vcc
	s_xor_b64 s[54:55], exec, s[20:21]
	s_cbranch_execz .LBB6_7858
; %bb.7845:                             ;   in Loop: Header=BB6_7723 Depth=2
	v_and_b32_e32 v22, 0x7fffffff, v2
	v_mov_b32_e32 v23, v39
	v_cmp_gt_u64_e32 vcc, s[40:41], v[22:23]
	s_and_saveexec_b64 s[20:21], vcc
	s_xor_b64 s[56:57], exec, s[20:21]
	s_cbranch_execz .LBB6_7857
; %bb.7846:                             ;   in Loop: Header=BB6_7723 Depth=2
	v_cmp_ne_u32_e32 vcc, 0, v2
	v_mov_b32_e32 v8, 0
	s_and_saveexec_b64 s[58:59], vcc
	s_cbranch_execz .LBB6_7856
; %bb.7847:                             ;   in Loop: Header=BB6_7723 Depth=2
	v_bfe_u32 v2, v2, 23, 8
	v_sub_u32_e32 v8, 0x79, v2
	v_cmp_gt_u32_e32 vcc, s70, v2
	v_add_u32_e32 v3, 0xffffff81, v2
	v_cndmask_b32_e32 v8, 0, v8, vcc
	v_cmp_eq_u32_e32 vcc, 0, v2
	v_mov_b32_e32 v2, 0xffffff82
	v_cndmask_b32_e32 v22, v3, v2, vcc
	v_mov_b32_e32 v2, 0x78
	v_or_b32_e32 v20, 0x800000, v38
	v_cndmask_b32_e32 v8, v8, v2, vcc
	v_cndmask_b32_e32 v38, v20, v38, vcc
	v_add_u32_e32 v2, 20, v8
	v_lshlrev_b64 v[2:3], v2, -1
	v_add_u32_e32 v20, 19, v8
	v_lshrrev_b64 v[28:29], v8, v[38:39]
	v_not_b32_e32 v3, v3
	v_not_b32_e32 v2, v2
	v_lshlrev_b64 v[26:27], v20, 1
	v_lshrrev_b32_e32 v20, 23, v28
	v_and_b32_e32 v3, 0, v3
	v_and_b32_e32 v2, v38, v2
	v_add3_u32 v22, v8, v22, v20
	v_bfe_u32 v20, v28, 20, 1
	v_add_u32_e32 v20, -1, v20
	v_cmp_eq_u64_e32 vcc, v[2:3], v[26:27]
	v_cndmask_b32_e32 v2, 0, v20, vcc
	v_add_u32_e32 v2, v2, v28
	v_and_b32_e32 v2, 0xfffff, v2
	v_add_co_u32_e32 v2, vcc, v2, v28
	v_add_u32_e32 v8, 6, v22
	v_addc_co_u32_e32 v3, vcc, 0, v29, vcc
	v_cmp_ne_u32_e32 vcc, 0, v8
                                        ; implicit-def: $vgpr20
	s_and_saveexec_b64 s[20:21], vcc
	s_xor_b64 s[20:21], exec, s[20:21]
; %bb.7848:                             ;   in Loop: Header=BB6_7723 Depth=2
	v_add_u32_e32 v20, 7, v22
	v_cmp_lt_u64_e32 vcc, s[44:45], v[2:3]
	v_cndmask_b32_e32 v20, v8, v20, vcc
	v_cndmask_b32_e64 v8, 0, 1, vcc
	v_lshrrev_b64 v[2:3], v8, v[2:3]
; %bb.7849:                             ;   in Loop: Header=BB6_7723 Depth=2
	s_andn2_saveexec_b64 s[20:21], s[20:21]
; %bb.7850:                             ;   in Loop: Header=BB6_7723 Depth=2
	v_bfe_u32 v20, v2, 23, 1
; %bb.7851:                             ;   in Loop: Header=BB6_7723 Depth=2
	s_or_b64 exec, exec, s[20:21]
	v_lshrrev_b64 v[2:3], 20, v[2:3]
	v_cmp_gt_i32_e32 vcc, 16, v20
	v_cndmask_b32_e32 v3, 0, v3, vcc
	v_cndmask_b32_e32 v2, 7, v2, vcc
	v_cmp_ne_u32_e32 vcc, 0, v20
	v_cmp_ne_u64_e64 s[20:21], 0, v[2:3]
	s_or_b64 s[20:21], vcc, s[20:21]
                                        ; implicit-def: $vgpr8
	s_and_saveexec_b64 vcc, s[20:21]
	s_xor_b64 s[20:21], exec, vcc
; %bb.7852:                             ;   in Loop: Header=BB6_7723 Depth=2
	v_min_i32_e32 v3, 15, v20
	v_lshl_or_b32 v3, v3, 3, v9
	v_and_or_b32 v8, v2, 7, v3
                                        ; implicit-def: $vgpr9
; %bb.7853:                             ;   in Loop: Header=BB6_7723 Depth=2
	s_andn2_saveexec_b64 s[20:21], s[20:21]
; %bb.7854:                             ;   in Loop: Header=BB6_7723 Depth=2
	v_mov_b32_e32 v8, v9
; %bb.7855:                             ;   in Loop: Header=BB6_7723 Depth=2
	s_or_b64 exec, exec, s[20:21]
.LBB6_7856:                             ;   in Loop: Header=BB6_7723 Depth=2
	s_or_b64 exec, exec, s[58:59]
.LBB6_7857:                             ;   in Loop: Header=BB6_7723 Depth=2
	s_andn2_saveexec_b64 s[20:21], s[56:57]
	s_or_b64 exec, exec, s[20:21]
                                        ; implicit-def: $vgpr2
.LBB6_7858:                             ;   in Loop: Header=BB6_7723 Depth=2
	s_andn2_saveexec_b64 s[20:21], s[54:55]
; %bb.7859:                             ;   in Loop: Header=BB6_7723 Depth=2
	v_or_b32_sdwa v2, v2, s68 dst_sel:DWORD dst_unused:UNUSED_PAD src0_sel:BYTE_3 src1_sel:DWORD
	v_cmp_eq_u64_e32 vcc, 0, v[38:39]
	v_cndmask_b32_e32 v8, v2, v8, vcc
; %bb.7860:                             ;   in Loop: Header=BB6_7723 Depth=2
	s_or_b64 exec, exec, s[20:21]
	flat_load_ubyte v3, v[16:17] offset:384 glc slc
	v_mov_b32_e32 v9, 0
	s_waitcnt vmcnt(0) lgkmcnt(0)
	v_cmp_ne_u16_e32 vcc, 0, v3
	s_and_saveexec_b64 s[20:21], vcc
	s_cbranch_execz .LBB6_7866
; %bb.7861:                             ;   in Loop: Header=BB6_7723 Depth=2
	v_cmp_ne_u16_e32 vcc, s69, v3
	v_bfrev_b32_e32 v9, 1
	s_and_saveexec_b64 s[54:55], vcc
	s_cbranch_execz .LBB6_7865
; %bb.7862:                             ;   in Loop: Header=BB6_7723 Depth=2
	v_and_b32_e32 v2, 0xffff, v3
	v_and_b32_e32 v20, 0x7f, v2
	v_cmp_ne_u32_e32 vcc, s68, v20
	v_mov_b32_e32 v9, 0x7f800001
	s_and_saveexec_b64 s[56:57], vcc
	s_cbranch_execz .LBB6_7864
; %bb.7863:                             ;   in Loop: Header=BB6_7723 Depth=2
	v_and_b32_e32 v9, 7, v2
	v_ffbh_u32_e32 v22, v9
	v_min_u32_e32 v27, 32, v22
	v_subrev_u32_e32 v22, 28, v27
	v_lshlrev_b64 v[22:23], v22, v[2:3]
	v_lshrrev_b32_e32 v26, 3, v20
	v_sub_u32_e32 v2, 29, v27
	v_and_b32_e32 v22, 7, v22
	v_cmp_gt_u32_e32 vcc, 8, v20
	v_cndmask_b32_e32 v2, v26, v2, vcc
	v_cndmask_b32_e32 v9, v9, v22, vcc
	v_lshlrev_b32_e32 v3, 24, v3
	v_bfrev_b32_e32 v20, 60
	v_lshlrev_b32_e32 v9, 20, v9
	v_and_b32_e32 v3, 0x80000000, v3
	v_lshl_add_u32 v2, v2, 23, v20
	v_or3_b32 v9, v3, v2, v9
.LBB6_7864:                             ;   in Loop: Header=BB6_7723 Depth=2
	s_or_b64 exec, exec, s[56:57]
.LBB6_7865:                             ;   in Loop: Header=BB6_7723 Depth=2
	s_or_b64 exec, exec, s[54:55]
.LBB6_7866:                             ;   in Loop: Header=BB6_7723 Depth=2
	s_or_b64 exec, exec, s[20:21]
	v_mul_f32_e32 v2, s60, v9
	v_and_b32_sdwa v20, v2, s69 dst_sel:DWORD dst_unused:UNUSED_PAD src0_sel:BYTE_3 src1_sel:DWORD
	v_and_b32_e32 v22, 0x7f800000, v2
	v_mov_b32_e32 v23, v39
	v_and_b32_e32 v38, 0x7fffff, v2
	v_or_b32_e32 v9, 0x7e, v20
	v_cmp_ne_u64_e32 vcc, s[38:39], v[22:23]
	s_and_saveexec_b64 s[20:21], vcc
	s_xor_b64 s[54:55], exec, s[20:21]
	s_cbranch_execz .LBB6_7880
; %bb.7867:                             ;   in Loop: Header=BB6_7723 Depth=2
	v_and_b32_e32 v22, 0x7fffffff, v2
	v_mov_b32_e32 v23, v39
	v_cmp_gt_u64_e32 vcc, s[40:41], v[22:23]
	s_and_saveexec_b64 s[20:21], vcc
	s_xor_b64 s[56:57], exec, s[20:21]
	s_cbranch_execz .LBB6_7879
; %bb.7868:                             ;   in Loop: Header=BB6_7723 Depth=2
	v_cmp_ne_u32_e32 vcc, 0, v2
	v_mov_b32_e32 v9, 0
	s_and_saveexec_b64 s[58:59], vcc
	s_cbranch_execz .LBB6_7878
; %bb.7869:                             ;   in Loop: Header=BB6_7723 Depth=2
	v_bfe_u32 v2, v2, 23, 8
	v_sub_u32_e32 v9, 0x79, v2
	v_cmp_gt_u32_e32 vcc, s70, v2
	v_add_u32_e32 v3, 0xffffff81, v2
	v_cndmask_b32_e32 v9, 0, v9, vcc
	v_cmp_eq_u32_e32 vcc, 0, v2
	v_mov_b32_e32 v2, 0xffffff82
	v_cndmask_b32_e32 v23, v3, v2, vcc
	v_mov_b32_e32 v2, 0x78
	v_or_b32_e32 v22, 0x800000, v38
	v_cndmask_b32_e32 v9, v9, v2, vcc
	v_cndmask_b32_e32 v38, v22, v38, vcc
	v_add_u32_e32 v2, 20, v9
	v_lshlrev_b64 v[2:3], v2, -1
	v_add_u32_e32 v22, 19, v9
	v_lshrrev_b64 v[28:29], v9, v[38:39]
	v_not_b32_e32 v3, v3
	v_not_b32_e32 v2, v2
	v_lshlrev_b64 v[26:27], v22, 1
	v_lshrrev_b32_e32 v22, 23, v28
	v_and_b32_e32 v3, 0, v3
	v_and_b32_e32 v2, v38, v2
	v_add3_u32 v23, v9, v23, v22
	v_bfe_u32 v22, v28, 20, 1
	v_add_u32_e32 v22, -1, v22
	v_cmp_eq_u64_e32 vcc, v[2:3], v[26:27]
	v_cndmask_b32_e32 v2, 0, v22, vcc
	v_add_u32_e32 v2, v2, v28
	v_and_b32_e32 v2, 0xfffff, v2
	v_add_co_u32_e32 v2, vcc, v2, v28
	v_add_u32_e32 v9, 6, v23
	v_addc_co_u32_e32 v3, vcc, 0, v29, vcc
	v_cmp_ne_u32_e32 vcc, 0, v9
                                        ; implicit-def: $vgpr22
	s_and_saveexec_b64 s[20:21], vcc
	s_xor_b64 s[20:21], exec, s[20:21]
; %bb.7870:                             ;   in Loop: Header=BB6_7723 Depth=2
	v_add_u32_e32 v22, 7, v23
	v_cmp_lt_u64_e32 vcc, s[44:45], v[2:3]
	v_cndmask_b32_e32 v22, v9, v22, vcc
	v_cndmask_b32_e64 v9, 0, 1, vcc
	v_lshrrev_b64 v[2:3], v9, v[2:3]
; %bb.7871:                             ;   in Loop: Header=BB6_7723 Depth=2
	s_andn2_saveexec_b64 s[20:21], s[20:21]
; %bb.7872:                             ;   in Loop: Header=BB6_7723 Depth=2
	v_bfe_u32 v22, v2, 23, 1
; %bb.7873:                             ;   in Loop: Header=BB6_7723 Depth=2
	s_or_b64 exec, exec, s[20:21]
	v_lshrrev_b64 v[2:3], 20, v[2:3]
	v_cmp_gt_i32_e32 vcc, 16, v22
	v_cndmask_b32_e32 v3, 0, v3, vcc
	v_cndmask_b32_e32 v2, 7, v2, vcc
	v_cmp_ne_u32_e32 vcc, 0, v22
	v_cmp_ne_u64_e64 s[20:21], 0, v[2:3]
	s_or_b64 s[20:21], vcc, s[20:21]
                                        ; implicit-def: $vgpr9
	s_and_saveexec_b64 vcc, s[20:21]
	s_xor_b64 s[20:21], exec, vcc
; %bb.7874:                             ;   in Loop: Header=BB6_7723 Depth=2
	v_min_i32_e32 v3, 15, v22
	v_lshl_or_b32 v3, v3, 3, v20
	v_and_or_b32 v9, v2, 7, v3
                                        ; implicit-def: $vgpr20
; %bb.7875:                             ;   in Loop: Header=BB6_7723 Depth=2
	s_andn2_saveexec_b64 s[20:21], s[20:21]
; %bb.7876:                             ;   in Loop: Header=BB6_7723 Depth=2
	v_mov_b32_e32 v9, v20
; %bb.7877:                             ;   in Loop: Header=BB6_7723 Depth=2
	s_or_b64 exec, exec, s[20:21]
.LBB6_7878:                             ;   in Loop: Header=BB6_7723 Depth=2
	s_or_b64 exec, exec, s[58:59]
.LBB6_7879:                             ;   in Loop: Header=BB6_7723 Depth=2
	s_andn2_saveexec_b64 s[20:21], s[56:57]
	s_or_b64 exec, exec, s[20:21]
                                        ; implicit-def: $vgpr2
.LBB6_7880:                             ;   in Loop: Header=BB6_7723 Depth=2
	s_andn2_saveexec_b64 s[20:21], s[54:55]
; %bb.7881:                             ;   in Loop: Header=BB6_7723 Depth=2
	v_or_b32_sdwa v2, v2, s68 dst_sel:DWORD dst_unused:UNUSED_PAD src0_sel:BYTE_3 src1_sel:DWORD
	v_cmp_eq_u64_e32 vcc, 0, v[38:39]
	v_cndmask_b32_e32 v9, v2, v9, vcc
; %bb.7882:                             ;   in Loop: Header=BB6_7723 Depth=2
	s_or_b64 exec, exec, s[20:21]
	flat_load_ubyte v3, v[16:17] offset:448 glc slc
	v_mov_b32_e32 v20, 0
	s_waitcnt vmcnt(0) lgkmcnt(0)
	v_cmp_ne_u16_e32 vcc, 0, v3
	s_and_saveexec_b64 s[20:21], vcc
	s_cbranch_execz .LBB6_7888
; %bb.7883:                             ;   in Loop: Header=BB6_7723 Depth=2
	v_cmp_ne_u16_e32 vcc, s69, v3
	v_bfrev_b32_e32 v20, 1
	s_and_saveexec_b64 s[54:55], vcc
	s_cbranch_execz .LBB6_7887
; %bb.7884:                             ;   in Loop: Header=BB6_7723 Depth=2
	v_and_b32_e32 v2, 0xffff, v3
	v_and_b32_e32 v22, 0x7f, v2
	v_cmp_ne_u32_e32 vcc, s68, v22
	v_mov_b32_e32 v20, 0x7f800001
	s_and_saveexec_b64 s[56:57], vcc
	s_cbranch_execz .LBB6_7886
; %bb.7885:                             ;   in Loop: Header=BB6_7723 Depth=2
	v_and_b32_e32 v20, 7, v2
	v_ffbh_u32_e32 v26, v20
	v_min_u32_e32 v28, 32, v26
	v_subrev_u32_e32 v26, 28, v28
	v_lshlrev_b64 v[26:27], v26, v[2:3]
	v_lshrrev_b32_e32 v23, 3, v22
	v_sub_u32_e32 v2, 29, v28
	v_and_b32_e32 v26, 7, v26
	v_cmp_gt_u32_e32 vcc, 8, v22
	v_cndmask_b32_e32 v2, v23, v2, vcc
	v_cndmask_b32_e32 v20, v20, v26, vcc
	v_lshlrev_b32_e32 v3, 24, v3
	v_bfrev_b32_e32 v22, 60
	v_lshlrev_b32_e32 v20, 20, v20
	v_and_b32_e32 v3, 0x80000000, v3
	v_lshl_add_u32 v2, v2, 23, v22
	v_or3_b32 v20, v3, v2, v20
.LBB6_7886:                             ;   in Loop: Header=BB6_7723 Depth=2
	s_or_b64 exec, exec, s[56:57]
.LBB6_7887:                             ;   in Loop: Header=BB6_7723 Depth=2
	s_or_b64 exec, exec, s[54:55]
.LBB6_7888:                             ;   in Loop: Header=BB6_7723 Depth=2
	s_or_b64 exec, exec, s[20:21]
	v_mul_f32_e32 v2, s60, v20
	v_and_b32_sdwa v20, v2, s69 dst_sel:DWORD dst_unused:UNUSED_PAD src0_sel:BYTE_3 src1_sel:DWORD
	v_and_b32_e32 v22, 0x7f800000, v2
	v_mov_b32_e32 v23, v39
	v_and_b32_e32 v38, 0x7fffff, v2
	v_or_b32_e32 v26, 0x7e, v20
	v_cmp_ne_u64_e32 vcc, s[38:39], v[22:23]
	s_and_saveexec_b64 s[20:21], vcc
	s_xor_b64 s[54:55], exec, s[20:21]
	s_cbranch_execz .LBB6_7902
; %bb.7889:                             ;   in Loop: Header=BB6_7723 Depth=2
	v_and_b32_e32 v22, 0x7fffffff, v2
	v_mov_b32_e32 v23, v39
	v_cmp_gt_u64_e32 vcc, s[40:41], v[22:23]
	s_and_saveexec_b64 s[20:21], vcc
	s_xor_b64 s[56:57], exec, s[20:21]
	s_cbranch_execz .LBB6_7901
; %bb.7890:                             ;   in Loop: Header=BB6_7723 Depth=2
	v_cmp_ne_u32_e32 vcc, 0, v2
	v_mov_b32_e32 v26, 0
	s_and_saveexec_b64 s[58:59], vcc
	s_cbranch_execz .LBB6_7900
; %bb.7891:                             ;   in Loop: Header=BB6_7723 Depth=2
	v_bfe_u32 v2, v2, 23, 8
	v_sub_u32_e32 v22, 0x79, v2
	v_cmp_gt_u32_e32 vcc, s70, v2
	v_add_u32_e32 v3, 0xffffff81, v2
	v_cndmask_b32_e32 v22, 0, v22, vcc
	v_cmp_eq_u32_e32 vcc, 0, v2
	v_mov_b32_e32 v2, 0xffffff82
	v_cndmask_b32_e32 v26, v3, v2, vcc
	v_mov_b32_e32 v2, 0x78
	v_or_b32_e32 v23, 0x800000, v38
	v_cndmask_b32_e32 v22, v22, v2, vcc
	v_cndmask_b32_e32 v38, v23, v38, vcc
	v_add_u32_e32 v2, 20, v22
	v_lshlrev_b64 v[2:3], v2, -1
	v_add_u32_e32 v23, 19, v22
	v_lshrrev_b64 v[30:31], v22, v[38:39]
	v_not_b32_e32 v3, v3
	v_not_b32_e32 v2, v2
	v_lshlrev_b64 v[28:29], v23, 1
	v_lshrrev_b32_e32 v23, 23, v30
	v_and_b32_e32 v3, 0, v3
	v_and_b32_e32 v2, v38, v2
	v_add3_u32 v26, v22, v26, v23
	v_bfe_u32 v22, v30, 20, 1
	v_add_u32_e32 v22, -1, v22
	v_cmp_eq_u64_e32 vcc, v[2:3], v[28:29]
	v_cndmask_b32_e32 v2, 0, v22, vcc
	v_add_u32_e32 v2, v2, v30
	v_and_b32_e32 v2, 0xfffff, v2
	v_add_co_u32_e32 v2, vcc, v2, v30
	v_add_u32_e32 v23, 6, v26
	v_addc_co_u32_e32 v3, vcc, 0, v31, vcc
	v_cmp_ne_u32_e32 vcc, 0, v23
                                        ; implicit-def: $vgpr22
	s_and_saveexec_b64 s[20:21], vcc
	s_xor_b64 s[20:21], exec, s[20:21]
; %bb.7892:                             ;   in Loop: Header=BB6_7723 Depth=2
	v_add_u32_e32 v22, 7, v26
	v_cmp_lt_u64_e32 vcc, s[44:45], v[2:3]
	v_cndmask_b32_e32 v22, v23, v22, vcc
	v_cndmask_b32_e64 v23, 0, 1, vcc
	v_lshrrev_b64 v[2:3], v23, v[2:3]
; %bb.7893:                             ;   in Loop: Header=BB6_7723 Depth=2
	s_andn2_saveexec_b64 s[20:21], s[20:21]
; %bb.7894:                             ;   in Loop: Header=BB6_7723 Depth=2
	v_bfe_u32 v22, v2, 23, 1
; %bb.7895:                             ;   in Loop: Header=BB6_7723 Depth=2
	s_or_b64 exec, exec, s[20:21]
	v_lshrrev_b64 v[2:3], 20, v[2:3]
	v_cmp_gt_i32_e32 vcc, 16, v22
	v_cndmask_b32_e32 v3, 0, v3, vcc
	v_cndmask_b32_e32 v2, 7, v2, vcc
	v_cmp_ne_u32_e32 vcc, 0, v22
	v_cmp_ne_u64_e64 s[20:21], 0, v[2:3]
	s_or_b64 s[20:21], vcc, s[20:21]
                                        ; implicit-def: $vgpr26
	s_and_saveexec_b64 vcc, s[20:21]
	s_xor_b64 s[20:21], exec, vcc
; %bb.7896:                             ;   in Loop: Header=BB6_7723 Depth=2
	v_min_i32_e32 v3, 15, v22
	v_lshl_or_b32 v3, v3, 3, v20
	v_and_or_b32 v26, v2, 7, v3
                                        ; implicit-def: $vgpr20
; %bb.7897:                             ;   in Loop: Header=BB6_7723 Depth=2
	s_andn2_saveexec_b64 s[20:21], s[20:21]
; %bb.7898:                             ;   in Loop: Header=BB6_7723 Depth=2
	v_mov_b32_e32 v26, v20
; %bb.7899:                             ;   in Loop: Header=BB6_7723 Depth=2
	s_or_b64 exec, exec, s[20:21]
.LBB6_7900:                             ;   in Loop: Header=BB6_7723 Depth=2
	s_or_b64 exec, exec, s[58:59]
.LBB6_7901:                             ;   in Loop: Header=BB6_7723 Depth=2
	s_andn2_saveexec_b64 s[20:21], s[56:57]
	s_or_b64 exec, exec, s[20:21]
                                        ; implicit-def: $vgpr2
.LBB6_7902:                             ;   in Loop: Header=BB6_7723 Depth=2
	s_andn2_saveexec_b64 s[20:21], s[54:55]
; %bb.7903:                             ;   in Loop: Header=BB6_7723 Depth=2
	v_or_b32_sdwa v2, v2, s68 dst_sel:DWORD dst_unused:UNUSED_PAD src0_sel:BYTE_3 src1_sel:DWORD
	v_cmp_eq_u64_e32 vcc, 0, v[38:39]
	v_cndmask_b32_e32 v26, v2, v26, vcc
; %bb.7904:                             ;   in Loop: Header=BB6_7723 Depth=2
	s_or_b64 exec, exec, s[20:21]
	flat_load_ubyte v3, v[16:17] offset:512 glc slc
	v_mov_b32_e32 v20, 0
	s_waitcnt vmcnt(0) lgkmcnt(0)
	v_cmp_ne_u16_e32 vcc, 0, v3
	s_and_saveexec_b64 s[20:21], vcc
	s_cbranch_execz .LBB6_7910
; %bb.7905:                             ;   in Loop: Header=BB6_7723 Depth=2
	v_cmp_ne_u16_e32 vcc, s69, v3
	v_bfrev_b32_e32 v20, 1
	s_and_saveexec_b64 s[54:55], vcc
	s_cbranch_execz .LBB6_7909
; %bb.7906:                             ;   in Loop: Header=BB6_7723 Depth=2
	v_and_b32_e32 v2, 0xffff, v3
	v_and_b32_e32 v22, 0x7f, v2
	v_cmp_ne_u32_e32 vcc, s68, v22
	v_mov_b32_e32 v20, 0x7f800001
	s_and_saveexec_b64 s[56:57], vcc
	s_cbranch_execz .LBB6_7908
; %bb.7907:                             ;   in Loop: Header=BB6_7723 Depth=2
	v_and_b32_e32 v20, 7, v2
	v_ffbh_u32_e32 v27, v20
	v_min_u32_e32 v27, 32, v27
	v_subrev_u32_e32 v28, 28, v27
	v_lshlrev_b64 v[28:29], v28, v[2:3]
	v_lshrrev_b32_e32 v23, 3, v22
	v_sub_u32_e32 v2, 29, v27
	v_and_b32_e32 v27, 7, v28
	v_cmp_gt_u32_e32 vcc, 8, v22
	v_cndmask_b32_e32 v2, v23, v2, vcc
	v_cndmask_b32_e32 v20, v20, v27, vcc
	v_lshlrev_b32_e32 v3, 24, v3
	v_bfrev_b32_e32 v22, 60
	v_lshlrev_b32_e32 v20, 20, v20
	v_and_b32_e32 v3, 0x80000000, v3
	v_lshl_add_u32 v2, v2, 23, v22
	v_or3_b32 v20, v3, v2, v20
.LBB6_7908:                             ;   in Loop: Header=BB6_7723 Depth=2
	s_or_b64 exec, exec, s[56:57]
.LBB6_7909:                             ;   in Loop: Header=BB6_7723 Depth=2
	s_or_b64 exec, exec, s[54:55]
.LBB6_7910:                             ;   in Loop: Header=BB6_7723 Depth=2
	s_or_b64 exec, exec, s[20:21]
	v_mul_f32_e32 v2, s60, v20
	v_and_b32_sdwa v20, v2, s69 dst_sel:DWORD dst_unused:UNUSED_PAD src0_sel:BYTE_3 src1_sel:DWORD
	v_and_b32_e32 v28, 0x7f800000, v2
	v_mov_b32_e32 v29, v39
	v_and_b32_e32 v38, 0x7fffff, v2
	v_or_b32_e32 v22, 0x7e, v20
	v_cmp_ne_u64_e32 vcc, s[38:39], v[28:29]
	s_and_saveexec_b64 s[20:21], vcc
	s_xor_b64 s[54:55], exec, s[20:21]
	s_cbranch_execz .LBB6_7924
; %bb.7911:                             ;   in Loop: Header=BB6_7723 Depth=2
	v_and_b32_e32 v28, 0x7fffffff, v2
	v_mov_b32_e32 v29, v39
	v_cmp_gt_u64_e32 vcc, s[40:41], v[28:29]
	s_and_saveexec_b64 s[20:21], vcc
	s_xor_b64 s[56:57], exec, s[20:21]
	s_cbranch_execz .LBB6_7923
; %bb.7912:                             ;   in Loop: Header=BB6_7723 Depth=2
	v_cmp_ne_u32_e32 vcc, 0, v2
	v_mov_b32_e32 v22, 0
	s_and_saveexec_b64 s[58:59], vcc
	s_cbranch_execz .LBB6_7922
; %bb.7913:                             ;   in Loop: Header=BB6_7723 Depth=2
	v_bfe_u32 v2, v2, 23, 8
	v_sub_u32_e32 v22, 0x79, v2
	v_cmp_gt_u32_e32 vcc, s70, v2
	v_add_u32_e32 v3, 0xffffff81, v2
	v_cndmask_b32_e32 v22, 0, v22, vcc
	v_cmp_eq_u32_e32 vcc, 0, v2
	v_mov_b32_e32 v2, 0xffffff82
	v_cndmask_b32_e32 v27, v3, v2, vcc
	v_mov_b32_e32 v2, 0x78
	v_or_b32_e32 v23, 0x800000, v38
	v_cndmask_b32_e32 v22, v22, v2, vcc
	v_cndmask_b32_e32 v38, v23, v38, vcc
	v_add_u32_e32 v2, 20, v22
	v_lshlrev_b64 v[2:3], v2, -1
	v_add_u32_e32 v23, 19, v22
	v_lshrrev_b64 v[30:31], v22, v[38:39]
	v_not_b32_e32 v3, v3
	v_not_b32_e32 v2, v2
	v_lshlrev_b64 v[28:29], v23, 1
	v_lshrrev_b32_e32 v23, 23, v30
	v_and_b32_e32 v3, 0, v3
	v_and_b32_e32 v2, v38, v2
	v_add3_u32 v27, v22, v27, v23
	v_bfe_u32 v23, v30, 20, 1
	v_add_u32_e32 v23, -1, v23
	v_cmp_eq_u64_e32 vcc, v[2:3], v[28:29]
	v_cndmask_b32_e32 v2, 0, v23, vcc
	v_add_u32_e32 v2, v2, v30
	v_and_b32_e32 v2, 0xfffff, v2
	v_add_co_u32_e32 v2, vcc, v2, v30
	v_add_u32_e32 v22, 6, v27
	v_addc_co_u32_e32 v3, vcc, 0, v31, vcc
	v_cmp_ne_u32_e32 vcc, 0, v22
                                        ; implicit-def: $vgpr23
	s_and_saveexec_b64 s[20:21], vcc
	s_xor_b64 s[20:21], exec, s[20:21]
; %bb.7914:                             ;   in Loop: Header=BB6_7723 Depth=2
	v_add_u32_e32 v23, 7, v27
	v_cmp_lt_u64_e32 vcc, s[44:45], v[2:3]
	v_cndmask_b32_e32 v23, v22, v23, vcc
	v_cndmask_b32_e64 v22, 0, 1, vcc
	v_lshrrev_b64 v[2:3], v22, v[2:3]
; %bb.7915:                             ;   in Loop: Header=BB6_7723 Depth=2
	s_andn2_saveexec_b64 s[20:21], s[20:21]
; %bb.7916:                             ;   in Loop: Header=BB6_7723 Depth=2
	v_bfe_u32 v23, v2, 23, 1
; %bb.7917:                             ;   in Loop: Header=BB6_7723 Depth=2
	s_or_b64 exec, exec, s[20:21]
	v_lshrrev_b64 v[2:3], 20, v[2:3]
	v_cmp_gt_i32_e32 vcc, 16, v23
	v_cndmask_b32_e32 v3, 0, v3, vcc
	v_cndmask_b32_e32 v2, 7, v2, vcc
	v_cmp_ne_u32_e32 vcc, 0, v23
	v_cmp_ne_u64_e64 s[20:21], 0, v[2:3]
	s_or_b64 s[20:21], vcc, s[20:21]
                                        ; implicit-def: $vgpr22
	s_and_saveexec_b64 vcc, s[20:21]
	s_xor_b64 s[20:21], exec, vcc
; %bb.7918:                             ;   in Loop: Header=BB6_7723 Depth=2
	v_min_i32_e32 v3, 15, v23
	v_lshl_or_b32 v3, v3, 3, v20
	v_and_or_b32 v22, v2, 7, v3
                                        ; implicit-def: $vgpr20
; %bb.7919:                             ;   in Loop: Header=BB6_7723 Depth=2
	s_andn2_saveexec_b64 s[20:21], s[20:21]
; %bb.7920:                             ;   in Loop: Header=BB6_7723 Depth=2
	v_mov_b32_e32 v22, v20
; %bb.7921:                             ;   in Loop: Header=BB6_7723 Depth=2
	s_or_b64 exec, exec, s[20:21]
.LBB6_7922:                             ;   in Loop: Header=BB6_7723 Depth=2
	s_or_b64 exec, exec, s[58:59]
.LBB6_7923:                             ;   in Loop: Header=BB6_7723 Depth=2
	s_andn2_saveexec_b64 s[20:21], s[56:57]
	s_or_b64 exec, exec, s[20:21]
                                        ; implicit-def: $vgpr2
.LBB6_7924:                             ;   in Loop: Header=BB6_7723 Depth=2
	s_andn2_saveexec_b64 s[20:21], s[54:55]
; %bb.7925:                             ;   in Loop: Header=BB6_7723 Depth=2
	v_or_b32_sdwa v2, v2, s68 dst_sel:DWORD dst_unused:UNUSED_PAD src0_sel:BYTE_3 src1_sel:DWORD
	v_cmp_eq_u64_e32 vcc, 0, v[38:39]
	v_cndmask_b32_e32 v22, v2, v22, vcc
; %bb.7926:                             ;   in Loop: Header=BB6_7723 Depth=2
	s_or_b64 exec, exec, s[20:21]
	flat_load_ubyte v3, v[16:17] offset:576 glc slc
	v_mov_b32_e32 v20, 0
	s_waitcnt vmcnt(0) lgkmcnt(0)
	v_cmp_ne_u16_e32 vcc, 0, v3
	s_and_saveexec_b64 s[20:21], vcc
	s_cbranch_execz .LBB6_7932
; %bb.7927:                             ;   in Loop: Header=BB6_7723 Depth=2
	v_cmp_ne_u16_e32 vcc, s69, v3
	v_bfrev_b32_e32 v20, 1
	s_and_saveexec_b64 s[54:55], vcc
	s_cbranch_execz .LBB6_7931
; %bb.7928:                             ;   in Loop: Header=BB6_7723 Depth=2
	v_and_b32_e32 v2, 0xffff, v3
	v_and_b32_e32 v23, 0x7f, v2
	v_cmp_ne_u32_e32 vcc, s68, v23
	v_mov_b32_e32 v20, 0x7f800001
	s_and_saveexec_b64 s[56:57], vcc
	s_cbranch_execz .LBB6_7930
; %bb.7929:                             ;   in Loop: Header=BB6_7723 Depth=2
	v_and_b32_e32 v20, 7, v2
	v_ffbh_u32_e32 v28, v20
	v_min_u32_e32 v30, 32, v28
	v_subrev_u32_e32 v28, 28, v30
	v_lshlrev_b64 v[28:29], v28, v[2:3]
	v_lshrrev_b32_e32 v27, 3, v23
	v_sub_u32_e32 v2, 29, v30
	v_and_b32_e32 v28, 7, v28
	v_cmp_gt_u32_e32 vcc, 8, v23
	v_cndmask_b32_e32 v2, v27, v2, vcc
	v_cndmask_b32_e32 v20, v20, v28, vcc
	v_lshlrev_b32_e32 v3, 24, v3
	v_bfrev_b32_e32 v23, 60
	v_lshlrev_b32_e32 v20, 20, v20
	v_and_b32_e32 v3, 0x80000000, v3
	v_lshl_add_u32 v2, v2, 23, v23
	v_or3_b32 v20, v3, v2, v20
.LBB6_7930:                             ;   in Loop: Header=BB6_7723 Depth=2
	s_or_b64 exec, exec, s[56:57]
.LBB6_7931:                             ;   in Loop: Header=BB6_7723 Depth=2
	s_or_b64 exec, exec, s[54:55]
.LBB6_7932:                             ;   in Loop: Header=BB6_7723 Depth=2
	s_or_b64 exec, exec, s[20:21]
	v_mul_f32_e32 v2, s60, v20
	v_and_b32_sdwa v20, v2, s69 dst_sel:DWORD dst_unused:UNUSED_PAD src0_sel:BYTE_3 src1_sel:DWORD
	v_and_b32_e32 v28, 0x7f800000, v2
	v_mov_b32_e32 v29, v39
	v_and_b32_e32 v38, 0x7fffff, v2
	v_or_b32_e32 v23, 0x7e, v20
	v_cmp_ne_u64_e32 vcc, s[38:39], v[28:29]
	s_and_saveexec_b64 s[20:21], vcc
	s_xor_b64 s[54:55], exec, s[20:21]
	s_cbranch_execz .LBB6_7946
; %bb.7933:                             ;   in Loop: Header=BB6_7723 Depth=2
	v_and_b32_e32 v28, 0x7fffffff, v2
	v_mov_b32_e32 v29, v39
	v_cmp_gt_u64_e32 vcc, s[40:41], v[28:29]
	s_and_saveexec_b64 s[20:21], vcc
	s_xor_b64 s[56:57], exec, s[20:21]
	s_cbranch_execz .LBB6_7945
; %bb.7934:                             ;   in Loop: Header=BB6_7723 Depth=2
	v_cmp_ne_u32_e32 vcc, 0, v2
	v_mov_b32_e32 v23, 0
	s_and_saveexec_b64 s[58:59], vcc
	s_cbranch_execz .LBB6_7944
; %bb.7935:                             ;   in Loop: Header=BB6_7723 Depth=2
	v_bfe_u32 v2, v2, 23, 8
	v_sub_u32_e32 v23, 0x79, v2
	v_cmp_gt_u32_e32 vcc, s70, v2
	v_add_u32_e32 v3, 0xffffff81, v2
	v_cndmask_b32_e32 v23, 0, v23, vcc
	v_cmp_eq_u32_e32 vcc, 0, v2
	v_mov_b32_e32 v2, 0xffffff82
	v_cndmask_b32_e32 v28, v3, v2, vcc
	v_mov_b32_e32 v2, 0x78
	v_or_b32_e32 v27, 0x800000, v38
	v_cndmask_b32_e32 v23, v23, v2, vcc
	v_cndmask_b32_e32 v38, v27, v38, vcc
	v_add_u32_e32 v2, 20, v23
	v_lshlrev_b64 v[2:3], v2, -1
	v_add_u32_e32 v27, 19, v23
	v_lshrrev_b64 v[32:33], v23, v[38:39]
	v_not_b32_e32 v3, v3
	v_not_b32_e32 v2, v2
	v_lshlrev_b64 v[30:31], v27, 1
	v_lshrrev_b32_e32 v27, 23, v32
	v_and_b32_e32 v3, 0, v3
	v_and_b32_e32 v2, v38, v2
	v_add3_u32 v28, v23, v28, v27
	v_bfe_u32 v27, v32, 20, 1
	v_add_u32_e32 v27, -1, v27
	v_cmp_eq_u64_e32 vcc, v[2:3], v[30:31]
	v_cndmask_b32_e32 v2, 0, v27, vcc
	v_add_u32_e32 v2, v2, v32
	v_and_b32_e32 v2, 0xfffff, v2
	v_add_co_u32_e32 v2, vcc, v2, v32
	v_add_u32_e32 v23, 6, v28
	v_addc_co_u32_e32 v3, vcc, 0, v33, vcc
	v_cmp_ne_u32_e32 vcc, 0, v23
                                        ; implicit-def: $vgpr27
	s_and_saveexec_b64 s[20:21], vcc
	s_xor_b64 s[20:21], exec, s[20:21]
; %bb.7936:                             ;   in Loop: Header=BB6_7723 Depth=2
	v_add_u32_e32 v27, 7, v28
	v_cmp_lt_u64_e32 vcc, s[44:45], v[2:3]
	v_cndmask_b32_e32 v27, v23, v27, vcc
	v_cndmask_b32_e64 v23, 0, 1, vcc
	v_lshrrev_b64 v[2:3], v23, v[2:3]
; %bb.7937:                             ;   in Loop: Header=BB6_7723 Depth=2
	s_andn2_saveexec_b64 s[20:21], s[20:21]
; %bb.7938:                             ;   in Loop: Header=BB6_7723 Depth=2
	v_bfe_u32 v27, v2, 23, 1
; %bb.7939:                             ;   in Loop: Header=BB6_7723 Depth=2
	s_or_b64 exec, exec, s[20:21]
	v_lshrrev_b64 v[2:3], 20, v[2:3]
	v_cmp_gt_i32_e32 vcc, 16, v27
	v_cndmask_b32_e32 v3, 0, v3, vcc
	v_cndmask_b32_e32 v2, 7, v2, vcc
	v_cmp_ne_u32_e32 vcc, 0, v27
	v_cmp_ne_u64_e64 s[20:21], 0, v[2:3]
	s_or_b64 s[20:21], vcc, s[20:21]
                                        ; implicit-def: $vgpr23
	s_and_saveexec_b64 vcc, s[20:21]
	s_xor_b64 s[20:21], exec, vcc
; %bb.7940:                             ;   in Loop: Header=BB6_7723 Depth=2
	v_min_i32_e32 v3, 15, v27
	v_lshl_or_b32 v3, v3, 3, v20
	v_and_or_b32 v23, v2, 7, v3
                                        ; implicit-def: $vgpr20
; %bb.7941:                             ;   in Loop: Header=BB6_7723 Depth=2
	s_andn2_saveexec_b64 s[20:21], s[20:21]
; %bb.7942:                             ;   in Loop: Header=BB6_7723 Depth=2
	v_mov_b32_e32 v23, v20
; %bb.7943:                             ;   in Loop: Header=BB6_7723 Depth=2
	s_or_b64 exec, exec, s[20:21]
.LBB6_7944:                             ;   in Loop: Header=BB6_7723 Depth=2
	s_or_b64 exec, exec, s[58:59]
.LBB6_7945:                             ;   in Loop: Header=BB6_7723 Depth=2
	s_andn2_saveexec_b64 s[20:21], s[56:57]
	s_or_b64 exec, exec, s[20:21]
                                        ; implicit-def: $vgpr2
.LBB6_7946:                             ;   in Loop: Header=BB6_7723 Depth=2
	s_andn2_saveexec_b64 s[20:21], s[54:55]
; %bb.7947:                             ;   in Loop: Header=BB6_7723 Depth=2
	v_or_b32_sdwa v2, v2, s68 dst_sel:DWORD dst_unused:UNUSED_PAD src0_sel:BYTE_3 src1_sel:DWORD
	v_cmp_eq_u64_e32 vcc, 0, v[38:39]
	v_cndmask_b32_e32 v23, v2, v23, vcc
; %bb.7948:                             ;   in Loop: Header=BB6_7723 Depth=2
	s_or_b64 exec, exec, s[20:21]
	flat_load_ubyte v3, v[16:17] offset:640 glc slc
	v_mov_b32_e32 v20, 0
	s_waitcnt vmcnt(0) lgkmcnt(0)
	v_cmp_ne_u16_e32 vcc, 0, v3
	s_and_saveexec_b64 s[20:21], vcc
	s_cbranch_execz .LBB6_7954
; %bb.7949:                             ;   in Loop: Header=BB6_7723 Depth=2
	v_cmp_ne_u16_e32 vcc, s69, v3
	v_bfrev_b32_e32 v20, 1
	s_and_saveexec_b64 s[54:55], vcc
	s_cbranch_execz .LBB6_7953
; %bb.7950:                             ;   in Loop: Header=BB6_7723 Depth=2
	v_and_b32_e32 v2, 0xffff, v3
	v_and_b32_e32 v27, 0x7f, v2
	v_cmp_ne_u32_e32 vcc, s68, v27
	v_mov_b32_e32 v20, 0x7f800001
	s_and_saveexec_b64 s[56:57], vcc
	s_cbranch_execz .LBB6_7952
; %bb.7951:                             ;   in Loop: Header=BB6_7723 Depth=2
	v_and_b32_e32 v20, 7, v2
	v_ffbh_u32_e32 v28, v20
	v_min_u32_e32 v31, 32, v28
	v_subrev_u32_e32 v28, 28, v31
	v_lshlrev_b64 v[28:29], v28, v[2:3]
	v_lshrrev_b32_e32 v30, 3, v27
	v_sub_u32_e32 v2, 29, v31
	v_and_b32_e32 v28, 7, v28
	v_cmp_gt_u32_e32 vcc, 8, v27
	v_cndmask_b32_e32 v2, v30, v2, vcc
	v_cndmask_b32_e32 v20, v20, v28, vcc
	v_lshlrev_b32_e32 v3, 24, v3
	v_bfrev_b32_e32 v27, 60
	v_lshlrev_b32_e32 v20, 20, v20
	v_and_b32_e32 v3, 0x80000000, v3
	v_lshl_add_u32 v2, v2, 23, v27
	v_or3_b32 v20, v3, v2, v20
.LBB6_7952:                             ;   in Loop: Header=BB6_7723 Depth=2
	s_or_b64 exec, exec, s[56:57]
.LBB6_7953:                             ;   in Loop: Header=BB6_7723 Depth=2
	s_or_b64 exec, exec, s[54:55]
.LBB6_7954:                             ;   in Loop: Header=BB6_7723 Depth=2
	s_or_b64 exec, exec, s[20:21]
	v_mul_f32_e32 v2, s60, v20
	v_and_b32_sdwa v20, v2, s69 dst_sel:DWORD dst_unused:UNUSED_PAD src0_sel:BYTE_3 src1_sel:DWORD
	v_and_b32_e32 v28, 0x7f800000, v2
	v_mov_b32_e32 v29, v39
	v_and_b32_e32 v38, 0x7fffff, v2
	v_or_b32_e32 v27, 0x7e, v20
	v_cmp_ne_u64_e32 vcc, s[38:39], v[28:29]
	s_and_saveexec_b64 s[20:21], vcc
	s_xor_b64 s[54:55], exec, s[20:21]
	s_cbranch_execz .LBB6_7968
; %bb.7955:                             ;   in Loop: Header=BB6_7723 Depth=2
	v_and_b32_e32 v28, 0x7fffffff, v2
	v_mov_b32_e32 v29, v39
	v_cmp_gt_u64_e32 vcc, s[40:41], v[28:29]
	s_and_saveexec_b64 s[20:21], vcc
	s_xor_b64 s[56:57], exec, s[20:21]
	s_cbranch_execz .LBB6_7967
; %bb.7956:                             ;   in Loop: Header=BB6_7723 Depth=2
	v_cmp_ne_u32_e32 vcc, 0, v2
	v_mov_b32_e32 v27, 0
	s_and_saveexec_b64 s[58:59], vcc
	s_cbranch_execz .LBB6_7966
; %bb.7957:                             ;   in Loop: Header=BB6_7723 Depth=2
	v_bfe_u32 v2, v2, 23, 8
	v_sub_u32_e32 v27, 0x79, v2
	v_cmp_gt_u32_e32 vcc, s70, v2
	v_add_u32_e32 v3, 0xffffff81, v2
	v_cndmask_b32_e32 v27, 0, v27, vcc
	v_cmp_eq_u32_e32 vcc, 0, v2
	v_mov_b32_e32 v2, 0xffffff82
	v_cndmask_b32_e32 v29, v3, v2, vcc
	v_mov_b32_e32 v2, 0x78
	v_or_b32_e32 v28, 0x800000, v38
	v_cndmask_b32_e32 v27, v27, v2, vcc
	v_cndmask_b32_e32 v38, v28, v38, vcc
	v_add_u32_e32 v2, 20, v27
	v_lshlrev_b64 v[2:3], v2, -1
	v_add_u32_e32 v28, 19, v27
	v_lshrrev_b64 v[32:33], v27, v[38:39]
	v_not_b32_e32 v3, v3
	v_not_b32_e32 v2, v2
	v_lshlrev_b64 v[30:31], v28, 1
	v_lshrrev_b32_e32 v28, 23, v32
	v_and_b32_e32 v3, 0, v3
	v_and_b32_e32 v2, v38, v2
	v_add3_u32 v29, v27, v29, v28
	v_bfe_u32 v28, v32, 20, 1
	v_add_u32_e32 v28, -1, v28
	v_cmp_eq_u64_e32 vcc, v[2:3], v[30:31]
	v_cndmask_b32_e32 v2, 0, v28, vcc
	v_add_u32_e32 v2, v2, v32
	v_and_b32_e32 v2, 0xfffff, v2
	v_add_co_u32_e32 v2, vcc, v2, v32
	v_add_u32_e32 v27, 6, v29
	v_addc_co_u32_e32 v3, vcc, 0, v33, vcc
	v_cmp_ne_u32_e32 vcc, 0, v27
                                        ; implicit-def: $vgpr28
	s_and_saveexec_b64 s[20:21], vcc
	s_xor_b64 s[20:21], exec, s[20:21]
; %bb.7958:                             ;   in Loop: Header=BB6_7723 Depth=2
	v_add_u32_e32 v28, 7, v29
	v_cmp_lt_u64_e32 vcc, s[44:45], v[2:3]
	v_cndmask_b32_e32 v28, v27, v28, vcc
	v_cndmask_b32_e64 v27, 0, 1, vcc
	v_lshrrev_b64 v[2:3], v27, v[2:3]
; %bb.7959:                             ;   in Loop: Header=BB6_7723 Depth=2
	s_andn2_saveexec_b64 s[20:21], s[20:21]
; %bb.7960:                             ;   in Loop: Header=BB6_7723 Depth=2
	v_bfe_u32 v28, v2, 23, 1
; %bb.7961:                             ;   in Loop: Header=BB6_7723 Depth=2
	s_or_b64 exec, exec, s[20:21]
	v_lshrrev_b64 v[2:3], 20, v[2:3]
	v_cmp_gt_i32_e32 vcc, 16, v28
	v_cndmask_b32_e32 v3, 0, v3, vcc
	v_cndmask_b32_e32 v2, 7, v2, vcc
	v_cmp_ne_u32_e32 vcc, 0, v28
	v_cmp_ne_u64_e64 s[20:21], 0, v[2:3]
	s_or_b64 s[20:21], vcc, s[20:21]
                                        ; implicit-def: $vgpr27
	s_and_saveexec_b64 vcc, s[20:21]
	s_xor_b64 s[20:21], exec, vcc
; %bb.7962:                             ;   in Loop: Header=BB6_7723 Depth=2
	v_min_i32_e32 v3, 15, v28
	v_lshl_or_b32 v3, v3, 3, v20
	v_and_or_b32 v27, v2, 7, v3
                                        ; implicit-def: $vgpr20
; %bb.7963:                             ;   in Loop: Header=BB6_7723 Depth=2
	s_andn2_saveexec_b64 s[20:21], s[20:21]
; %bb.7964:                             ;   in Loop: Header=BB6_7723 Depth=2
	v_mov_b32_e32 v27, v20
; %bb.7965:                             ;   in Loop: Header=BB6_7723 Depth=2
	s_or_b64 exec, exec, s[20:21]
.LBB6_7966:                             ;   in Loop: Header=BB6_7723 Depth=2
	s_or_b64 exec, exec, s[58:59]
.LBB6_7967:                             ;   in Loop: Header=BB6_7723 Depth=2
	s_andn2_saveexec_b64 s[20:21], s[56:57]
	s_or_b64 exec, exec, s[20:21]
                                        ; implicit-def: $vgpr2
.LBB6_7968:                             ;   in Loop: Header=BB6_7723 Depth=2
	s_andn2_saveexec_b64 s[20:21], s[54:55]
; %bb.7969:                             ;   in Loop: Header=BB6_7723 Depth=2
	v_or_b32_sdwa v2, v2, s68 dst_sel:DWORD dst_unused:UNUSED_PAD src0_sel:BYTE_3 src1_sel:DWORD
	v_cmp_eq_u64_e32 vcc, 0, v[38:39]
	v_cndmask_b32_e32 v27, v2, v27, vcc
; %bb.7970:                             ;   in Loop: Header=BB6_7723 Depth=2
	s_or_b64 exec, exec, s[20:21]
	flat_load_ubyte v3, v[16:17] offset:704 glc slc
	v_mov_b32_e32 v20, 0
	s_waitcnt vmcnt(0) lgkmcnt(0)
	v_cmp_ne_u16_e32 vcc, 0, v3
	s_and_saveexec_b64 s[20:21], vcc
	s_cbranch_execz .LBB6_7976
; %bb.7971:                             ;   in Loop: Header=BB6_7723 Depth=2
	v_cmp_ne_u16_e32 vcc, s69, v3
	v_bfrev_b32_e32 v20, 1
	s_and_saveexec_b64 s[54:55], vcc
	s_cbranch_execz .LBB6_7975
; %bb.7972:                             ;   in Loop: Header=BB6_7723 Depth=2
	v_and_b32_e32 v2, 0xffff, v3
	v_and_b32_e32 v28, 0x7f, v2
	v_cmp_ne_u32_e32 vcc, s68, v28
	v_mov_b32_e32 v20, 0x7f800001
	s_and_saveexec_b64 s[56:57], vcc
	s_cbranch_execz .LBB6_7974
; %bb.7973:                             ;   in Loop: Header=BB6_7723 Depth=2
	v_and_b32_e32 v20, 7, v2
	v_ffbh_u32_e32 v30, v20
	v_min_u32_e32 v32, 32, v30
	v_subrev_u32_e32 v30, 28, v32
	v_lshlrev_b64 v[30:31], v30, v[2:3]
	v_lshrrev_b32_e32 v29, 3, v28
	v_sub_u32_e32 v2, 29, v32
	v_and_b32_e32 v30, 7, v30
	v_cmp_gt_u32_e32 vcc, 8, v28
	v_cndmask_b32_e32 v2, v29, v2, vcc
	v_cndmask_b32_e32 v20, v20, v30, vcc
	v_lshlrev_b32_e32 v3, 24, v3
	v_bfrev_b32_e32 v28, 60
	v_lshlrev_b32_e32 v20, 20, v20
	v_and_b32_e32 v3, 0x80000000, v3
	v_lshl_add_u32 v2, v2, 23, v28
	v_or3_b32 v20, v3, v2, v20
.LBB6_7974:                             ;   in Loop: Header=BB6_7723 Depth=2
	s_or_b64 exec, exec, s[56:57]
.LBB6_7975:                             ;   in Loop: Header=BB6_7723 Depth=2
	s_or_b64 exec, exec, s[54:55]
.LBB6_7976:                             ;   in Loop: Header=BB6_7723 Depth=2
	s_or_b64 exec, exec, s[20:21]
	v_mul_f32_e32 v2, s60, v20
	v_and_b32_sdwa v20, v2, s69 dst_sel:DWORD dst_unused:UNUSED_PAD src0_sel:BYTE_3 src1_sel:DWORD
	v_and_b32_e32 v28, 0x7f800000, v2
	v_mov_b32_e32 v29, v39
	v_and_b32_e32 v38, 0x7fffff, v2
	v_or_b32_e32 v30, 0x7e, v20
	v_cmp_ne_u64_e32 vcc, s[38:39], v[28:29]
	s_and_saveexec_b64 s[20:21], vcc
	s_xor_b64 s[54:55], exec, s[20:21]
	s_cbranch_execz .LBB6_7990
; %bb.7977:                             ;   in Loop: Header=BB6_7723 Depth=2
	v_and_b32_e32 v28, 0x7fffffff, v2
	v_mov_b32_e32 v29, v39
	v_cmp_gt_u64_e32 vcc, s[40:41], v[28:29]
	s_and_saveexec_b64 s[20:21], vcc
	s_xor_b64 s[56:57], exec, s[20:21]
	s_cbranch_execz .LBB6_7989
; %bb.7978:                             ;   in Loop: Header=BB6_7723 Depth=2
	v_cmp_ne_u32_e32 vcc, 0, v2
	v_mov_b32_e32 v30, 0
	s_and_saveexec_b64 s[58:59], vcc
	s_cbranch_execz .LBB6_7988
; %bb.7979:                             ;   in Loop: Header=BB6_7723 Depth=2
	v_bfe_u32 v2, v2, 23, 8
	v_sub_u32_e32 v28, 0x79, v2
	v_cmp_gt_u32_e32 vcc, s70, v2
	v_add_u32_e32 v3, 0xffffff81, v2
	v_cndmask_b32_e32 v28, 0, v28, vcc
	v_cmp_eq_u32_e32 vcc, 0, v2
	v_mov_b32_e32 v2, 0xffffff82
	v_cndmask_b32_e32 v30, v3, v2, vcc
	v_mov_b32_e32 v2, 0x78
	v_or_b32_e32 v29, 0x800000, v38
	v_cndmask_b32_e32 v28, v28, v2, vcc
	v_cndmask_b32_e32 v38, v29, v38, vcc
	v_add_u32_e32 v2, 20, v28
	v_lshlrev_b64 v[2:3], v2, -1
	v_add_u32_e32 v29, 19, v28
	v_lshrrev_b64 v[34:35], v28, v[38:39]
	v_not_b32_e32 v3, v3
	v_not_b32_e32 v2, v2
	v_lshlrev_b64 v[32:33], v29, 1
	v_lshrrev_b32_e32 v29, 23, v34
	v_and_b32_e32 v3, 0, v3
	v_and_b32_e32 v2, v38, v2
	v_add3_u32 v30, v28, v30, v29
	v_bfe_u32 v28, v34, 20, 1
	v_add_u32_e32 v28, -1, v28
	v_cmp_eq_u64_e32 vcc, v[2:3], v[32:33]
	v_cndmask_b32_e32 v2, 0, v28, vcc
	v_add_u32_e32 v2, v2, v34
	v_and_b32_e32 v2, 0xfffff, v2
	v_add_co_u32_e32 v2, vcc, v2, v34
	v_add_u32_e32 v29, 6, v30
	v_addc_co_u32_e32 v3, vcc, 0, v35, vcc
	v_cmp_ne_u32_e32 vcc, 0, v29
                                        ; implicit-def: $vgpr28
	s_and_saveexec_b64 s[20:21], vcc
	s_xor_b64 s[20:21], exec, s[20:21]
; %bb.7980:                             ;   in Loop: Header=BB6_7723 Depth=2
	v_add_u32_e32 v28, 7, v30
	v_cmp_lt_u64_e32 vcc, s[44:45], v[2:3]
	v_cndmask_b32_e32 v28, v29, v28, vcc
	v_cndmask_b32_e64 v29, 0, 1, vcc
	v_lshrrev_b64 v[2:3], v29, v[2:3]
; %bb.7981:                             ;   in Loop: Header=BB6_7723 Depth=2
	s_andn2_saveexec_b64 s[20:21], s[20:21]
; %bb.7982:                             ;   in Loop: Header=BB6_7723 Depth=2
	v_bfe_u32 v28, v2, 23, 1
; %bb.7983:                             ;   in Loop: Header=BB6_7723 Depth=2
	s_or_b64 exec, exec, s[20:21]
	v_lshrrev_b64 v[2:3], 20, v[2:3]
	v_cmp_gt_i32_e32 vcc, 16, v28
	v_cndmask_b32_e32 v3, 0, v3, vcc
	v_cndmask_b32_e32 v2, 7, v2, vcc
	v_cmp_ne_u32_e32 vcc, 0, v28
	v_cmp_ne_u64_e64 s[20:21], 0, v[2:3]
	s_or_b64 s[20:21], vcc, s[20:21]
                                        ; implicit-def: $vgpr30
	s_and_saveexec_b64 vcc, s[20:21]
	s_xor_b64 s[20:21], exec, vcc
; %bb.7984:                             ;   in Loop: Header=BB6_7723 Depth=2
	v_min_i32_e32 v3, 15, v28
	v_lshl_or_b32 v3, v3, 3, v20
	v_and_or_b32 v30, v2, 7, v3
                                        ; implicit-def: $vgpr20
; %bb.7985:                             ;   in Loop: Header=BB6_7723 Depth=2
	s_andn2_saveexec_b64 s[20:21], s[20:21]
; %bb.7986:                             ;   in Loop: Header=BB6_7723 Depth=2
	v_mov_b32_e32 v30, v20
; %bb.7987:                             ;   in Loop: Header=BB6_7723 Depth=2
	s_or_b64 exec, exec, s[20:21]
.LBB6_7988:                             ;   in Loop: Header=BB6_7723 Depth=2
	s_or_b64 exec, exec, s[58:59]
.LBB6_7989:                             ;   in Loop: Header=BB6_7723 Depth=2
	s_andn2_saveexec_b64 s[20:21], s[56:57]
	s_or_b64 exec, exec, s[20:21]
                                        ; implicit-def: $vgpr2
.LBB6_7990:                             ;   in Loop: Header=BB6_7723 Depth=2
	s_andn2_saveexec_b64 s[20:21], s[54:55]
; %bb.7991:                             ;   in Loop: Header=BB6_7723 Depth=2
	v_or_b32_sdwa v2, v2, s68 dst_sel:DWORD dst_unused:UNUSED_PAD src0_sel:BYTE_3 src1_sel:DWORD
	v_cmp_eq_u64_e32 vcc, 0, v[38:39]
	v_cndmask_b32_e32 v30, v2, v30, vcc
; %bb.7992:                             ;   in Loop: Header=BB6_7723 Depth=2
	s_or_b64 exec, exec, s[20:21]
	flat_load_ubyte v3, v[16:17] offset:768 glc slc
	v_mov_b32_e32 v20, 0
	s_waitcnt vmcnt(0) lgkmcnt(0)
	v_cmp_ne_u16_e32 vcc, 0, v3
	s_and_saveexec_b64 s[20:21], vcc
	s_cbranch_execz .LBB6_7998
; %bb.7993:                             ;   in Loop: Header=BB6_7723 Depth=2
	v_cmp_ne_u16_e32 vcc, s69, v3
	v_bfrev_b32_e32 v20, 1
	s_and_saveexec_b64 s[54:55], vcc
	s_cbranch_execz .LBB6_7997
; %bb.7994:                             ;   in Loop: Header=BB6_7723 Depth=2
	v_and_b32_e32 v2, 0xffff, v3
	v_and_b32_e32 v28, 0x7f, v2
	v_cmp_ne_u32_e32 vcc, s68, v28
	v_mov_b32_e32 v20, 0x7f800001
	s_and_saveexec_b64 s[56:57], vcc
	s_cbranch_execz .LBB6_7996
; %bb.7995:                             ;   in Loop: Header=BB6_7723 Depth=2
	v_and_b32_e32 v20, 7, v2
	v_ffbh_u32_e32 v31, v20
	v_min_u32_e32 v31, 32, v31
	v_subrev_u32_e32 v32, 28, v31
	v_lshlrev_b64 v[32:33], v32, v[2:3]
	v_lshrrev_b32_e32 v29, 3, v28
	v_sub_u32_e32 v2, 29, v31
	v_and_b32_e32 v31, 7, v32
	v_cmp_gt_u32_e32 vcc, 8, v28
	v_cndmask_b32_e32 v2, v29, v2, vcc
	v_cndmask_b32_e32 v20, v20, v31, vcc
	v_lshlrev_b32_e32 v3, 24, v3
	v_bfrev_b32_e32 v28, 60
	v_lshlrev_b32_e32 v20, 20, v20
	v_and_b32_e32 v3, 0x80000000, v3
	v_lshl_add_u32 v2, v2, 23, v28
	v_or3_b32 v20, v3, v2, v20
.LBB6_7996:                             ;   in Loop: Header=BB6_7723 Depth=2
	s_or_b64 exec, exec, s[56:57]
.LBB6_7997:                             ;   in Loop: Header=BB6_7723 Depth=2
	s_or_b64 exec, exec, s[54:55]
.LBB6_7998:                             ;   in Loop: Header=BB6_7723 Depth=2
	s_or_b64 exec, exec, s[20:21]
	v_mul_f32_e32 v2, s60, v20
	v_and_b32_sdwa v20, v2, s69 dst_sel:DWORD dst_unused:UNUSED_PAD src0_sel:BYTE_3 src1_sel:DWORD
	v_and_b32_e32 v28, 0x7f800000, v2
	v_mov_b32_e32 v29, v39
	v_and_b32_e32 v38, 0x7fffff, v2
	v_or_b32_e32 v31, 0x7e, v20
	v_cmp_ne_u64_e32 vcc, s[38:39], v[28:29]
	s_and_saveexec_b64 s[20:21], vcc
	s_xor_b64 s[54:55], exec, s[20:21]
	s_cbranch_execz .LBB6_8012
; %bb.7999:                             ;   in Loop: Header=BB6_7723 Depth=2
	v_and_b32_e32 v28, 0x7fffffff, v2
	v_mov_b32_e32 v29, v39
	v_cmp_gt_u64_e32 vcc, s[40:41], v[28:29]
	s_and_saveexec_b64 s[20:21], vcc
	s_xor_b64 s[56:57], exec, s[20:21]
	s_cbranch_execz .LBB6_8011
; %bb.8000:                             ;   in Loop: Header=BB6_7723 Depth=2
	v_cmp_ne_u32_e32 vcc, 0, v2
	v_mov_b32_e32 v31, 0
	s_and_saveexec_b64 s[58:59], vcc
	s_cbranch_execz .LBB6_8010
; %bb.8001:                             ;   in Loop: Header=BB6_7723 Depth=2
	v_bfe_u32 v2, v2, 23, 8
	v_sub_u32_e32 v28, 0x79, v2
	v_cmp_gt_u32_e32 vcc, s70, v2
	v_add_u32_e32 v3, 0xffffff81, v2
	v_cndmask_b32_e32 v28, 0, v28, vcc
	v_cmp_eq_u32_e32 vcc, 0, v2
	v_mov_b32_e32 v2, 0xffffff82
	v_cndmask_b32_e32 v31, v3, v2, vcc
	v_mov_b32_e32 v2, 0x78
	v_or_b32_e32 v29, 0x800000, v38
	v_cndmask_b32_e32 v28, v28, v2, vcc
	v_cndmask_b32_e32 v38, v29, v38, vcc
	v_add_u32_e32 v2, 20, v28
	v_lshlrev_b64 v[2:3], v2, -1
	v_add_u32_e32 v29, 19, v28
	v_lshrrev_b64 v[34:35], v28, v[38:39]
	v_not_b32_e32 v3, v3
	v_not_b32_e32 v2, v2
	v_lshlrev_b64 v[32:33], v29, 1
	v_lshrrev_b32_e32 v29, 23, v34
	v_and_b32_e32 v3, 0, v3
	v_and_b32_e32 v2, v38, v2
	v_add3_u32 v31, v28, v31, v29
	v_bfe_u32 v28, v34, 20, 1
	v_add_u32_e32 v28, -1, v28
	v_cmp_eq_u64_e32 vcc, v[2:3], v[32:33]
	v_cndmask_b32_e32 v2, 0, v28, vcc
	v_add_u32_e32 v2, v2, v34
	v_and_b32_e32 v2, 0xfffff, v2
	v_add_co_u32_e32 v2, vcc, v2, v34
	v_add_u32_e32 v29, 6, v31
	v_addc_co_u32_e32 v3, vcc, 0, v35, vcc
	v_cmp_ne_u32_e32 vcc, 0, v29
                                        ; implicit-def: $vgpr28
	s_and_saveexec_b64 s[20:21], vcc
	s_xor_b64 s[20:21], exec, s[20:21]
; %bb.8002:                             ;   in Loop: Header=BB6_7723 Depth=2
	v_add_u32_e32 v28, 7, v31
	v_cmp_lt_u64_e32 vcc, s[44:45], v[2:3]
	v_cndmask_b32_e32 v28, v29, v28, vcc
	v_cndmask_b32_e64 v29, 0, 1, vcc
	v_lshrrev_b64 v[2:3], v29, v[2:3]
; %bb.8003:                             ;   in Loop: Header=BB6_7723 Depth=2
	s_andn2_saveexec_b64 s[20:21], s[20:21]
; %bb.8004:                             ;   in Loop: Header=BB6_7723 Depth=2
	v_bfe_u32 v28, v2, 23, 1
; %bb.8005:                             ;   in Loop: Header=BB6_7723 Depth=2
	s_or_b64 exec, exec, s[20:21]
	v_lshrrev_b64 v[2:3], 20, v[2:3]
	v_cmp_gt_i32_e32 vcc, 16, v28
	v_cndmask_b32_e32 v3, 0, v3, vcc
	v_cndmask_b32_e32 v2, 7, v2, vcc
	v_cmp_ne_u32_e32 vcc, 0, v28
	v_cmp_ne_u64_e64 s[20:21], 0, v[2:3]
	s_or_b64 s[20:21], vcc, s[20:21]
                                        ; implicit-def: $vgpr31
	s_and_saveexec_b64 vcc, s[20:21]
	s_xor_b64 s[20:21], exec, vcc
; %bb.8006:                             ;   in Loop: Header=BB6_7723 Depth=2
	v_min_i32_e32 v3, 15, v28
	v_lshl_or_b32 v3, v3, 3, v20
	v_and_or_b32 v31, v2, 7, v3
                                        ; implicit-def: $vgpr20
; %bb.8007:                             ;   in Loop: Header=BB6_7723 Depth=2
	s_andn2_saveexec_b64 s[20:21], s[20:21]
; %bb.8008:                             ;   in Loop: Header=BB6_7723 Depth=2
	v_mov_b32_e32 v31, v20
; %bb.8009:                             ;   in Loop: Header=BB6_7723 Depth=2
	s_or_b64 exec, exec, s[20:21]
.LBB6_8010:                             ;   in Loop: Header=BB6_7723 Depth=2
	s_or_b64 exec, exec, s[58:59]
.LBB6_8011:                             ;   in Loop: Header=BB6_7723 Depth=2
	s_andn2_saveexec_b64 s[20:21], s[56:57]
	s_or_b64 exec, exec, s[20:21]
                                        ; implicit-def: $vgpr2
.LBB6_8012:                             ;   in Loop: Header=BB6_7723 Depth=2
	s_andn2_saveexec_b64 s[20:21], s[54:55]
; %bb.8013:                             ;   in Loop: Header=BB6_7723 Depth=2
	v_or_b32_sdwa v2, v2, s68 dst_sel:DWORD dst_unused:UNUSED_PAD src0_sel:BYTE_3 src1_sel:DWORD
	v_cmp_eq_u64_e32 vcc, 0, v[38:39]
	v_cndmask_b32_e32 v31, v2, v31, vcc
; %bb.8014:                             ;   in Loop: Header=BB6_7723 Depth=2
	s_or_b64 exec, exec, s[20:21]
	flat_load_ubyte v3, v[16:17] offset:832 glc slc
	v_mov_b32_e32 v20, 0
	s_waitcnt vmcnt(0) lgkmcnt(0)
	v_cmp_ne_u16_e32 vcc, 0, v3
	s_and_saveexec_b64 s[20:21], vcc
	s_cbranch_execz .LBB6_8020
; %bb.8015:                             ;   in Loop: Header=BB6_7723 Depth=2
	v_cmp_ne_u16_e32 vcc, s69, v3
	v_bfrev_b32_e32 v20, 1
	s_and_saveexec_b64 s[54:55], vcc
	s_cbranch_execz .LBB6_8019
; %bb.8016:                             ;   in Loop: Header=BB6_7723 Depth=2
	v_and_b32_e32 v2, 0xffff, v3
	v_and_b32_e32 v28, 0x7f, v2
	v_cmp_ne_u32_e32 vcc, s68, v28
	v_mov_b32_e32 v20, 0x7f800001
	s_and_saveexec_b64 s[56:57], vcc
	s_cbranch_execz .LBB6_8018
; %bb.8017:                             ;   in Loop: Header=BB6_7723 Depth=2
	v_and_b32_e32 v20, 7, v2
	v_ffbh_u32_e32 v32, v20
	v_min_u32_e32 v34, 32, v32
	v_subrev_u32_e32 v32, 28, v34
	v_lshlrev_b64 v[32:33], v32, v[2:3]
	v_lshrrev_b32_e32 v29, 3, v28
	v_sub_u32_e32 v2, 29, v34
	v_and_b32_e32 v32, 7, v32
	v_cmp_gt_u32_e32 vcc, 8, v28
	v_cndmask_b32_e32 v2, v29, v2, vcc
	v_cndmask_b32_e32 v20, v20, v32, vcc
	v_lshlrev_b32_e32 v3, 24, v3
	v_bfrev_b32_e32 v28, 60
	v_lshlrev_b32_e32 v20, 20, v20
	v_and_b32_e32 v3, 0x80000000, v3
	v_lshl_add_u32 v2, v2, 23, v28
	v_or3_b32 v20, v3, v2, v20
.LBB6_8018:                             ;   in Loop: Header=BB6_7723 Depth=2
	s_or_b64 exec, exec, s[56:57]
.LBB6_8019:                             ;   in Loop: Header=BB6_7723 Depth=2
	s_or_b64 exec, exec, s[54:55]
.LBB6_8020:                             ;   in Loop: Header=BB6_7723 Depth=2
	s_or_b64 exec, exec, s[20:21]
	v_mul_f32_e32 v2, s60, v20
	v_and_b32_sdwa v20, v2, s69 dst_sel:DWORD dst_unused:UNUSED_PAD src0_sel:BYTE_3 src1_sel:DWORD
	v_and_b32_e32 v28, 0x7f800000, v2
	v_mov_b32_e32 v29, v39
	v_and_b32_e32 v38, 0x7fffff, v2
	v_or_b32_e32 v32, 0x7e, v20
	v_cmp_ne_u64_e32 vcc, s[38:39], v[28:29]
	s_and_saveexec_b64 s[20:21], vcc
	s_xor_b64 s[54:55], exec, s[20:21]
	s_cbranch_execz .LBB6_8034
; %bb.8021:                             ;   in Loop: Header=BB6_7723 Depth=2
	v_and_b32_e32 v28, 0x7fffffff, v2
	v_mov_b32_e32 v29, v39
	v_cmp_gt_u64_e32 vcc, s[40:41], v[28:29]
	s_and_saveexec_b64 s[20:21], vcc
	s_xor_b64 s[56:57], exec, s[20:21]
	s_cbranch_execz .LBB6_8033
; %bb.8022:                             ;   in Loop: Header=BB6_7723 Depth=2
	v_cmp_ne_u32_e32 vcc, 0, v2
	v_mov_b32_e32 v32, 0
	s_and_saveexec_b64 s[58:59], vcc
	s_cbranch_execz .LBB6_8032
; %bb.8023:                             ;   in Loop: Header=BB6_7723 Depth=2
	v_bfe_u32 v2, v2, 23, 8
	v_sub_u32_e32 v28, 0x79, v2
	v_cmp_gt_u32_e32 vcc, s70, v2
	v_add_u32_e32 v3, 0xffffff81, v2
	v_cndmask_b32_e32 v28, 0, v28, vcc
	v_cmp_eq_u32_e32 vcc, 0, v2
	v_mov_b32_e32 v2, 0xffffff82
	v_cndmask_b32_e32 v32, v3, v2, vcc
	v_mov_b32_e32 v2, 0x78
	v_or_b32_e32 v29, 0x800000, v38
	v_cndmask_b32_e32 v28, v28, v2, vcc
	v_cndmask_b32_e32 v38, v29, v38, vcc
	v_add_u32_e32 v2, 20, v28
	v_lshlrev_b64 v[2:3], v2, -1
	v_add_u32_e32 v29, 19, v28
	v_lshrrev_b64 v[36:37], v28, v[38:39]
	v_not_b32_e32 v3, v3
	v_not_b32_e32 v2, v2
	v_lshlrev_b64 v[34:35], v29, 1
	v_lshrrev_b32_e32 v29, 23, v36
	v_and_b32_e32 v3, 0, v3
	v_and_b32_e32 v2, v38, v2
	v_add3_u32 v32, v28, v32, v29
	v_bfe_u32 v28, v36, 20, 1
	v_add_u32_e32 v28, -1, v28
	v_cmp_eq_u64_e32 vcc, v[2:3], v[34:35]
	v_cndmask_b32_e32 v2, 0, v28, vcc
	v_add_u32_e32 v2, v2, v36
	v_and_b32_e32 v2, 0xfffff, v2
	v_add_co_u32_e32 v2, vcc, v2, v36
	v_add_u32_e32 v29, 6, v32
	v_addc_co_u32_e32 v3, vcc, 0, v37, vcc
	v_cmp_ne_u32_e32 vcc, 0, v29
                                        ; implicit-def: $vgpr28
	s_and_saveexec_b64 s[20:21], vcc
	s_xor_b64 s[20:21], exec, s[20:21]
; %bb.8024:                             ;   in Loop: Header=BB6_7723 Depth=2
	v_add_u32_e32 v28, 7, v32
	v_cmp_lt_u64_e32 vcc, s[44:45], v[2:3]
	v_cndmask_b32_e32 v28, v29, v28, vcc
	v_cndmask_b32_e64 v29, 0, 1, vcc
	v_lshrrev_b64 v[2:3], v29, v[2:3]
; %bb.8025:                             ;   in Loop: Header=BB6_7723 Depth=2
	s_andn2_saveexec_b64 s[20:21], s[20:21]
; %bb.8026:                             ;   in Loop: Header=BB6_7723 Depth=2
	v_bfe_u32 v28, v2, 23, 1
; %bb.8027:                             ;   in Loop: Header=BB6_7723 Depth=2
	s_or_b64 exec, exec, s[20:21]
	v_lshrrev_b64 v[2:3], 20, v[2:3]
	v_cmp_gt_i32_e32 vcc, 16, v28
	v_cndmask_b32_e32 v3, 0, v3, vcc
	v_cndmask_b32_e32 v2, 7, v2, vcc
	v_cmp_ne_u32_e32 vcc, 0, v28
	v_cmp_ne_u64_e64 s[20:21], 0, v[2:3]
	s_or_b64 s[20:21], vcc, s[20:21]
                                        ; implicit-def: $vgpr32
	s_and_saveexec_b64 vcc, s[20:21]
	s_xor_b64 s[20:21], exec, vcc
; %bb.8028:                             ;   in Loop: Header=BB6_7723 Depth=2
	v_min_i32_e32 v3, 15, v28
	v_lshl_or_b32 v3, v3, 3, v20
	v_and_or_b32 v32, v2, 7, v3
                                        ; implicit-def: $vgpr20
; %bb.8029:                             ;   in Loop: Header=BB6_7723 Depth=2
	s_andn2_saveexec_b64 s[20:21], s[20:21]
; %bb.8030:                             ;   in Loop: Header=BB6_7723 Depth=2
	v_mov_b32_e32 v32, v20
; %bb.8031:                             ;   in Loop: Header=BB6_7723 Depth=2
	s_or_b64 exec, exec, s[20:21]
.LBB6_8032:                             ;   in Loop: Header=BB6_7723 Depth=2
	s_or_b64 exec, exec, s[58:59]
.LBB6_8033:                             ;   in Loop: Header=BB6_7723 Depth=2
	s_andn2_saveexec_b64 s[20:21], s[56:57]
	s_or_b64 exec, exec, s[20:21]
                                        ; implicit-def: $vgpr2
.LBB6_8034:                             ;   in Loop: Header=BB6_7723 Depth=2
	s_andn2_saveexec_b64 s[20:21], s[54:55]
; %bb.8035:                             ;   in Loop: Header=BB6_7723 Depth=2
	v_or_b32_sdwa v2, v2, s68 dst_sel:DWORD dst_unused:UNUSED_PAD src0_sel:BYTE_3 src1_sel:DWORD
	v_cmp_eq_u64_e32 vcc, 0, v[38:39]
	v_cndmask_b32_e32 v32, v2, v32, vcc
; %bb.8036:                             ;   in Loop: Header=BB6_7723 Depth=2
	s_or_b64 exec, exec, s[20:21]
	flat_load_ubyte v3, v[16:17] offset:896 glc slc
	v_mov_b32_e32 v20, 0
	s_waitcnt vmcnt(0) lgkmcnt(0)
	v_cmp_ne_u16_e32 vcc, 0, v3
	s_and_saveexec_b64 s[20:21], vcc
	s_cbranch_execz .LBB6_8042
; %bb.8037:                             ;   in Loop: Header=BB6_7723 Depth=2
	v_cmp_ne_u16_e32 vcc, s69, v3
	v_bfrev_b32_e32 v20, 1
	s_and_saveexec_b64 s[54:55], vcc
	s_cbranch_execz .LBB6_8041
; %bb.8038:                             ;   in Loop: Header=BB6_7723 Depth=2
	v_and_b32_e32 v2, 0xffff, v3
	v_and_b32_e32 v28, 0x7f, v2
	v_cmp_ne_u32_e32 vcc, s68, v28
	v_mov_b32_e32 v20, 0x7f800001
	s_and_saveexec_b64 s[56:57], vcc
	s_cbranch_execz .LBB6_8040
; %bb.8039:                             ;   in Loop: Header=BB6_7723 Depth=2
	v_and_b32_e32 v20, 7, v2
	v_ffbh_u32_e32 v33, v20
	v_min_u32_e32 v33, 32, v33
	v_subrev_u32_e32 v34, 28, v33
	v_lshlrev_b64 v[34:35], v34, v[2:3]
	v_lshrrev_b32_e32 v29, 3, v28
	v_sub_u32_e32 v2, 29, v33
	v_and_b32_e32 v33, 7, v34
	v_cmp_gt_u32_e32 vcc, 8, v28
	v_cndmask_b32_e32 v2, v29, v2, vcc
	v_cndmask_b32_e32 v20, v20, v33, vcc
	v_lshlrev_b32_e32 v3, 24, v3
	v_bfrev_b32_e32 v28, 60
	v_lshlrev_b32_e32 v20, 20, v20
	v_and_b32_e32 v3, 0x80000000, v3
	v_lshl_add_u32 v2, v2, 23, v28
	v_or3_b32 v20, v3, v2, v20
.LBB6_8040:                             ;   in Loop: Header=BB6_7723 Depth=2
	s_or_b64 exec, exec, s[56:57]
.LBB6_8041:                             ;   in Loop: Header=BB6_7723 Depth=2
	s_or_b64 exec, exec, s[54:55]
.LBB6_8042:                             ;   in Loop: Header=BB6_7723 Depth=2
	s_or_b64 exec, exec, s[20:21]
	v_mul_f32_e32 v2, s60, v20
	v_and_b32_sdwa v20, v2, s69 dst_sel:DWORD dst_unused:UNUSED_PAD src0_sel:BYTE_3 src1_sel:DWORD
	v_and_b32_e32 v28, 0x7f800000, v2
	v_mov_b32_e32 v29, v39
	v_and_b32_e32 v38, 0x7fffff, v2
	v_or_b32_e32 v33, 0x7e, v20
	v_cmp_ne_u64_e32 vcc, s[38:39], v[28:29]
	s_and_saveexec_b64 s[20:21], vcc
	s_xor_b64 s[54:55], exec, s[20:21]
	s_cbranch_execz .LBB6_8056
; %bb.8043:                             ;   in Loop: Header=BB6_7723 Depth=2
	v_and_b32_e32 v28, 0x7fffffff, v2
	v_mov_b32_e32 v29, v39
	v_cmp_gt_u64_e32 vcc, s[40:41], v[28:29]
	s_and_saveexec_b64 s[20:21], vcc
	s_xor_b64 s[56:57], exec, s[20:21]
	s_cbranch_execz .LBB6_8055
; %bb.8044:                             ;   in Loop: Header=BB6_7723 Depth=2
	v_cmp_ne_u32_e32 vcc, 0, v2
	v_mov_b32_e32 v33, 0
	s_and_saveexec_b64 s[58:59], vcc
	s_cbranch_execz .LBB6_8054
; %bb.8045:                             ;   in Loop: Header=BB6_7723 Depth=2
	v_bfe_u32 v2, v2, 23, 8
	v_sub_u32_e32 v28, 0x79, v2
	v_cmp_gt_u32_e32 vcc, s70, v2
	v_add_u32_e32 v3, 0xffffff81, v2
	v_cndmask_b32_e32 v28, 0, v28, vcc
	v_cmp_eq_u32_e32 vcc, 0, v2
	v_mov_b32_e32 v2, 0xffffff82
	v_cndmask_b32_e32 v33, v3, v2, vcc
	v_mov_b32_e32 v2, 0x78
	v_or_b32_e32 v29, 0x800000, v38
	v_cndmask_b32_e32 v28, v28, v2, vcc
	v_cndmask_b32_e32 v38, v29, v38, vcc
	v_add_u32_e32 v2, 20, v28
	v_lshlrev_b64 v[2:3], v2, -1
	v_add_u32_e32 v29, 19, v28
	v_lshrrev_b64 v[36:37], v28, v[38:39]
	v_not_b32_e32 v3, v3
	v_not_b32_e32 v2, v2
	v_lshlrev_b64 v[34:35], v29, 1
	v_lshrrev_b32_e32 v29, 23, v36
	v_and_b32_e32 v3, 0, v3
	v_and_b32_e32 v2, v38, v2
	v_add3_u32 v33, v28, v33, v29
	v_bfe_u32 v28, v36, 20, 1
	v_add_u32_e32 v28, -1, v28
	v_cmp_eq_u64_e32 vcc, v[2:3], v[34:35]
	v_cndmask_b32_e32 v2, 0, v28, vcc
	v_add_u32_e32 v2, v2, v36
	v_and_b32_e32 v2, 0xfffff, v2
	v_add_co_u32_e32 v2, vcc, v2, v36
	v_add_u32_e32 v29, 6, v33
	v_addc_co_u32_e32 v3, vcc, 0, v37, vcc
	v_cmp_ne_u32_e32 vcc, 0, v29
                                        ; implicit-def: $vgpr28
	s_and_saveexec_b64 s[20:21], vcc
	s_xor_b64 s[20:21], exec, s[20:21]
; %bb.8046:                             ;   in Loop: Header=BB6_7723 Depth=2
	v_add_u32_e32 v28, 7, v33
	v_cmp_lt_u64_e32 vcc, s[44:45], v[2:3]
	v_cndmask_b32_e32 v28, v29, v28, vcc
	v_cndmask_b32_e64 v29, 0, 1, vcc
	v_lshrrev_b64 v[2:3], v29, v[2:3]
; %bb.8047:                             ;   in Loop: Header=BB6_7723 Depth=2
	s_andn2_saveexec_b64 s[20:21], s[20:21]
; %bb.8048:                             ;   in Loop: Header=BB6_7723 Depth=2
	v_bfe_u32 v28, v2, 23, 1
; %bb.8049:                             ;   in Loop: Header=BB6_7723 Depth=2
	s_or_b64 exec, exec, s[20:21]
	v_lshrrev_b64 v[2:3], 20, v[2:3]
	v_cmp_gt_i32_e32 vcc, 16, v28
	v_cndmask_b32_e32 v3, 0, v3, vcc
	v_cndmask_b32_e32 v2, 7, v2, vcc
	v_cmp_ne_u32_e32 vcc, 0, v28
	v_cmp_ne_u64_e64 s[20:21], 0, v[2:3]
	s_or_b64 s[20:21], vcc, s[20:21]
                                        ; implicit-def: $vgpr33
	s_and_saveexec_b64 vcc, s[20:21]
	s_xor_b64 s[20:21], exec, vcc
; %bb.8050:                             ;   in Loop: Header=BB6_7723 Depth=2
	v_min_i32_e32 v3, 15, v28
	v_lshl_or_b32 v3, v3, 3, v20
	v_and_or_b32 v33, v2, 7, v3
                                        ; implicit-def: $vgpr20
; %bb.8051:                             ;   in Loop: Header=BB6_7723 Depth=2
	s_andn2_saveexec_b64 s[20:21], s[20:21]
; %bb.8052:                             ;   in Loop: Header=BB6_7723 Depth=2
	v_mov_b32_e32 v33, v20
; %bb.8053:                             ;   in Loop: Header=BB6_7723 Depth=2
	s_or_b64 exec, exec, s[20:21]
.LBB6_8054:                             ;   in Loop: Header=BB6_7723 Depth=2
	s_or_b64 exec, exec, s[58:59]
.LBB6_8055:                             ;   in Loop: Header=BB6_7723 Depth=2
	s_andn2_saveexec_b64 s[20:21], s[56:57]
	s_or_b64 exec, exec, s[20:21]
                                        ; implicit-def: $vgpr2
.LBB6_8056:                             ;   in Loop: Header=BB6_7723 Depth=2
	s_andn2_saveexec_b64 s[20:21], s[54:55]
; %bb.8057:                             ;   in Loop: Header=BB6_7723 Depth=2
	v_or_b32_sdwa v2, v2, s68 dst_sel:DWORD dst_unused:UNUSED_PAD src0_sel:BYTE_3 src1_sel:DWORD
	v_cmp_eq_u64_e32 vcc, 0, v[38:39]
	v_cndmask_b32_e32 v33, v2, v33, vcc
; %bb.8058:                             ;   in Loop: Header=BB6_7723 Depth=2
	s_or_b64 exec, exec, s[20:21]
	flat_load_ubyte v3, v[16:17] offset:960 glc slc
	v_mov_b32_e32 v20, 0
	s_waitcnt vmcnt(0) lgkmcnt(0)
	v_cmp_ne_u16_e32 vcc, 0, v3
	s_and_saveexec_b64 s[20:21], vcc
	s_cbranch_execz .LBB6_8064
; %bb.8059:                             ;   in Loop: Header=BB6_7723 Depth=2
	v_cmp_ne_u16_e32 vcc, s69, v3
	v_bfrev_b32_e32 v20, 1
	s_and_saveexec_b64 s[54:55], vcc
	s_cbranch_execz .LBB6_8063
; %bb.8060:                             ;   in Loop: Header=BB6_7723 Depth=2
	v_and_b32_e32 v2, 0xffff, v3
	v_and_b32_e32 v28, 0x7f, v2
	v_cmp_ne_u32_e32 vcc, s68, v28
	v_mov_b32_e32 v20, 0x7f800001
	s_and_saveexec_b64 s[56:57], vcc
	s_cbranch_execz .LBB6_8062
; %bb.8061:                             ;   in Loop: Header=BB6_7723 Depth=2
	v_and_b32_e32 v20, 7, v2
	v_ffbh_u32_e32 v34, v20
	v_min_u32_e32 v36, 32, v34
	v_subrev_u32_e32 v34, 28, v36
	v_lshlrev_b64 v[34:35], v34, v[2:3]
	v_lshrrev_b32_e32 v29, 3, v28
	v_sub_u32_e32 v2, 29, v36
	v_and_b32_e32 v34, 7, v34
	v_cmp_gt_u32_e32 vcc, 8, v28
	v_cndmask_b32_e32 v2, v29, v2, vcc
	v_cndmask_b32_e32 v20, v20, v34, vcc
	v_lshlrev_b32_e32 v3, 24, v3
	v_bfrev_b32_e32 v28, 60
	v_lshlrev_b32_e32 v20, 20, v20
	v_and_b32_e32 v3, 0x80000000, v3
	v_lshl_add_u32 v2, v2, 23, v28
	v_or3_b32 v20, v3, v2, v20
.LBB6_8062:                             ;   in Loop: Header=BB6_7723 Depth=2
	s_or_b64 exec, exec, s[56:57]
.LBB6_8063:                             ;   in Loop: Header=BB6_7723 Depth=2
	s_or_b64 exec, exec, s[54:55]
.LBB6_8064:                             ;   in Loop: Header=BB6_7723 Depth=2
	s_or_b64 exec, exec, s[20:21]
	v_mul_f32_e32 v2, s60, v20
	v_and_b32_sdwa v20, v2, s69 dst_sel:DWORD dst_unused:UNUSED_PAD src0_sel:BYTE_3 src1_sel:DWORD
	v_and_b32_e32 v28, 0x7f800000, v2
	v_mov_b32_e32 v29, v39
	v_and_b32_e32 v38, 0x7fffff, v2
	v_or_b32_e32 v34, 0x7e, v20
	v_cmp_ne_u64_e32 vcc, s[38:39], v[28:29]
	s_and_saveexec_b64 s[20:21], vcc
	s_xor_b64 s[54:55], exec, s[20:21]
	s_cbranch_execz .LBB6_8078
; %bb.8065:                             ;   in Loop: Header=BB6_7723 Depth=2
	v_and_b32_e32 v28, 0x7fffffff, v2
	v_mov_b32_e32 v29, v39
	v_cmp_gt_u64_e32 vcc, s[40:41], v[28:29]
	s_and_saveexec_b64 s[20:21], vcc
	s_xor_b64 s[56:57], exec, s[20:21]
	s_cbranch_execz .LBB6_8077
; %bb.8066:                             ;   in Loop: Header=BB6_7723 Depth=2
	v_cmp_ne_u32_e32 vcc, 0, v2
	v_mov_b32_e32 v34, 0
	s_and_saveexec_b64 s[58:59], vcc
	s_cbranch_execz .LBB6_8076
; %bb.8067:                             ;   in Loop: Header=BB6_7723 Depth=2
	v_bfe_u32 v2, v2, 23, 8
	v_sub_u32_e32 v28, 0x79, v2
	v_cmp_gt_u32_e32 vcc, s70, v2
	v_add_u32_e32 v3, 0xffffff81, v2
	v_cndmask_b32_e32 v28, 0, v28, vcc
	v_cmp_eq_u32_e32 vcc, 0, v2
	v_mov_b32_e32 v2, 0xffffff82
	v_cndmask_b32_e32 v34, v3, v2, vcc
	v_mov_b32_e32 v2, 0x78
	v_or_b32_e32 v29, 0x800000, v38
	v_cndmask_b32_e32 v28, v28, v2, vcc
	v_cndmask_b32_e32 v38, v29, v38, vcc
	v_add_u32_e32 v2, 20, v28
	v_lshlrev_b64 v[2:3], v2, -1
	v_add_u32_e32 v29, 19, v28
	v_lshrrev_b64 v[48:49], v28, v[38:39]
	v_not_b32_e32 v3, v3
	v_not_b32_e32 v2, v2
	v_lshlrev_b64 v[36:37], v29, 1
	v_lshrrev_b32_e32 v29, 23, v48
	v_and_b32_e32 v3, 0, v3
	v_and_b32_e32 v2, v38, v2
	v_add3_u32 v34, v28, v34, v29
	v_bfe_u32 v28, v48, 20, 1
	v_add_u32_e32 v28, -1, v28
	v_cmp_eq_u64_e32 vcc, v[2:3], v[36:37]
	v_cndmask_b32_e32 v2, 0, v28, vcc
	v_add_u32_e32 v2, v2, v48
	v_and_b32_e32 v2, 0xfffff, v2
	v_add_co_u32_e32 v2, vcc, v2, v48
	v_add_u32_e32 v29, 6, v34
	v_addc_co_u32_e32 v3, vcc, 0, v49, vcc
	v_cmp_ne_u32_e32 vcc, 0, v29
                                        ; implicit-def: $vgpr28
	s_and_saveexec_b64 s[20:21], vcc
	s_xor_b64 s[20:21], exec, s[20:21]
; %bb.8068:                             ;   in Loop: Header=BB6_7723 Depth=2
	v_add_u32_e32 v28, 7, v34
	v_cmp_lt_u64_e32 vcc, s[44:45], v[2:3]
	v_cndmask_b32_e32 v28, v29, v28, vcc
	v_cndmask_b32_e64 v29, 0, 1, vcc
	v_lshrrev_b64 v[2:3], v29, v[2:3]
; %bb.8069:                             ;   in Loop: Header=BB6_7723 Depth=2
	s_andn2_saveexec_b64 s[20:21], s[20:21]
; %bb.8070:                             ;   in Loop: Header=BB6_7723 Depth=2
	v_bfe_u32 v28, v2, 23, 1
; %bb.8071:                             ;   in Loop: Header=BB6_7723 Depth=2
	s_or_b64 exec, exec, s[20:21]
	v_lshrrev_b64 v[2:3], 20, v[2:3]
	v_cmp_gt_i32_e32 vcc, 16, v28
	v_cndmask_b32_e32 v3, 0, v3, vcc
	v_cndmask_b32_e32 v2, 7, v2, vcc
	v_cmp_ne_u32_e32 vcc, 0, v28
	v_cmp_ne_u64_e64 s[20:21], 0, v[2:3]
	s_or_b64 s[20:21], vcc, s[20:21]
                                        ; implicit-def: $vgpr34
	s_and_saveexec_b64 vcc, s[20:21]
	s_xor_b64 s[20:21], exec, vcc
; %bb.8072:                             ;   in Loop: Header=BB6_7723 Depth=2
	v_min_i32_e32 v3, 15, v28
	v_lshl_or_b32 v3, v3, 3, v20
	v_and_or_b32 v34, v2, 7, v3
                                        ; implicit-def: $vgpr20
; %bb.8073:                             ;   in Loop: Header=BB6_7723 Depth=2
	s_andn2_saveexec_b64 s[20:21], s[20:21]
; %bb.8074:                             ;   in Loop: Header=BB6_7723 Depth=2
	v_mov_b32_e32 v34, v20
; %bb.8075:                             ;   in Loop: Header=BB6_7723 Depth=2
	s_or_b64 exec, exec, s[20:21]
.LBB6_8076:                             ;   in Loop: Header=BB6_7723 Depth=2
	s_or_b64 exec, exec, s[58:59]
.LBB6_8077:                             ;   in Loop: Header=BB6_7723 Depth=2
	s_andn2_saveexec_b64 s[20:21], s[56:57]
	s_or_b64 exec, exec, s[20:21]
                                        ; implicit-def: $vgpr2
.LBB6_8078:                             ;   in Loop: Header=BB6_7723 Depth=2
	s_andn2_saveexec_b64 s[20:21], s[54:55]
; %bb.8079:                             ;   in Loop: Header=BB6_7723 Depth=2
	v_or_b32_sdwa v2, v2, s68 dst_sel:DWORD dst_unused:UNUSED_PAD src0_sel:BYTE_3 src1_sel:DWORD
	v_cmp_eq_u64_e32 vcc, 0, v[38:39]
	v_cndmask_b32_e32 v34, v2, v34, vcc
; %bb.8080:                             ;   in Loop: Header=BB6_7723 Depth=2
	s_or_b64 exec, exec, s[20:21]
	flat_load_ubyte v3, v[16:17] offset:1024 glc slc
	v_mov_b32_e32 v20, 0
	s_waitcnt vmcnt(0) lgkmcnt(0)
	v_cmp_ne_u16_e32 vcc, 0, v3
	s_and_saveexec_b64 s[20:21], vcc
	s_cbranch_execz .LBB6_8086
; %bb.8081:                             ;   in Loop: Header=BB6_7723 Depth=2
	v_cmp_ne_u16_e32 vcc, s69, v3
	v_bfrev_b32_e32 v20, 1
	s_and_saveexec_b64 s[54:55], vcc
	s_cbranch_execz .LBB6_8085
; %bb.8082:                             ;   in Loop: Header=BB6_7723 Depth=2
	v_and_b32_e32 v2, 0xffff, v3
	v_and_b32_e32 v28, 0x7f, v2
	v_cmp_ne_u32_e32 vcc, s68, v28
	v_mov_b32_e32 v20, 0x7f800001
	s_and_saveexec_b64 s[56:57], vcc
	s_cbranch_execz .LBB6_8084
; %bb.8083:                             ;   in Loop: Header=BB6_7723 Depth=2
	v_and_b32_e32 v20, 7, v2
	v_ffbh_u32_e32 v35, v20
	v_min_u32_e32 v35, 32, v35
	v_subrev_u32_e32 v36, 28, v35
	v_lshlrev_b64 v[36:37], v36, v[2:3]
	v_lshrrev_b32_e32 v29, 3, v28
	v_sub_u32_e32 v2, 29, v35
	v_and_b32_e32 v35, 7, v36
	v_cmp_gt_u32_e32 vcc, 8, v28
	v_cndmask_b32_e32 v2, v29, v2, vcc
	v_cndmask_b32_e32 v20, v20, v35, vcc
	v_lshlrev_b32_e32 v3, 24, v3
	v_bfrev_b32_e32 v28, 60
	v_lshlrev_b32_e32 v20, 20, v20
	v_and_b32_e32 v3, 0x80000000, v3
	v_lshl_add_u32 v2, v2, 23, v28
	v_or3_b32 v20, v3, v2, v20
.LBB6_8084:                             ;   in Loop: Header=BB6_7723 Depth=2
	s_or_b64 exec, exec, s[56:57]
.LBB6_8085:                             ;   in Loop: Header=BB6_7723 Depth=2
	s_or_b64 exec, exec, s[54:55]
.LBB6_8086:                             ;   in Loop: Header=BB6_7723 Depth=2
	s_or_b64 exec, exec, s[20:21]
	v_mul_f32_e32 v2, s60, v20
	v_and_b32_sdwa v20, v2, s69 dst_sel:DWORD dst_unused:UNUSED_PAD src0_sel:BYTE_3 src1_sel:DWORD
	v_and_b32_e32 v28, 0x7f800000, v2
	v_mov_b32_e32 v29, v39
	v_and_b32_e32 v38, 0x7fffff, v2
	v_or_b32_e32 v35, 0x7e, v20
	v_cmp_ne_u64_e32 vcc, s[38:39], v[28:29]
	s_and_saveexec_b64 s[20:21], vcc
	s_xor_b64 s[54:55], exec, s[20:21]
	s_cbranch_execz .LBB6_8100
; %bb.8087:                             ;   in Loop: Header=BB6_7723 Depth=2
	v_and_b32_e32 v28, 0x7fffffff, v2
	v_mov_b32_e32 v29, v39
	v_cmp_gt_u64_e32 vcc, s[40:41], v[28:29]
	s_and_saveexec_b64 s[20:21], vcc
	s_xor_b64 s[56:57], exec, s[20:21]
	s_cbranch_execz .LBB6_8099
; %bb.8088:                             ;   in Loop: Header=BB6_7723 Depth=2
	v_cmp_ne_u32_e32 vcc, 0, v2
	v_mov_b32_e32 v35, 0
	s_and_saveexec_b64 s[58:59], vcc
	s_cbranch_execz .LBB6_8098
; %bb.8089:                             ;   in Loop: Header=BB6_7723 Depth=2
	v_bfe_u32 v2, v2, 23, 8
	v_sub_u32_e32 v28, 0x79, v2
	v_cmp_gt_u32_e32 vcc, s70, v2
	v_add_u32_e32 v3, 0xffffff81, v2
	v_cndmask_b32_e32 v28, 0, v28, vcc
	v_cmp_eq_u32_e32 vcc, 0, v2
	v_mov_b32_e32 v2, 0xffffff82
	v_cndmask_b32_e32 v35, v3, v2, vcc
	v_mov_b32_e32 v2, 0x78
	v_or_b32_e32 v29, 0x800000, v38
	v_cndmask_b32_e32 v28, v28, v2, vcc
	v_cndmask_b32_e32 v38, v29, v38, vcc
	v_add_u32_e32 v2, 20, v28
	v_lshlrev_b64 v[2:3], v2, -1
	v_add_u32_e32 v29, 19, v28
	v_lshrrev_b64 v[48:49], v28, v[38:39]
	v_not_b32_e32 v3, v3
	v_not_b32_e32 v2, v2
	v_lshlrev_b64 v[36:37], v29, 1
	v_lshrrev_b32_e32 v29, 23, v48
	v_and_b32_e32 v3, 0, v3
	v_and_b32_e32 v2, v38, v2
	v_add3_u32 v35, v28, v35, v29
	v_bfe_u32 v28, v48, 20, 1
	v_add_u32_e32 v28, -1, v28
	v_cmp_eq_u64_e32 vcc, v[2:3], v[36:37]
	v_cndmask_b32_e32 v2, 0, v28, vcc
	v_add_u32_e32 v2, v2, v48
	v_and_b32_e32 v2, 0xfffff, v2
	v_add_co_u32_e32 v2, vcc, v2, v48
	v_add_u32_e32 v29, 6, v35
	v_addc_co_u32_e32 v3, vcc, 0, v49, vcc
	v_cmp_ne_u32_e32 vcc, 0, v29
                                        ; implicit-def: $vgpr28
	s_and_saveexec_b64 s[20:21], vcc
	s_xor_b64 s[20:21], exec, s[20:21]
; %bb.8090:                             ;   in Loop: Header=BB6_7723 Depth=2
	v_add_u32_e32 v28, 7, v35
	v_cmp_lt_u64_e32 vcc, s[44:45], v[2:3]
	v_cndmask_b32_e32 v28, v29, v28, vcc
	v_cndmask_b32_e64 v29, 0, 1, vcc
	v_lshrrev_b64 v[2:3], v29, v[2:3]
; %bb.8091:                             ;   in Loop: Header=BB6_7723 Depth=2
	s_andn2_saveexec_b64 s[20:21], s[20:21]
; %bb.8092:                             ;   in Loop: Header=BB6_7723 Depth=2
	v_bfe_u32 v28, v2, 23, 1
; %bb.8093:                             ;   in Loop: Header=BB6_7723 Depth=2
	s_or_b64 exec, exec, s[20:21]
	v_lshrrev_b64 v[2:3], 20, v[2:3]
	v_cmp_gt_i32_e32 vcc, 16, v28
	v_cndmask_b32_e32 v3, 0, v3, vcc
	v_cndmask_b32_e32 v2, 7, v2, vcc
	v_cmp_ne_u32_e32 vcc, 0, v28
	v_cmp_ne_u64_e64 s[20:21], 0, v[2:3]
	s_or_b64 s[20:21], vcc, s[20:21]
                                        ; implicit-def: $vgpr35
	s_and_saveexec_b64 vcc, s[20:21]
	s_xor_b64 s[20:21], exec, vcc
; %bb.8094:                             ;   in Loop: Header=BB6_7723 Depth=2
	v_min_i32_e32 v3, 15, v28
	v_lshl_or_b32 v3, v3, 3, v20
	v_and_or_b32 v35, v2, 7, v3
                                        ; implicit-def: $vgpr20
; %bb.8095:                             ;   in Loop: Header=BB6_7723 Depth=2
	s_andn2_saveexec_b64 s[20:21], s[20:21]
; %bb.8096:                             ;   in Loop: Header=BB6_7723 Depth=2
	v_mov_b32_e32 v35, v20
; %bb.8097:                             ;   in Loop: Header=BB6_7723 Depth=2
	s_or_b64 exec, exec, s[20:21]
.LBB6_8098:                             ;   in Loop: Header=BB6_7723 Depth=2
	s_or_b64 exec, exec, s[58:59]
.LBB6_8099:                             ;   in Loop: Header=BB6_7723 Depth=2
	s_andn2_saveexec_b64 s[20:21], s[56:57]
	s_or_b64 exec, exec, s[20:21]
                                        ; implicit-def: $vgpr2
.LBB6_8100:                             ;   in Loop: Header=BB6_7723 Depth=2
	s_andn2_saveexec_b64 s[20:21], s[54:55]
; %bb.8101:                             ;   in Loop: Header=BB6_7723 Depth=2
	v_or_b32_sdwa v2, v2, s68 dst_sel:DWORD dst_unused:UNUSED_PAD src0_sel:BYTE_3 src1_sel:DWORD
	v_cmp_eq_u64_e32 vcc, 0, v[38:39]
	v_cndmask_b32_e32 v35, v2, v35, vcc
; %bb.8102:                             ;   in Loop: Header=BB6_7723 Depth=2
	s_or_b64 exec, exec, s[20:21]
	flat_load_ubyte v3, v[16:17] offset:1088 glc slc
	v_mov_b32_e32 v20, 0
	s_waitcnt vmcnt(0) lgkmcnt(0)
	v_cmp_ne_u16_e32 vcc, 0, v3
	s_and_saveexec_b64 s[20:21], vcc
	s_cbranch_execz .LBB6_8108
; %bb.8103:                             ;   in Loop: Header=BB6_7723 Depth=2
	v_cmp_ne_u16_e32 vcc, s69, v3
	v_bfrev_b32_e32 v20, 1
	s_and_saveexec_b64 s[54:55], vcc
	s_cbranch_execz .LBB6_8107
; %bb.8104:                             ;   in Loop: Header=BB6_7723 Depth=2
	v_and_b32_e32 v2, 0xffff, v3
	v_and_b32_e32 v28, 0x7f, v2
	v_cmp_ne_u32_e32 vcc, s68, v28
	v_mov_b32_e32 v20, 0x7f800001
	s_and_saveexec_b64 s[56:57], vcc
	s_cbranch_execz .LBB6_8106
; %bb.8105:                             ;   in Loop: Header=BB6_7723 Depth=2
	v_and_b32_e32 v20, 7, v2
	v_ffbh_u32_e32 v36, v20
	v_min_u32_e32 v38, 32, v36
	v_subrev_u32_e32 v36, 28, v38
	v_lshlrev_b64 v[36:37], v36, v[2:3]
	v_lshrrev_b32_e32 v29, 3, v28
	v_sub_u32_e32 v2, 29, v38
	v_and_b32_e32 v36, 7, v36
	v_cmp_gt_u32_e32 vcc, 8, v28
	v_cndmask_b32_e32 v2, v29, v2, vcc
	v_cndmask_b32_e32 v20, v20, v36, vcc
	v_lshlrev_b32_e32 v3, 24, v3
	v_bfrev_b32_e32 v28, 60
	v_lshlrev_b32_e32 v20, 20, v20
	v_and_b32_e32 v3, 0x80000000, v3
	v_lshl_add_u32 v2, v2, 23, v28
	v_or3_b32 v20, v3, v2, v20
.LBB6_8106:                             ;   in Loop: Header=BB6_7723 Depth=2
	s_or_b64 exec, exec, s[56:57]
.LBB6_8107:                             ;   in Loop: Header=BB6_7723 Depth=2
	s_or_b64 exec, exec, s[54:55]
.LBB6_8108:                             ;   in Loop: Header=BB6_7723 Depth=2
	s_or_b64 exec, exec, s[20:21]
	v_mul_f32_e32 v2, s60, v20
	v_and_b32_sdwa v28, v2, s69 dst_sel:DWORD dst_unused:UNUSED_PAD src0_sel:BYTE_3 src1_sel:DWORD
	v_and_b32_e32 v36, 0x7f800000, v2
	v_mov_b32_e32 v37, v39
	v_and_b32_e32 v38, 0x7fffff, v2
	v_or_b32_e32 v20, 0x7e, v28
	v_cmp_ne_u64_e32 vcc, s[38:39], v[36:37]
	s_and_saveexec_b64 s[20:21], vcc
	s_xor_b64 s[54:55], exec, s[20:21]
	s_cbranch_execz .LBB6_8122
; %bb.8109:                             ;   in Loop: Header=BB6_7723 Depth=2
	v_and_b32_e32 v36, 0x7fffffff, v2
	v_mov_b32_e32 v37, v39
	v_cmp_gt_u64_e32 vcc, s[40:41], v[36:37]
	s_and_saveexec_b64 s[20:21], vcc
	s_xor_b64 s[56:57], exec, s[20:21]
	s_cbranch_execz .LBB6_8121
; %bb.8110:                             ;   in Loop: Header=BB6_7723 Depth=2
	v_cmp_ne_u32_e32 vcc, 0, v2
	v_mov_b32_e32 v20, 0
	s_and_saveexec_b64 s[58:59], vcc
	s_cbranch_execz .LBB6_8120
; %bb.8111:                             ;   in Loop: Header=BB6_7723 Depth=2
	v_bfe_u32 v2, v2, 23, 8
	v_sub_u32_e32 v20, 0x79, v2
	v_cmp_gt_u32_e32 vcc, s70, v2
	v_add_u32_e32 v3, 0xffffff81, v2
	v_cndmask_b32_e32 v20, 0, v20, vcc
	v_cmp_eq_u32_e32 vcc, 0, v2
	v_mov_b32_e32 v2, 0xffffff82
	v_cndmask_b32_e32 v36, v3, v2, vcc
	v_mov_b32_e32 v2, 0x78
	v_or_b32_e32 v29, 0x800000, v38
	v_cndmask_b32_e32 v20, v20, v2, vcc
	v_cndmask_b32_e32 v38, v29, v38, vcc
	v_add_u32_e32 v2, 20, v20
	v_lshlrev_b64 v[2:3], v2, -1
	v_add_u32_e32 v29, 19, v20
	v_lshrrev_b64 v[50:51], v20, v[38:39]
	v_not_b32_e32 v3, v3
	v_not_b32_e32 v2, v2
	v_lshlrev_b64 v[48:49], v29, 1
	v_lshrrev_b32_e32 v29, 23, v50
	v_and_b32_e32 v3, 0, v3
	v_and_b32_e32 v2, v38, v2
	v_add3_u32 v36, v20, v36, v29
	v_bfe_u32 v29, v50, 20, 1
	v_add_u32_e32 v29, -1, v29
	v_cmp_eq_u64_e32 vcc, v[2:3], v[48:49]
	v_cndmask_b32_e32 v2, 0, v29, vcc
	v_add_u32_e32 v2, v2, v50
	v_and_b32_e32 v2, 0xfffff, v2
	v_add_co_u32_e32 v2, vcc, v2, v50
	v_add_u32_e32 v20, 6, v36
	v_addc_co_u32_e32 v3, vcc, 0, v51, vcc
	v_cmp_ne_u32_e32 vcc, 0, v20
                                        ; implicit-def: $vgpr29
	s_and_saveexec_b64 s[20:21], vcc
	s_xor_b64 s[20:21], exec, s[20:21]
; %bb.8112:                             ;   in Loop: Header=BB6_7723 Depth=2
	v_add_u32_e32 v29, 7, v36
	v_cmp_lt_u64_e32 vcc, s[44:45], v[2:3]
	v_cndmask_b32_e32 v29, v20, v29, vcc
	v_cndmask_b32_e64 v20, 0, 1, vcc
	v_lshrrev_b64 v[2:3], v20, v[2:3]
; %bb.8113:                             ;   in Loop: Header=BB6_7723 Depth=2
	s_andn2_saveexec_b64 s[20:21], s[20:21]
; %bb.8114:                             ;   in Loop: Header=BB6_7723 Depth=2
	v_bfe_u32 v29, v2, 23, 1
; %bb.8115:                             ;   in Loop: Header=BB6_7723 Depth=2
	s_or_b64 exec, exec, s[20:21]
	v_lshrrev_b64 v[2:3], 20, v[2:3]
	v_cmp_gt_i32_e32 vcc, 16, v29
	v_cndmask_b32_e32 v3, 0, v3, vcc
	v_cndmask_b32_e32 v2, 7, v2, vcc
	v_cmp_ne_u32_e32 vcc, 0, v29
	v_cmp_ne_u64_e64 s[20:21], 0, v[2:3]
	s_or_b64 s[20:21], vcc, s[20:21]
                                        ; implicit-def: $vgpr20
	s_and_saveexec_b64 vcc, s[20:21]
	s_xor_b64 s[20:21], exec, vcc
; %bb.8116:                             ;   in Loop: Header=BB6_7723 Depth=2
	v_min_i32_e32 v3, 15, v29
	v_lshl_or_b32 v3, v3, 3, v28
	v_and_or_b32 v20, v2, 7, v3
                                        ; implicit-def: $vgpr28
; %bb.8117:                             ;   in Loop: Header=BB6_7723 Depth=2
	s_andn2_saveexec_b64 s[20:21], s[20:21]
; %bb.8118:                             ;   in Loop: Header=BB6_7723 Depth=2
	v_mov_b32_e32 v20, v28
; %bb.8119:                             ;   in Loop: Header=BB6_7723 Depth=2
	s_or_b64 exec, exec, s[20:21]
.LBB6_8120:                             ;   in Loop: Header=BB6_7723 Depth=2
	s_or_b64 exec, exec, s[58:59]
.LBB6_8121:                             ;   in Loop: Header=BB6_7723 Depth=2
	s_andn2_saveexec_b64 s[20:21], s[56:57]
	s_or_b64 exec, exec, s[20:21]
                                        ; implicit-def: $vgpr2
.LBB6_8122:                             ;   in Loop: Header=BB6_7723 Depth=2
	s_andn2_saveexec_b64 s[20:21], s[54:55]
; %bb.8123:                             ;   in Loop: Header=BB6_7723 Depth=2
	v_or_b32_sdwa v2, v2, s68 dst_sel:DWORD dst_unused:UNUSED_PAD src0_sel:BYTE_3 src1_sel:DWORD
	v_cmp_eq_u64_e32 vcc, 0, v[38:39]
	v_cndmask_b32_e32 v20, v2, v20, vcc
; %bb.8124:                             ;   in Loop: Header=BB6_7723 Depth=2
	s_or_b64 exec, exec, s[20:21]
	flat_load_ubyte v3, v[16:17] offset:1152 glc slc
	v_mov_b32_e32 v28, 0
	s_waitcnt vmcnt(0) lgkmcnt(0)
	v_cmp_ne_u16_e32 vcc, 0, v3
	s_and_saveexec_b64 s[20:21], vcc
	s_cbranch_execz .LBB6_8130
; %bb.8125:                             ;   in Loop: Header=BB6_7723 Depth=2
	v_cmp_ne_u16_e32 vcc, s69, v3
	v_bfrev_b32_e32 v28, 1
	s_and_saveexec_b64 s[54:55], vcc
	s_cbranch_execz .LBB6_8129
; %bb.8126:                             ;   in Loop: Header=BB6_7723 Depth=2
	v_and_b32_e32 v2, 0xffff, v3
	v_and_b32_e32 v29, 0x7f, v2
	v_cmp_ne_u32_e32 vcc, s68, v29
	v_mov_b32_e32 v28, 0x7f800001
	s_and_saveexec_b64 s[56:57], vcc
	s_cbranch_execz .LBB6_8128
; %bb.8127:                             ;   in Loop: Header=BB6_7723 Depth=2
	v_and_b32_e32 v28, 7, v2
	v_ffbh_u32_e32 v36, v28
	v_min_u32_e32 v48, 32, v36
	v_subrev_u32_e32 v36, 28, v48
	v_lshlrev_b64 v[36:37], v36, v[2:3]
	v_lshrrev_b32_e32 v38, 3, v29
	v_sub_u32_e32 v2, 29, v48
	v_and_b32_e32 v36, 7, v36
	v_cmp_gt_u32_e32 vcc, 8, v29
	v_cndmask_b32_e32 v2, v38, v2, vcc
	v_cndmask_b32_e32 v28, v28, v36, vcc
	v_lshlrev_b32_e32 v3, 24, v3
	v_bfrev_b32_e32 v29, 60
	v_lshlrev_b32_e32 v28, 20, v28
	v_and_b32_e32 v3, 0x80000000, v3
	v_lshl_add_u32 v2, v2, 23, v29
	v_or3_b32 v28, v3, v2, v28
.LBB6_8128:                             ;   in Loop: Header=BB6_7723 Depth=2
	s_or_b64 exec, exec, s[56:57]
.LBB6_8129:                             ;   in Loop: Header=BB6_7723 Depth=2
	s_or_b64 exec, exec, s[54:55]
.LBB6_8130:                             ;   in Loop: Header=BB6_7723 Depth=2
	s_or_b64 exec, exec, s[20:21]
	v_mul_f32_e32 v2, s60, v28
	v_and_b32_sdwa v28, v2, s69 dst_sel:DWORD dst_unused:UNUSED_PAD src0_sel:BYTE_3 src1_sel:DWORD
	v_and_b32_e32 v48, 0x7f800000, v2
	v_mov_b32_e32 v49, v39
	v_and_b32_e32 v38, 0x7fffff, v2
	v_or_b32_e32 v36, 0x7e, v28
	v_cmp_ne_u64_e32 vcc, s[38:39], v[48:49]
	s_and_saveexec_b64 s[20:21], vcc
	s_xor_b64 s[54:55], exec, s[20:21]
	s_cbranch_execz .LBB6_8144
; %bb.8131:                             ;   in Loop: Header=BB6_7723 Depth=2
	v_and_b32_e32 v48, 0x7fffffff, v2
	v_mov_b32_e32 v49, v39
	v_cmp_gt_u64_e32 vcc, s[40:41], v[48:49]
	s_and_saveexec_b64 s[20:21], vcc
	s_xor_b64 s[56:57], exec, s[20:21]
	s_cbranch_execz .LBB6_8143
; %bb.8132:                             ;   in Loop: Header=BB6_7723 Depth=2
	v_cmp_ne_u32_e32 vcc, 0, v2
	v_mov_b32_e32 v36, 0
	s_and_saveexec_b64 s[58:59], vcc
	s_cbranch_execz .LBB6_8142
; %bb.8133:                             ;   in Loop: Header=BB6_7723 Depth=2
	v_bfe_u32 v2, v2, 23, 8
	v_sub_u32_e32 v29, 0x79, v2
	v_cmp_gt_u32_e32 vcc, s70, v2
	v_add_u32_e32 v3, 0xffffff81, v2
	v_cndmask_b32_e32 v29, 0, v29, vcc
	v_cmp_eq_u32_e32 vcc, 0, v2
	v_mov_b32_e32 v2, 0xffffff82
	v_cndmask_b32_e32 v37, v3, v2, vcc
	v_mov_b32_e32 v2, 0x78
	v_or_b32_e32 v36, 0x800000, v38
	v_cndmask_b32_e32 v29, v29, v2, vcc
	v_cndmask_b32_e32 v38, v36, v38, vcc
	v_add_u32_e32 v2, 20, v29
	v_lshlrev_b64 v[2:3], v2, -1
	v_add_u32_e32 v36, 19, v29
	v_lshrrev_b64 v[50:51], v29, v[38:39]
	v_not_b32_e32 v3, v3
	v_not_b32_e32 v2, v2
	v_lshlrev_b64 v[48:49], v36, 1
	v_lshrrev_b32_e32 v36, 23, v50
	v_and_b32_e32 v3, 0, v3
	v_and_b32_e32 v2, v38, v2
	v_add3_u32 v37, v29, v37, v36
	v_bfe_u32 v29, v50, 20, 1
	v_add_u32_e32 v29, -1, v29
	v_cmp_eq_u64_e32 vcc, v[2:3], v[48:49]
	v_cndmask_b32_e32 v2, 0, v29, vcc
	v_add_u32_e32 v2, v2, v50
	v_and_b32_e32 v2, 0xfffff, v2
	v_add_co_u32_e32 v2, vcc, v2, v50
	v_add_u32_e32 v36, 6, v37
	v_addc_co_u32_e32 v3, vcc, 0, v51, vcc
	v_cmp_ne_u32_e32 vcc, 0, v36
                                        ; implicit-def: $vgpr29
	s_and_saveexec_b64 s[20:21], vcc
	s_xor_b64 s[20:21], exec, s[20:21]
; %bb.8134:                             ;   in Loop: Header=BB6_7723 Depth=2
	v_add_u32_e32 v29, 7, v37
	v_cmp_lt_u64_e32 vcc, s[44:45], v[2:3]
	v_cndmask_b32_e32 v29, v36, v29, vcc
	v_cndmask_b32_e64 v36, 0, 1, vcc
	v_lshrrev_b64 v[2:3], v36, v[2:3]
; %bb.8135:                             ;   in Loop: Header=BB6_7723 Depth=2
	s_andn2_saveexec_b64 s[20:21], s[20:21]
; %bb.8136:                             ;   in Loop: Header=BB6_7723 Depth=2
	v_bfe_u32 v29, v2, 23, 1
; %bb.8137:                             ;   in Loop: Header=BB6_7723 Depth=2
	s_or_b64 exec, exec, s[20:21]
	v_lshrrev_b64 v[2:3], 20, v[2:3]
	v_cmp_gt_i32_e32 vcc, 16, v29
	v_cndmask_b32_e32 v3, 0, v3, vcc
	v_cndmask_b32_e32 v2, 7, v2, vcc
	v_cmp_ne_u32_e32 vcc, 0, v29
	v_cmp_ne_u64_e64 s[20:21], 0, v[2:3]
	s_or_b64 s[20:21], vcc, s[20:21]
                                        ; implicit-def: $vgpr36
	s_and_saveexec_b64 vcc, s[20:21]
	s_xor_b64 s[20:21], exec, vcc
; %bb.8138:                             ;   in Loop: Header=BB6_7723 Depth=2
	v_min_i32_e32 v3, 15, v29
	v_lshl_or_b32 v3, v3, 3, v28
	v_and_or_b32 v36, v2, 7, v3
                                        ; implicit-def: $vgpr28
; %bb.8139:                             ;   in Loop: Header=BB6_7723 Depth=2
	s_andn2_saveexec_b64 s[20:21], s[20:21]
; %bb.8140:                             ;   in Loop: Header=BB6_7723 Depth=2
	v_mov_b32_e32 v36, v28
; %bb.8141:                             ;   in Loop: Header=BB6_7723 Depth=2
	s_or_b64 exec, exec, s[20:21]
.LBB6_8142:                             ;   in Loop: Header=BB6_7723 Depth=2
	s_or_b64 exec, exec, s[58:59]
.LBB6_8143:                             ;   in Loop: Header=BB6_7723 Depth=2
	s_andn2_saveexec_b64 s[20:21], s[56:57]
	s_or_b64 exec, exec, s[20:21]
                                        ; implicit-def: $vgpr2
.LBB6_8144:                             ;   in Loop: Header=BB6_7723 Depth=2
	s_andn2_saveexec_b64 s[20:21], s[54:55]
; %bb.8145:                             ;   in Loop: Header=BB6_7723 Depth=2
	v_or_b32_sdwa v2, v2, s68 dst_sel:DWORD dst_unused:UNUSED_PAD src0_sel:BYTE_3 src1_sel:DWORD
	v_cmp_eq_u64_e32 vcc, 0, v[38:39]
	v_cndmask_b32_e32 v36, v2, v36, vcc
; %bb.8146:                             ;   in Loop: Header=BB6_7723 Depth=2
	s_or_b64 exec, exec, s[20:21]
	flat_load_ubyte v3, v[16:17] offset:1216 glc slc
	v_mov_b32_e32 v28, 0
	s_waitcnt vmcnt(0) lgkmcnt(0)
	v_cmp_ne_u16_e32 vcc, 0, v3
	s_and_saveexec_b64 s[20:21], vcc
	s_cbranch_execz .LBB6_8152
; %bb.8147:                             ;   in Loop: Header=BB6_7723 Depth=2
	v_cmp_ne_u16_e32 vcc, s69, v3
	v_bfrev_b32_e32 v28, 1
	s_and_saveexec_b64 s[54:55], vcc
	s_cbranch_execz .LBB6_8151
; %bb.8148:                             ;   in Loop: Header=BB6_7723 Depth=2
	v_and_b32_e32 v2, 0xffff, v3
	v_and_b32_e32 v29, 0x7f, v2
	v_cmp_ne_u32_e32 vcc, s68, v29
	v_mov_b32_e32 v28, 0x7f800001
	s_and_saveexec_b64 s[56:57], vcc
	s_cbranch_execz .LBB6_8150
; %bb.8149:                             ;   in Loop: Header=BB6_7723 Depth=2
	v_and_b32_e32 v28, 7, v2
	v_ffbh_u32_e32 v38, v28
	v_min_u32_e32 v38, 32, v38
	v_subrev_u32_e32 v48, 28, v38
	v_lshlrev_b64 v[48:49], v48, v[2:3]
	v_lshrrev_b32_e32 v37, 3, v29
	v_sub_u32_e32 v2, 29, v38
	v_and_b32_e32 v38, 7, v48
	v_cmp_gt_u32_e32 vcc, 8, v29
	v_cndmask_b32_e32 v2, v37, v2, vcc
	v_cndmask_b32_e32 v28, v28, v38, vcc
	v_lshlrev_b32_e32 v3, 24, v3
	v_bfrev_b32_e32 v29, 60
	v_lshlrev_b32_e32 v28, 20, v28
	v_and_b32_e32 v3, 0x80000000, v3
	v_lshl_add_u32 v2, v2, 23, v29
	v_or3_b32 v28, v3, v2, v28
.LBB6_8150:                             ;   in Loop: Header=BB6_7723 Depth=2
	s_or_b64 exec, exec, s[56:57]
.LBB6_8151:                             ;   in Loop: Header=BB6_7723 Depth=2
	s_or_b64 exec, exec, s[54:55]
.LBB6_8152:                             ;   in Loop: Header=BB6_7723 Depth=2
	s_or_b64 exec, exec, s[20:21]
	v_mul_f32_e32 v2, s60, v28
	v_and_b32_sdwa v28, v2, s69 dst_sel:DWORD dst_unused:UNUSED_PAD src0_sel:BYTE_3 src1_sel:DWORD
	v_and_b32_e32 v48, 0x7f800000, v2
	v_mov_b32_e32 v49, v39
	v_and_b32_e32 v38, 0x7fffff, v2
	v_or_b32_e32 v37, 0x7e, v28
	v_cmp_ne_u64_e32 vcc, s[38:39], v[48:49]
	s_and_saveexec_b64 s[20:21], vcc
	s_xor_b64 s[54:55], exec, s[20:21]
	s_cbranch_execz .LBB6_8166
; %bb.8153:                             ;   in Loop: Header=BB6_7723 Depth=2
	v_and_b32_e32 v48, 0x7fffffff, v2
	v_mov_b32_e32 v49, v39
	v_cmp_gt_u64_e32 vcc, s[40:41], v[48:49]
	s_and_saveexec_b64 s[20:21], vcc
	s_xor_b64 s[56:57], exec, s[20:21]
	s_cbranch_execz .LBB6_8165
; %bb.8154:                             ;   in Loop: Header=BB6_7723 Depth=2
	v_cmp_ne_u32_e32 vcc, 0, v2
	v_mov_b32_e32 v37, 0
	s_and_saveexec_b64 s[58:59], vcc
	s_cbranch_execz .LBB6_8164
; %bb.8155:                             ;   in Loop: Header=BB6_7723 Depth=2
	v_bfe_u32 v2, v2, 23, 8
	v_sub_u32_e32 v29, 0x79, v2
	v_cmp_gt_u32_e32 vcc, s70, v2
	v_add_u32_e32 v3, 0xffffff81, v2
	v_cndmask_b32_e32 v29, 0, v29, vcc
	v_cmp_eq_u32_e32 vcc, 0, v2
	v_mov_b32_e32 v2, 0xffffff82
	v_cndmask_b32_e32 v54, v3, v2, vcc
	v_mov_b32_e32 v2, 0x78
	v_or_b32_e32 v37, 0x800000, v38
	v_cndmask_b32_e32 v29, v29, v2, vcc
	v_cndmask_b32_e32 v38, v37, v38, vcc
	v_add_u32_e32 v2, 20, v29
	v_lshlrev_b64 v[2:3], v2, -1
	v_add_u32_e32 v37, 19, v29
	v_lshrrev_b64 v[50:51], v29, v[38:39]
	v_not_b32_e32 v3, v3
	v_not_b32_e32 v2, v2
	v_lshlrev_b64 v[48:49], v37, 1
	v_lshrrev_b32_e32 v37, 23, v50
	v_and_b32_e32 v3, 0, v3
	v_and_b32_e32 v2, v38, v2
	v_add3_u32 v38, v29, v54, v37
	v_bfe_u32 v29, v50, 20, 1
	v_add_u32_e32 v29, -1, v29
	v_cmp_eq_u64_e32 vcc, v[2:3], v[48:49]
	v_cndmask_b32_e32 v2, 0, v29, vcc
	v_add_u32_e32 v2, v2, v50
	v_and_b32_e32 v2, 0xfffff, v2
	v_add_co_u32_e32 v2, vcc, v2, v50
	v_add_u32_e32 v37, 6, v38
	v_addc_co_u32_e32 v3, vcc, 0, v51, vcc
	v_cmp_ne_u32_e32 vcc, 0, v37
                                        ; implicit-def: $vgpr29
	s_and_saveexec_b64 s[20:21], vcc
	s_xor_b64 s[20:21], exec, s[20:21]
; %bb.8156:                             ;   in Loop: Header=BB6_7723 Depth=2
	v_add_u32_e32 v29, 7, v38
	v_cmp_lt_u64_e32 vcc, s[44:45], v[2:3]
	v_cndmask_b32_e32 v29, v37, v29, vcc
	v_cndmask_b32_e64 v37, 0, 1, vcc
	v_lshrrev_b64 v[2:3], v37, v[2:3]
; %bb.8157:                             ;   in Loop: Header=BB6_7723 Depth=2
	s_andn2_saveexec_b64 s[20:21], s[20:21]
; %bb.8158:                             ;   in Loop: Header=BB6_7723 Depth=2
	v_bfe_u32 v29, v2, 23, 1
; %bb.8159:                             ;   in Loop: Header=BB6_7723 Depth=2
	s_or_b64 exec, exec, s[20:21]
	v_lshrrev_b64 v[2:3], 20, v[2:3]
	v_cmp_gt_i32_e32 vcc, 16, v29
	v_cndmask_b32_e32 v3, 0, v3, vcc
	v_cndmask_b32_e32 v2, 7, v2, vcc
	v_cmp_ne_u32_e32 vcc, 0, v29
	v_cmp_ne_u64_e64 s[20:21], 0, v[2:3]
	s_or_b64 s[20:21], vcc, s[20:21]
                                        ; implicit-def: $vgpr37
	s_and_saveexec_b64 vcc, s[20:21]
	s_xor_b64 s[20:21], exec, vcc
; %bb.8160:                             ;   in Loop: Header=BB6_7723 Depth=2
	v_min_i32_e32 v3, 15, v29
	v_lshl_or_b32 v3, v3, 3, v28
	v_and_or_b32 v37, v2, 7, v3
                                        ; implicit-def: $vgpr28
; %bb.8161:                             ;   in Loop: Header=BB6_7723 Depth=2
	s_andn2_saveexec_b64 s[20:21], s[20:21]
; %bb.8162:                             ;   in Loop: Header=BB6_7723 Depth=2
	v_mov_b32_e32 v37, v28
; %bb.8163:                             ;   in Loop: Header=BB6_7723 Depth=2
	s_or_b64 exec, exec, s[20:21]
.LBB6_8164:                             ;   in Loop: Header=BB6_7723 Depth=2
	s_or_b64 exec, exec, s[58:59]
.LBB6_8165:                             ;   in Loop: Header=BB6_7723 Depth=2
	s_andn2_saveexec_b64 s[20:21], s[56:57]
	s_or_b64 exec, exec, s[20:21]
                                        ; implicit-def: $vgpr2
.LBB6_8166:                             ;   in Loop: Header=BB6_7723 Depth=2
	s_andn2_saveexec_b64 s[20:21], s[54:55]
; %bb.8167:                             ;   in Loop: Header=BB6_7723 Depth=2
	v_or_b32_sdwa v2, v2, s68 dst_sel:DWORD dst_unused:UNUSED_PAD src0_sel:BYTE_3 src1_sel:DWORD
	v_cmp_eq_u64_e32 vcc, 0, v[38:39]
	v_cndmask_b32_e32 v37, v2, v37, vcc
; %bb.8168:                             ;   in Loop: Header=BB6_7723 Depth=2
	s_or_b64 exec, exec, s[20:21]
	flat_load_ubyte v3, v[16:17] offset:1280 glc slc
	v_mov_b32_e32 v28, 0
	s_waitcnt vmcnt(0) lgkmcnt(0)
	v_cmp_ne_u16_e32 vcc, 0, v3
	s_and_saveexec_b64 s[20:21], vcc
	s_cbranch_execz .LBB6_8174
; %bb.8169:                             ;   in Loop: Header=BB6_7723 Depth=2
	v_cmp_ne_u16_e32 vcc, s69, v3
	v_bfrev_b32_e32 v28, 1
	s_and_saveexec_b64 s[54:55], vcc
	s_cbranch_execz .LBB6_8173
; %bb.8170:                             ;   in Loop: Header=BB6_7723 Depth=2
	v_and_b32_e32 v2, 0xffff, v3
	v_and_b32_e32 v29, 0x7f, v2
	v_cmp_ne_u32_e32 vcc, s68, v29
	v_mov_b32_e32 v28, 0x7f800001
	s_and_saveexec_b64 s[56:57], vcc
	s_cbranch_execz .LBB6_8172
; %bb.8171:                             ;   in Loop: Header=BB6_7723 Depth=2
	v_and_b32_e32 v28, 7, v2
	v_ffbh_u32_e32 v48, v28
	v_min_u32_e32 v50, 32, v48
	v_subrev_u32_e32 v48, 28, v50
	v_lshlrev_b64 v[48:49], v48, v[2:3]
	v_lshrrev_b32_e32 v38, 3, v29
	v_sub_u32_e32 v2, 29, v50
	v_and_b32_e32 v48, 7, v48
	v_cmp_gt_u32_e32 vcc, 8, v29
	v_cndmask_b32_e32 v2, v38, v2, vcc
	v_cndmask_b32_e32 v28, v28, v48, vcc
	v_lshlrev_b32_e32 v3, 24, v3
	v_bfrev_b32_e32 v29, 60
	v_lshlrev_b32_e32 v28, 20, v28
	v_and_b32_e32 v3, 0x80000000, v3
	v_lshl_add_u32 v2, v2, 23, v29
	v_or3_b32 v28, v3, v2, v28
.LBB6_8172:                             ;   in Loop: Header=BB6_7723 Depth=2
	s_or_b64 exec, exec, s[56:57]
.LBB6_8173:                             ;   in Loop: Header=BB6_7723 Depth=2
	s_or_b64 exec, exec, s[54:55]
.LBB6_8174:                             ;   in Loop: Header=BB6_7723 Depth=2
	s_or_b64 exec, exec, s[20:21]
	v_mul_f32_e32 v2, s60, v28
	v_and_b32_sdwa v28, v2, s69 dst_sel:DWORD dst_unused:UNUSED_PAD src0_sel:BYTE_3 src1_sel:DWORD
	v_and_b32_e32 v50, 0x7f800000, v2
	v_mov_b32_e32 v51, v39
	v_and_b32_e32 v38, 0x7fffff, v2
	v_or_b32_e32 v48, 0x7e, v28
	v_cmp_ne_u64_e32 vcc, s[38:39], v[50:51]
	s_and_saveexec_b64 s[20:21], vcc
	s_xor_b64 s[54:55], exec, s[20:21]
	s_cbranch_execz .LBB6_8188
; %bb.8175:                             ;   in Loop: Header=BB6_7723 Depth=2
	v_and_b32_e32 v50, 0x7fffffff, v2
	v_mov_b32_e32 v51, v39
	v_cmp_gt_u64_e32 vcc, s[40:41], v[50:51]
	s_and_saveexec_b64 s[20:21], vcc
	s_xor_b64 s[56:57], exec, s[20:21]
	s_cbranch_execz .LBB6_8187
; %bb.8176:                             ;   in Loop: Header=BB6_7723 Depth=2
	v_cmp_ne_u32_e32 vcc, 0, v2
	v_mov_b32_e32 v48, 0
	s_and_saveexec_b64 s[58:59], vcc
	s_cbranch_execz .LBB6_8186
; %bb.8177:                             ;   in Loop: Header=BB6_7723 Depth=2
	v_bfe_u32 v2, v2, 23, 8
	v_sub_u32_e32 v29, 0x79, v2
	v_cmp_gt_u32_e32 vcc, s70, v2
	v_add_u32_e32 v3, 0xffffff81, v2
	v_cndmask_b32_e32 v29, 0, v29, vcc
	v_cmp_eq_u32_e32 vcc, 0, v2
	v_mov_b32_e32 v2, 0xffffff82
	v_cndmask_b32_e32 v49, v3, v2, vcc
	v_mov_b32_e32 v2, 0x78
	v_cndmask_b32_e32 v29, v29, v2, vcc
	v_or_b32_e32 v48, 0x800000, v38
	v_add_u32_e32 v2, 20, v29
	v_cndmask_b32_e32 v38, v48, v38, vcc
	v_lshlrev_b64 v[2:3], v2, -1
	v_not_b32_e32 v2, v2
	v_lshrrev_b64 v[54:55], v29, v[38:39]
	v_not_b32_e32 v3, v3
	v_and_b32_e32 v2, v38, v2
	v_add_u32_e32 v48, 19, v29
	v_lshrrev_b32_e32 v38, 23, v54
	v_and_b32_e32 v3, 0, v3
	v_lshlrev_b64 v[50:51], v48, 1
	v_add3_u32 v48, v29, v49, v38
	v_bfe_u32 v29, v54, 20, 1
	v_add_u32_e32 v29, -1, v29
	v_cmp_eq_u64_e32 vcc, v[2:3], v[50:51]
	v_cndmask_b32_e32 v2, 0, v29, vcc
	v_add_u32_e32 v2, v2, v54
	v_and_b32_e32 v2, 0xfffff, v2
	v_add_co_u32_e32 v2, vcc, v2, v54
	v_add_u32_e32 v38, 6, v48
	v_addc_co_u32_e32 v3, vcc, 0, v55, vcc
	v_cmp_ne_u32_e32 vcc, 0, v38
                                        ; implicit-def: $vgpr29
	s_and_saveexec_b64 s[20:21], vcc
	s_xor_b64 s[20:21], exec, s[20:21]
; %bb.8178:                             ;   in Loop: Header=BB6_7723 Depth=2
	v_add_u32_e32 v29, 7, v48
	v_cmp_lt_u64_e32 vcc, s[44:45], v[2:3]
	v_cndmask_b32_e32 v29, v38, v29, vcc
	v_cndmask_b32_e64 v38, 0, 1, vcc
	v_lshrrev_b64 v[2:3], v38, v[2:3]
; %bb.8179:                             ;   in Loop: Header=BB6_7723 Depth=2
	s_andn2_saveexec_b64 s[20:21], s[20:21]
; %bb.8180:                             ;   in Loop: Header=BB6_7723 Depth=2
	v_bfe_u32 v29, v2, 23, 1
; %bb.8181:                             ;   in Loop: Header=BB6_7723 Depth=2
	s_or_b64 exec, exec, s[20:21]
	v_lshrrev_b64 v[2:3], 20, v[2:3]
	v_cmp_gt_i32_e32 vcc, 16, v29
	v_cndmask_b32_e32 v3, 0, v3, vcc
	v_cndmask_b32_e32 v2, 7, v2, vcc
	v_cmp_ne_u32_e32 vcc, 0, v29
	v_cmp_ne_u64_e64 s[20:21], 0, v[2:3]
	s_or_b64 s[20:21], vcc, s[20:21]
                                        ; implicit-def: $vgpr48
	s_and_saveexec_b64 vcc, s[20:21]
	s_xor_b64 s[20:21], exec, vcc
; %bb.8182:                             ;   in Loop: Header=BB6_7723 Depth=2
	v_min_i32_e32 v3, 15, v29
	v_lshl_or_b32 v3, v3, 3, v28
	v_and_or_b32 v48, v2, 7, v3
                                        ; implicit-def: $vgpr28
; %bb.8183:                             ;   in Loop: Header=BB6_7723 Depth=2
	s_andn2_saveexec_b64 s[20:21], s[20:21]
; %bb.8184:                             ;   in Loop: Header=BB6_7723 Depth=2
	v_mov_b32_e32 v48, v28
; %bb.8185:                             ;   in Loop: Header=BB6_7723 Depth=2
	s_or_b64 exec, exec, s[20:21]
.LBB6_8186:                             ;   in Loop: Header=BB6_7723 Depth=2
	s_or_b64 exec, exec, s[58:59]
.LBB6_8187:                             ;   in Loop: Header=BB6_7723 Depth=2
	s_andn2_saveexec_b64 s[20:21], s[56:57]
	s_or_b64 exec, exec, s[20:21]
                                        ; implicit-def: $vgpr2
.LBB6_8188:                             ;   in Loop: Header=BB6_7723 Depth=2
	s_andn2_saveexec_b64 s[20:21], s[54:55]
; %bb.8189:                             ;   in Loop: Header=BB6_7723 Depth=2
	v_or_b32_sdwa v2, v2, s68 dst_sel:DWORD dst_unused:UNUSED_PAD src0_sel:BYTE_3 src1_sel:DWORD
	v_cmp_eq_u64_e32 vcc, 0, v[38:39]
	v_cndmask_b32_e32 v48, v2, v48, vcc
; %bb.8190:                             ;   in Loop: Header=BB6_7723 Depth=2
	s_or_b64 exec, exec, s[20:21]
	flat_load_ubyte v3, v[16:17] offset:1344 glc slc
	v_mov_b32_e32 v28, 0
	s_waitcnt vmcnt(0) lgkmcnt(0)
	v_cmp_ne_u16_e32 vcc, 0, v3
	s_and_saveexec_b64 s[20:21], vcc
	s_cbranch_execz .LBB6_8196
; %bb.8191:                             ;   in Loop: Header=BB6_7723 Depth=2
	v_cmp_ne_u16_e32 vcc, s69, v3
	v_bfrev_b32_e32 v28, 1
	s_and_saveexec_b64 s[54:55], vcc
	s_cbranch_execz .LBB6_8195
; %bb.8192:                             ;   in Loop: Header=BB6_7723 Depth=2
	v_and_b32_e32 v2, 0xffff, v3
	v_and_b32_e32 v29, 0x7f, v2
	v_cmp_ne_u32_e32 vcc, s68, v29
	v_mov_b32_e32 v28, 0x7f800001
	s_and_saveexec_b64 s[56:57], vcc
	s_cbranch_execz .LBB6_8194
; %bb.8193:                             ;   in Loop: Header=BB6_7723 Depth=2
	v_and_b32_e32 v28, 7, v2
	v_ffbh_u32_e32 v49, v28
	v_min_u32_e32 v49, 32, v49
	v_subrev_u32_e32 v50, 28, v49
	v_lshlrev_b64 v[50:51], v50, v[2:3]
	v_lshrrev_b32_e32 v38, 3, v29
	v_sub_u32_e32 v2, 29, v49
	v_and_b32_e32 v49, 7, v50
	v_cmp_gt_u32_e32 vcc, 8, v29
	v_cndmask_b32_e32 v2, v38, v2, vcc
	v_cndmask_b32_e32 v28, v28, v49, vcc
	v_lshlrev_b32_e32 v3, 24, v3
	v_bfrev_b32_e32 v29, 60
	v_lshlrev_b32_e32 v28, 20, v28
	v_and_b32_e32 v3, 0x80000000, v3
	v_lshl_add_u32 v2, v2, 23, v29
	v_or3_b32 v28, v3, v2, v28
.LBB6_8194:                             ;   in Loop: Header=BB6_7723 Depth=2
	s_or_b64 exec, exec, s[56:57]
.LBB6_8195:                             ;   in Loop: Header=BB6_7723 Depth=2
	s_or_b64 exec, exec, s[54:55]
.LBB6_8196:                             ;   in Loop: Header=BB6_7723 Depth=2
	s_or_b64 exec, exec, s[20:21]
	v_mul_f32_e32 v2, s60, v28
	v_and_b32_sdwa v28, v2, s69 dst_sel:DWORD dst_unused:UNUSED_PAD src0_sel:BYTE_3 src1_sel:DWORD
	v_and_b32_e32 v50, 0x7f800000, v2
	v_mov_b32_e32 v51, v39
	v_and_b32_e32 v38, 0x7fffff, v2
	v_or_b32_e32 v49, 0x7e, v28
	v_cmp_ne_u64_e32 vcc, s[38:39], v[50:51]
	s_and_saveexec_b64 s[20:21], vcc
	s_xor_b64 s[54:55], exec, s[20:21]
	s_cbranch_execz .LBB6_8210
; %bb.8197:                             ;   in Loop: Header=BB6_7723 Depth=2
	v_and_b32_e32 v50, 0x7fffffff, v2
	v_mov_b32_e32 v51, v39
	v_cmp_gt_u64_e32 vcc, s[40:41], v[50:51]
	s_and_saveexec_b64 s[20:21], vcc
	s_xor_b64 s[56:57], exec, s[20:21]
	s_cbranch_execz .LBB6_8209
; %bb.8198:                             ;   in Loop: Header=BB6_7723 Depth=2
	v_cmp_ne_u32_e32 vcc, 0, v2
	v_mov_b32_e32 v49, 0
	s_and_saveexec_b64 s[58:59], vcc
	s_cbranch_execz .LBB6_8208
; %bb.8199:                             ;   in Loop: Header=BB6_7723 Depth=2
	v_bfe_u32 v2, v2, 23, 8
	v_sub_u32_e32 v29, 0x79, v2
	v_cmp_gt_u32_e32 vcc, s70, v2
	v_add_u32_e32 v3, 0xffffff81, v2
	v_cndmask_b32_e32 v29, 0, v29, vcc
	v_cmp_eq_u32_e32 vcc, 0, v2
	v_mov_b32_e32 v2, 0xffffff82
	v_cndmask_b32_e32 v40, v3, v2, vcc
	v_mov_b32_e32 v2, 0x78
	v_cndmask_b32_e32 v29, v29, v2, vcc
	v_or_b32_e32 v49, 0x800000, v38
	v_add_u32_e32 v2, 20, v29
	v_cndmask_b32_e32 v38, v49, v38, vcc
	v_lshlrev_b64 v[2:3], v2, -1
	v_not_b32_e32 v2, v2
	v_lshrrev_b64 v[54:55], v29, v[38:39]
	v_not_b32_e32 v3, v3
	v_and_b32_e32 v2, v38, v2
	v_add_u32_e32 v49, 19, v29
	v_lshrrev_b32_e32 v38, 23, v54
	v_and_b32_e32 v3, 0, v3
	v_lshlrev_b64 v[50:51], v49, 1
	v_add3_u32 v49, v29, v40, v38
	v_bfe_u32 v29, v54, 20, 1
	v_add_u32_e32 v29, -1, v29
	v_cmp_eq_u64_e32 vcc, v[2:3], v[50:51]
	v_cndmask_b32_e32 v2, 0, v29, vcc
	v_add_u32_e32 v2, v2, v54
	v_and_b32_e32 v2, 0xfffff, v2
	v_add_co_u32_e32 v2, vcc, v2, v54
	v_add_u32_e32 v38, 6, v49
	v_addc_co_u32_e32 v3, vcc, 0, v55, vcc
	v_cmp_ne_u32_e32 vcc, 0, v38
                                        ; implicit-def: $vgpr29
	s_and_saveexec_b64 s[20:21], vcc
	s_xor_b64 s[20:21], exec, s[20:21]
; %bb.8200:                             ;   in Loop: Header=BB6_7723 Depth=2
	v_add_u32_e32 v29, 7, v49
	v_cmp_lt_u64_e32 vcc, s[44:45], v[2:3]
	v_cndmask_b32_e32 v29, v38, v29, vcc
	v_cndmask_b32_e64 v38, 0, 1, vcc
	v_lshrrev_b64 v[2:3], v38, v[2:3]
; %bb.8201:                             ;   in Loop: Header=BB6_7723 Depth=2
	s_andn2_saveexec_b64 s[20:21], s[20:21]
; %bb.8202:                             ;   in Loop: Header=BB6_7723 Depth=2
	v_bfe_u32 v29, v2, 23, 1
; %bb.8203:                             ;   in Loop: Header=BB6_7723 Depth=2
	s_or_b64 exec, exec, s[20:21]
	v_lshrrev_b64 v[2:3], 20, v[2:3]
	v_cmp_gt_i32_e32 vcc, 16, v29
	v_cndmask_b32_e32 v3, 0, v3, vcc
	v_cndmask_b32_e32 v2, 7, v2, vcc
	v_cmp_ne_u32_e32 vcc, 0, v29
	v_cmp_ne_u64_e64 s[20:21], 0, v[2:3]
	s_or_b64 s[20:21], vcc, s[20:21]
                                        ; implicit-def: $vgpr49
	s_and_saveexec_b64 vcc, s[20:21]
	s_xor_b64 s[20:21], exec, vcc
; %bb.8204:                             ;   in Loop: Header=BB6_7723 Depth=2
	v_min_i32_e32 v3, 15, v29
	v_lshl_or_b32 v3, v3, 3, v28
	v_and_or_b32 v49, v2, 7, v3
                                        ; implicit-def: $vgpr28
; %bb.8205:                             ;   in Loop: Header=BB6_7723 Depth=2
	s_andn2_saveexec_b64 s[20:21], s[20:21]
; %bb.8206:                             ;   in Loop: Header=BB6_7723 Depth=2
	v_mov_b32_e32 v49, v28
; %bb.8207:                             ;   in Loop: Header=BB6_7723 Depth=2
	s_or_b64 exec, exec, s[20:21]
.LBB6_8208:                             ;   in Loop: Header=BB6_7723 Depth=2
	s_or_b64 exec, exec, s[58:59]
.LBB6_8209:                             ;   in Loop: Header=BB6_7723 Depth=2
	s_andn2_saveexec_b64 s[20:21], s[56:57]
	s_or_b64 exec, exec, s[20:21]
                                        ; implicit-def: $vgpr2
.LBB6_8210:                             ;   in Loop: Header=BB6_7723 Depth=2
	s_andn2_saveexec_b64 s[20:21], s[54:55]
; %bb.8211:                             ;   in Loop: Header=BB6_7723 Depth=2
	v_or_b32_sdwa v2, v2, s68 dst_sel:DWORD dst_unused:UNUSED_PAD src0_sel:BYTE_3 src1_sel:DWORD
	v_cmp_eq_u64_e32 vcc, 0, v[38:39]
	v_cndmask_b32_e32 v49, v2, v49, vcc
; %bb.8212:                             ;   in Loop: Header=BB6_7723 Depth=2
	s_or_b64 exec, exec, s[20:21]
	flat_load_ubyte v3, v[16:17] offset:1408 glc slc
	v_mov_b32_e32 v28, 0
	s_waitcnt vmcnt(0) lgkmcnt(0)
	v_cmp_ne_u16_e32 vcc, 0, v3
	s_and_saveexec_b64 s[20:21], vcc
	s_cbranch_execz .LBB6_8218
; %bb.8213:                             ;   in Loop: Header=BB6_7723 Depth=2
	v_cmp_ne_u16_e32 vcc, s69, v3
	v_bfrev_b32_e32 v28, 1
	s_and_saveexec_b64 s[54:55], vcc
	s_cbranch_execz .LBB6_8217
; %bb.8214:                             ;   in Loop: Header=BB6_7723 Depth=2
	v_and_b32_e32 v2, 0xffff, v3
	v_and_b32_e32 v29, 0x7f, v2
	v_cmp_ne_u32_e32 vcc, s68, v29
	v_mov_b32_e32 v28, 0x7f800001
	s_and_saveexec_b64 s[56:57], vcc
	s_cbranch_execz .LBB6_8216
; %bb.8215:                             ;   in Loop: Header=BB6_7723 Depth=2
	v_and_b32_e32 v28, 7, v2
	v_ffbh_u32_e32 v50, v28
	v_min_u32_e32 v54, 32, v50
	v_subrev_u32_e32 v50, 28, v54
	v_lshlrev_b64 v[50:51], v50, v[2:3]
	v_lshrrev_b32_e32 v38, 3, v29
	v_sub_u32_e32 v2, 29, v54
	v_and_b32_e32 v50, 7, v50
	v_cmp_gt_u32_e32 vcc, 8, v29
	v_cndmask_b32_e32 v2, v38, v2, vcc
	v_cndmask_b32_e32 v28, v28, v50, vcc
	v_lshlrev_b32_e32 v3, 24, v3
	v_bfrev_b32_e32 v29, 60
	v_lshlrev_b32_e32 v28, 20, v28
	v_and_b32_e32 v3, 0x80000000, v3
	v_lshl_add_u32 v2, v2, 23, v29
	v_or3_b32 v28, v3, v2, v28
.LBB6_8216:                             ;   in Loop: Header=BB6_7723 Depth=2
	s_or_b64 exec, exec, s[56:57]
.LBB6_8217:                             ;   in Loop: Header=BB6_7723 Depth=2
	s_or_b64 exec, exec, s[54:55]
.LBB6_8218:                             ;   in Loop: Header=BB6_7723 Depth=2
	s_or_b64 exec, exec, s[20:21]
	v_mul_f32_e32 v2, s60, v28
	v_and_b32_sdwa v28, v2, s69 dst_sel:DWORD dst_unused:UNUSED_PAD src0_sel:BYTE_3 src1_sel:DWORD
	v_and_b32_e32 v54, 0x7f800000, v2
	v_mov_b32_e32 v55, v39
	v_and_b32_e32 v38, 0x7fffff, v2
	v_or_b32_e32 v50, 0x7e, v28
	v_cmp_ne_u64_e32 vcc, s[38:39], v[54:55]
	s_and_saveexec_b64 s[20:21], vcc
	s_xor_b64 s[54:55], exec, s[20:21]
	s_cbranch_execz .LBB6_8232
; %bb.8219:                             ;   in Loop: Header=BB6_7723 Depth=2
	v_and_b32_e32 v54, 0x7fffffff, v2
	v_mov_b32_e32 v55, v39
	v_cmp_gt_u64_e32 vcc, s[40:41], v[54:55]
	s_and_saveexec_b64 s[20:21], vcc
	s_xor_b64 s[56:57], exec, s[20:21]
	s_cbranch_execz .LBB6_8231
; %bb.8220:                             ;   in Loop: Header=BB6_7723 Depth=2
	v_cmp_ne_u32_e32 vcc, 0, v2
	v_mov_b32_e32 v50, 0
	s_and_saveexec_b64 s[58:59], vcc
	s_cbranch_execz .LBB6_8230
; %bb.8221:                             ;   in Loop: Header=BB6_7723 Depth=2
	v_bfe_u32 v2, v2, 23, 8
	v_sub_u32_e32 v29, 0x79, v2
	v_cmp_gt_u32_e32 vcc, s70, v2
	v_add_u32_e32 v3, 0xffffff81, v2
	v_cndmask_b32_e32 v29, 0, v29, vcc
	v_cmp_eq_u32_e32 vcc, 0, v2
	v_mov_b32_e32 v2, 0xffffff82
	v_cndmask_b32_e32 v51, v3, v2, vcc
	v_mov_b32_e32 v2, 0x78
	v_cndmask_b32_e32 v29, v29, v2, vcc
	v_or_b32_e32 v50, 0x800000, v38
	v_add_u32_e32 v2, 20, v29
	v_cndmask_b32_e32 v38, v50, v38, vcc
	v_lshlrev_b64 v[2:3], v2, -1
	v_not_b32_e32 v2, v2
	v_lshrrev_b64 v[40:41], v29, v[38:39]
	v_not_b32_e32 v3, v3
	v_and_b32_e32 v2, v38, v2
	v_add_u32_e32 v50, 19, v29
	v_lshrrev_b32_e32 v38, 23, v40
	v_and_b32_e32 v3, 0, v3
	v_lshlrev_b64 v[54:55], v50, 1
	v_add3_u32 v50, v29, v51, v38
	v_bfe_u32 v29, v40, 20, 1
	v_add_u32_e32 v29, -1, v29
	v_cmp_eq_u64_e32 vcc, v[2:3], v[54:55]
	v_cndmask_b32_e32 v2, 0, v29, vcc
	v_add_u32_e32 v2, v2, v40
	v_and_b32_e32 v2, 0xfffff, v2
	v_add_co_u32_e32 v2, vcc, v2, v40
	v_add_u32_e32 v38, 6, v50
	v_addc_co_u32_e32 v3, vcc, 0, v41, vcc
	v_cmp_ne_u32_e32 vcc, 0, v38
                                        ; implicit-def: $vgpr29
	s_and_saveexec_b64 s[20:21], vcc
	s_xor_b64 s[20:21], exec, s[20:21]
; %bb.8222:                             ;   in Loop: Header=BB6_7723 Depth=2
	v_add_u32_e32 v29, 7, v50
	v_cmp_lt_u64_e32 vcc, s[44:45], v[2:3]
	v_cndmask_b32_e32 v29, v38, v29, vcc
	v_cndmask_b32_e64 v38, 0, 1, vcc
	v_lshrrev_b64 v[2:3], v38, v[2:3]
; %bb.8223:                             ;   in Loop: Header=BB6_7723 Depth=2
	s_andn2_saveexec_b64 s[20:21], s[20:21]
; %bb.8224:                             ;   in Loop: Header=BB6_7723 Depth=2
	v_bfe_u32 v29, v2, 23, 1
; %bb.8225:                             ;   in Loop: Header=BB6_7723 Depth=2
	s_or_b64 exec, exec, s[20:21]
	v_lshrrev_b64 v[2:3], 20, v[2:3]
	v_cmp_gt_i32_e32 vcc, 16, v29
	v_cndmask_b32_e32 v3, 0, v3, vcc
	v_cndmask_b32_e32 v2, 7, v2, vcc
	v_cmp_ne_u32_e32 vcc, 0, v29
	v_cmp_ne_u64_e64 s[20:21], 0, v[2:3]
	s_or_b64 s[20:21], vcc, s[20:21]
                                        ; implicit-def: $vgpr50
	s_and_saveexec_b64 vcc, s[20:21]
	s_xor_b64 s[20:21], exec, vcc
; %bb.8226:                             ;   in Loop: Header=BB6_7723 Depth=2
	v_min_i32_e32 v3, 15, v29
	v_lshl_or_b32 v3, v3, 3, v28
	v_and_or_b32 v50, v2, 7, v3
                                        ; implicit-def: $vgpr28
; %bb.8227:                             ;   in Loop: Header=BB6_7723 Depth=2
	s_andn2_saveexec_b64 s[20:21], s[20:21]
; %bb.8228:                             ;   in Loop: Header=BB6_7723 Depth=2
	v_mov_b32_e32 v50, v28
; %bb.8229:                             ;   in Loop: Header=BB6_7723 Depth=2
	s_or_b64 exec, exec, s[20:21]
.LBB6_8230:                             ;   in Loop: Header=BB6_7723 Depth=2
	s_or_b64 exec, exec, s[58:59]
.LBB6_8231:                             ;   in Loop: Header=BB6_7723 Depth=2
	s_andn2_saveexec_b64 s[20:21], s[56:57]
	s_or_b64 exec, exec, s[20:21]
                                        ; implicit-def: $vgpr2
.LBB6_8232:                             ;   in Loop: Header=BB6_7723 Depth=2
	s_andn2_saveexec_b64 s[20:21], s[54:55]
; %bb.8233:                             ;   in Loop: Header=BB6_7723 Depth=2
	v_or_b32_sdwa v2, v2, s68 dst_sel:DWORD dst_unused:UNUSED_PAD src0_sel:BYTE_3 src1_sel:DWORD
	v_cmp_eq_u64_e32 vcc, 0, v[38:39]
	v_cndmask_b32_e32 v50, v2, v50, vcc
; %bb.8234:                             ;   in Loop: Header=BB6_7723 Depth=2
	s_or_b64 exec, exec, s[20:21]
	flat_load_ubyte v3, v[16:17] offset:1472 glc slc
	v_mov_b32_e32 v28, 0
	s_waitcnt vmcnt(0) lgkmcnt(0)
	v_cmp_ne_u16_e32 vcc, 0, v3
	s_and_saveexec_b64 s[20:21], vcc
	s_cbranch_execz .LBB6_8240
; %bb.8235:                             ;   in Loop: Header=BB6_7723 Depth=2
	v_cmp_ne_u16_e32 vcc, s69, v3
	v_bfrev_b32_e32 v28, 1
	s_and_saveexec_b64 s[54:55], vcc
	s_cbranch_execz .LBB6_8239
; %bb.8236:                             ;   in Loop: Header=BB6_7723 Depth=2
	v_and_b32_e32 v2, 0xffff, v3
	v_and_b32_e32 v29, 0x7f, v2
	v_cmp_ne_u32_e32 vcc, s68, v29
	v_mov_b32_e32 v28, 0x7f800001
	s_and_saveexec_b64 s[56:57], vcc
	s_cbranch_execz .LBB6_8238
; %bb.8237:                             ;   in Loop: Header=BB6_7723 Depth=2
	v_and_b32_e32 v28, 7, v2
	v_ffbh_u32_e32 v51, v28
	v_min_u32_e32 v51, 32, v51
	v_subrev_u32_e32 v54, 28, v51
	v_lshlrev_b64 v[54:55], v54, v[2:3]
	v_lshrrev_b32_e32 v38, 3, v29
	v_sub_u32_e32 v2, 29, v51
	v_and_b32_e32 v51, 7, v54
	v_cmp_gt_u32_e32 vcc, 8, v29
	v_cndmask_b32_e32 v2, v38, v2, vcc
	v_cndmask_b32_e32 v28, v28, v51, vcc
	v_lshlrev_b32_e32 v3, 24, v3
	v_bfrev_b32_e32 v29, 60
	v_lshlrev_b32_e32 v28, 20, v28
	v_and_b32_e32 v3, 0x80000000, v3
	v_lshl_add_u32 v2, v2, 23, v29
	v_or3_b32 v28, v3, v2, v28
.LBB6_8238:                             ;   in Loop: Header=BB6_7723 Depth=2
	s_or_b64 exec, exec, s[56:57]
.LBB6_8239:                             ;   in Loop: Header=BB6_7723 Depth=2
	s_or_b64 exec, exec, s[54:55]
.LBB6_8240:                             ;   in Loop: Header=BB6_7723 Depth=2
	s_or_b64 exec, exec, s[20:21]
	v_mul_f32_e32 v2, s60, v28
	v_and_b32_sdwa v28, v2, s69 dst_sel:DWORD dst_unused:UNUSED_PAD src0_sel:BYTE_3 src1_sel:DWORD
	v_and_b32_e32 v54, 0x7f800000, v2
	v_mov_b32_e32 v55, v39
	v_and_b32_e32 v38, 0x7fffff, v2
	v_or_b32_e32 v51, 0x7e, v28
	v_cmp_ne_u64_e32 vcc, s[38:39], v[54:55]
	s_and_saveexec_b64 s[20:21], vcc
	s_xor_b64 s[54:55], exec, s[20:21]
	s_cbranch_execz .LBB6_8254
; %bb.8241:                             ;   in Loop: Header=BB6_7723 Depth=2
	v_and_b32_e32 v54, 0x7fffffff, v2
	v_mov_b32_e32 v55, v39
	v_cmp_gt_u64_e32 vcc, s[40:41], v[54:55]
	s_and_saveexec_b64 s[20:21], vcc
	s_xor_b64 s[56:57], exec, s[20:21]
	s_cbranch_execz .LBB6_8253
; %bb.8242:                             ;   in Loop: Header=BB6_7723 Depth=2
	v_cmp_ne_u32_e32 vcc, 0, v2
	v_mov_b32_e32 v51, 0
	s_and_saveexec_b64 s[58:59], vcc
	s_cbranch_execz .LBB6_8252
; %bb.8243:                             ;   in Loop: Header=BB6_7723 Depth=2
	v_bfe_u32 v2, v2, 23, 8
	v_sub_u32_e32 v29, 0x79, v2
	v_cmp_gt_u32_e32 vcc, s70, v2
	v_add_u32_e32 v3, 0xffffff81, v2
	v_cndmask_b32_e32 v29, 0, v29, vcc
	v_cmp_eq_u32_e32 vcc, 0, v2
	v_mov_b32_e32 v2, 0xffffff82
	v_cndmask_b32_e32 v42, v3, v2, vcc
	v_mov_b32_e32 v2, 0x78
	v_cndmask_b32_e32 v29, v29, v2, vcc
	v_or_b32_e32 v51, 0x800000, v38
	v_add_u32_e32 v2, 20, v29
	v_cndmask_b32_e32 v38, v51, v38, vcc
	v_lshlrev_b64 v[2:3], v2, -1
	v_not_b32_e32 v2, v2
	v_lshrrev_b64 v[40:41], v29, v[38:39]
	v_not_b32_e32 v3, v3
	v_and_b32_e32 v2, v38, v2
	v_add_u32_e32 v51, 19, v29
	v_lshrrev_b32_e32 v38, 23, v40
	v_and_b32_e32 v3, 0, v3
	v_lshlrev_b64 v[54:55], v51, 1
	v_add3_u32 v51, v29, v42, v38
	v_bfe_u32 v29, v40, 20, 1
	v_add_u32_e32 v29, -1, v29
	v_cmp_eq_u64_e32 vcc, v[2:3], v[54:55]
	v_cndmask_b32_e32 v2, 0, v29, vcc
	v_add_u32_e32 v2, v2, v40
	v_and_b32_e32 v2, 0xfffff, v2
	v_add_co_u32_e32 v2, vcc, v2, v40
	v_add_u32_e32 v38, 6, v51
	v_addc_co_u32_e32 v3, vcc, 0, v41, vcc
	v_cmp_ne_u32_e32 vcc, 0, v38
                                        ; implicit-def: $vgpr29
	s_and_saveexec_b64 s[20:21], vcc
	s_xor_b64 s[20:21], exec, s[20:21]
; %bb.8244:                             ;   in Loop: Header=BB6_7723 Depth=2
	v_add_u32_e32 v29, 7, v51
	v_cmp_lt_u64_e32 vcc, s[44:45], v[2:3]
	v_cndmask_b32_e32 v29, v38, v29, vcc
	v_cndmask_b32_e64 v38, 0, 1, vcc
	v_lshrrev_b64 v[2:3], v38, v[2:3]
; %bb.8245:                             ;   in Loop: Header=BB6_7723 Depth=2
	s_andn2_saveexec_b64 s[20:21], s[20:21]
; %bb.8246:                             ;   in Loop: Header=BB6_7723 Depth=2
	v_bfe_u32 v29, v2, 23, 1
; %bb.8247:                             ;   in Loop: Header=BB6_7723 Depth=2
	s_or_b64 exec, exec, s[20:21]
	v_lshrrev_b64 v[2:3], 20, v[2:3]
	v_cmp_gt_i32_e32 vcc, 16, v29
	v_cndmask_b32_e32 v3, 0, v3, vcc
	v_cndmask_b32_e32 v2, 7, v2, vcc
	v_cmp_ne_u32_e32 vcc, 0, v29
	v_cmp_ne_u64_e64 s[20:21], 0, v[2:3]
	s_or_b64 s[20:21], vcc, s[20:21]
                                        ; implicit-def: $vgpr51
	s_and_saveexec_b64 vcc, s[20:21]
	s_xor_b64 s[20:21], exec, vcc
; %bb.8248:                             ;   in Loop: Header=BB6_7723 Depth=2
	v_min_i32_e32 v3, 15, v29
	v_lshl_or_b32 v3, v3, 3, v28
	v_and_or_b32 v51, v2, 7, v3
                                        ; implicit-def: $vgpr28
; %bb.8249:                             ;   in Loop: Header=BB6_7723 Depth=2
	s_andn2_saveexec_b64 s[20:21], s[20:21]
; %bb.8250:                             ;   in Loop: Header=BB6_7723 Depth=2
	v_mov_b32_e32 v51, v28
; %bb.8251:                             ;   in Loop: Header=BB6_7723 Depth=2
	s_or_b64 exec, exec, s[20:21]
.LBB6_8252:                             ;   in Loop: Header=BB6_7723 Depth=2
	s_or_b64 exec, exec, s[58:59]
.LBB6_8253:                             ;   in Loop: Header=BB6_7723 Depth=2
	s_andn2_saveexec_b64 s[20:21], s[56:57]
	s_or_b64 exec, exec, s[20:21]
                                        ; implicit-def: $vgpr2
.LBB6_8254:                             ;   in Loop: Header=BB6_7723 Depth=2
	s_andn2_saveexec_b64 s[20:21], s[54:55]
; %bb.8255:                             ;   in Loop: Header=BB6_7723 Depth=2
	v_or_b32_sdwa v2, v2, s68 dst_sel:DWORD dst_unused:UNUSED_PAD src0_sel:BYTE_3 src1_sel:DWORD
	v_cmp_eq_u64_e32 vcc, 0, v[38:39]
	v_cndmask_b32_e32 v51, v2, v51, vcc
; %bb.8256:                             ;   in Loop: Header=BB6_7723 Depth=2
	s_or_b64 exec, exec, s[20:21]
	flat_load_ubyte v3, v[16:17] offset:1536 glc slc
	v_mov_b32_e32 v28, 0
	s_waitcnt vmcnt(0) lgkmcnt(0)
	v_cmp_ne_u16_e32 vcc, 0, v3
	s_and_saveexec_b64 s[20:21], vcc
	s_cbranch_execz .LBB6_8262
; %bb.8257:                             ;   in Loop: Header=BB6_7723 Depth=2
	v_cmp_ne_u16_e32 vcc, s69, v3
	v_bfrev_b32_e32 v28, 1
	s_and_saveexec_b64 s[54:55], vcc
	s_cbranch_execz .LBB6_8261
; %bb.8258:                             ;   in Loop: Header=BB6_7723 Depth=2
	v_and_b32_e32 v2, 0xffff, v3
	v_and_b32_e32 v29, 0x7f, v2
	v_cmp_ne_u32_e32 vcc, s68, v29
	v_mov_b32_e32 v28, 0x7f800001
	s_and_saveexec_b64 s[56:57], vcc
	s_cbranch_execz .LBB6_8260
; %bb.8259:                             ;   in Loop: Header=BB6_7723 Depth=2
	v_and_b32_e32 v28, 7, v2
	v_ffbh_u32_e32 v54, v28
	v_min_u32_e32 v40, 32, v54
	v_subrev_u32_e32 v54, 28, v40
	v_lshlrev_b64 v[54:55], v54, v[2:3]
	v_lshrrev_b32_e32 v38, 3, v29
	v_sub_u32_e32 v2, 29, v40
	v_and_b32_e32 v54, 7, v54
	v_cmp_gt_u32_e32 vcc, 8, v29
	v_cndmask_b32_e32 v2, v38, v2, vcc
	v_cndmask_b32_e32 v28, v28, v54, vcc
	v_lshlrev_b32_e32 v3, 24, v3
	v_bfrev_b32_e32 v29, 60
	v_lshlrev_b32_e32 v28, 20, v28
	v_and_b32_e32 v3, 0x80000000, v3
	v_lshl_add_u32 v2, v2, 23, v29
	v_or3_b32 v28, v3, v2, v28
.LBB6_8260:                             ;   in Loop: Header=BB6_7723 Depth=2
	s_or_b64 exec, exec, s[56:57]
.LBB6_8261:                             ;   in Loop: Header=BB6_7723 Depth=2
	s_or_b64 exec, exec, s[54:55]
.LBB6_8262:                             ;   in Loop: Header=BB6_7723 Depth=2
	s_or_b64 exec, exec, s[20:21]
	v_mul_f32_e32 v2, s60, v28
	v_and_b32_sdwa v28, v2, s69 dst_sel:DWORD dst_unused:UNUSED_PAD src0_sel:BYTE_3 src1_sel:DWORD
	v_and_b32_e32 v40, 0x7f800000, v2
	v_mov_b32_e32 v41, v39
	v_and_b32_e32 v38, 0x7fffff, v2
	v_or_b32_e32 v54, 0x7e, v28
	v_cmp_ne_u64_e32 vcc, s[38:39], v[40:41]
	s_and_saveexec_b64 s[20:21], vcc
	s_xor_b64 s[54:55], exec, s[20:21]
	s_cbranch_execz .LBB6_8276
; %bb.8263:                             ;   in Loop: Header=BB6_7723 Depth=2
	v_and_b32_e32 v40, 0x7fffffff, v2
	v_mov_b32_e32 v41, v39
	v_cmp_gt_u64_e32 vcc, s[40:41], v[40:41]
	s_and_saveexec_b64 s[20:21], vcc
	s_xor_b64 s[56:57], exec, s[20:21]
	s_cbranch_execz .LBB6_8275
; %bb.8264:                             ;   in Loop: Header=BB6_7723 Depth=2
	v_cmp_ne_u32_e32 vcc, 0, v2
	v_mov_b32_e32 v54, 0
	s_and_saveexec_b64 s[58:59], vcc
	s_cbranch_execz .LBB6_8274
; %bb.8265:                             ;   in Loop: Header=BB6_7723 Depth=2
	v_bfe_u32 v2, v2, 23, 8
	v_sub_u32_e32 v29, 0x79, v2
	v_cmp_gt_u32_e32 vcc, s70, v2
	v_add_u32_e32 v3, 0xffffff81, v2
	v_cndmask_b32_e32 v29, 0, v29, vcc
	v_cmp_eq_u32_e32 vcc, 0, v2
	v_mov_b32_e32 v2, 0xffffff82
	v_cndmask_b32_e32 v55, v3, v2, vcc
	v_mov_b32_e32 v2, 0x78
	v_cndmask_b32_e32 v29, v29, v2, vcc
	v_or_b32_e32 v54, 0x800000, v38
	v_add_u32_e32 v2, 20, v29
	v_cndmask_b32_e32 v38, v54, v38, vcc
	v_lshlrev_b64 v[2:3], v2, -1
	v_not_b32_e32 v2, v2
	v_lshrrev_b64 v[42:43], v29, v[38:39]
	v_not_b32_e32 v3, v3
	v_and_b32_e32 v2, v38, v2
	v_add_u32_e32 v54, 19, v29
	v_lshrrev_b32_e32 v38, 23, v42
	v_and_b32_e32 v3, 0, v3
	v_lshlrev_b64 v[40:41], v54, 1
	v_add3_u32 v54, v29, v55, v38
	v_bfe_u32 v29, v42, 20, 1
	v_add_u32_e32 v29, -1, v29
	v_cmp_eq_u64_e32 vcc, v[2:3], v[40:41]
	v_cndmask_b32_e32 v2, 0, v29, vcc
	v_add_u32_e32 v2, v2, v42
	v_and_b32_e32 v2, 0xfffff, v2
	v_add_co_u32_e32 v2, vcc, v2, v42
	v_add_u32_e32 v38, 6, v54
	v_addc_co_u32_e32 v3, vcc, 0, v43, vcc
	v_cmp_ne_u32_e32 vcc, 0, v38
                                        ; implicit-def: $vgpr29
	s_and_saveexec_b64 s[20:21], vcc
	s_xor_b64 s[20:21], exec, s[20:21]
; %bb.8266:                             ;   in Loop: Header=BB6_7723 Depth=2
	v_add_u32_e32 v29, 7, v54
	v_cmp_lt_u64_e32 vcc, s[44:45], v[2:3]
	v_cndmask_b32_e32 v29, v38, v29, vcc
	v_cndmask_b32_e64 v38, 0, 1, vcc
	v_lshrrev_b64 v[2:3], v38, v[2:3]
; %bb.8267:                             ;   in Loop: Header=BB6_7723 Depth=2
	s_andn2_saveexec_b64 s[20:21], s[20:21]
; %bb.8268:                             ;   in Loop: Header=BB6_7723 Depth=2
	v_bfe_u32 v29, v2, 23, 1
; %bb.8269:                             ;   in Loop: Header=BB6_7723 Depth=2
	s_or_b64 exec, exec, s[20:21]
	v_lshrrev_b64 v[2:3], 20, v[2:3]
	v_cmp_gt_i32_e32 vcc, 16, v29
	v_cndmask_b32_e32 v3, 0, v3, vcc
	v_cndmask_b32_e32 v2, 7, v2, vcc
	v_cmp_ne_u32_e32 vcc, 0, v29
	v_cmp_ne_u64_e64 s[20:21], 0, v[2:3]
	s_or_b64 s[20:21], vcc, s[20:21]
                                        ; implicit-def: $vgpr54
	s_and_saveexec_b64 vcc, s[20:21]
	s_xor_b64 s[20:21], exec, vcc
; %bb.8270:                             ;   in Loop: Header=BB6_7723 Depth=2
	v_min_i32_e32 v3, 15, v29
	v_lshl_or_b32 v3, v3, 3, v28
	v_and_or_b32 v54, v2, 7, v3
                                        ; implicit-def: $vgpr28
; %bb.8271:                             ;   in Loop: Header=BB6_7723 Depth=2
	s_andn2_saveexec_b64 s[20:21], s[20:21]
; %bb.8272:                             ;   in Loop: Header=BB6_7723 Depth=2
	v_mov_b32_e32 v54, v28
; %bb.8273:                             ;   in Loop: Header=BB6_7723 Depth=2
	s_or_b64 exec, exec, s[20:21]
.LBB6_8274:                             ;   in Loop: Header=BB6_7723 Depth=2
	s_or_b64 exec, exec, s[58:59]
.LBB6_8275:                             ;   in Loop: Header=BB6_7723 Depth=2
	s_andn2_saveexec_b64 s[20:21], s[56:57]
	s_or_b64 exec, exec, s[20:21]
                                        ; implicit-def: $vgpr2
.LBB6_8276:                             ;   in Loop: Header=BB6_7723 Depth=2
	s_andn2_saveexec_b64 s[20:21], s[54:55]
; %bb.8277:                             ;   in Loop: Header=BB6_7723 Depth=2
	v_or_b32_sdwa v2, v2, s68 dst_sel:DWORD dst_unused:UNUSED_PAD src0_sel:BYTE_3 src1_sel:DWORD
	v_cmp_eq_u64_e32 vcc, 0, v[38:39]
	v_cndmask_b32_e32 v54, v2, v54, vcc
; %bb.8278:                             ;   in Loop: Header=BB6_7723 Depth=2
	s_or_b64 exec, exec, s[20:21]
	flat_load_ubyte v3, v[16:17] offset:1600 glc slc
	v_mov_b32_e32 v28, 0
	s_waitcnt vmcnt(0) lgkmcnt(0)
	v_cmp_ne_u16_e32 vcc, 0, v3
	s_and_saveexec_b64 s[20:21], vcc
	s_cbranch_execz .LBB6_8284
; %bb.8279:                             ;   in Loop: Header=BB6_7723 Depth=2
	v_cmp_ne_u16_e32 vcc, s69, v3
	v_bfrev_b32_e32 v28, 1
	s_and_saveexec_b64 s[54:55], vcc
	s_cbranch_execz .LBB6_8283
; %bb.8280:                             ;   in Loop: Header=BB6_7723 Depth=2
	v_and_b32_e32 v2, 0xffff, v3
	v_and_b32_e32 v29, 0x7f, v2
	v_cmp_ne_u32_e32 vcc, s68, v29
	v_mov_b32_e32 v28, 0x7f800001
	s_and_saveexec_b64 s[56:57], vcc
	s_cbranch_execz .LBB6_8282
; %bb.8281:                             ;   in Loop: Header=BB6_7723 Depth=2
	v_and_b32_e32 v28, 7, v2
	v_ffbh_u32_e32 v55, v28
	v_min_u32_e32 v55, 32, v55
	v_subrev_u32_e32 v40, 28, v55
	v_lshlrev_b64 v[40:41], v40, v[2:3]
	v_lshrrev_b32_e32 v38, 3, v29
	v_sub_u32_e32 v2, 29, v55
	v_and_b32_e32 v55, 7, v40
	v_cmp_gt_u32_e32 vcc, 8, v29
	v_cndmask_b32_e32 v2, v38, v2, vcc
	v_cndmask_b32_e32 v28, v28, v55, vcc
	v_lshlrev_b32_e32 v3, 24, v3
	v_bfrev_b32_e32 v29, 60
	v_lshlrev_b32_e32 v28, 20, v28
	v_and_b32_e32 v3, 0x80000000, v3
	v_lshl_add_u32 v2, v2, 23, v29
	v_or3_b32 v28, v3, v2, v28
.LBB6_8282:                             ;   in Loop: Header=BB6_7723 Depth=2
	s_or_b64 exec, exec, s[56:57]
.LBB6_8283:                             ;   in Loop: Header=BB6_7723 Depth=2
	s_or_b64 exec, exec, s[54:55]
.LBB6_8284:                             ;   in Loop: Header=BB6_7723 Depth=2
	s_or_b64 exec, exec, s[20:21]
	v_mul_f32_e32 v2, s60, v28
	v_and_b32_sdwa v28, v2, s69 dst_sel:DWORD dst_unused:UNUSED_PAD src0_sel:BYTE_3 src1_sel:DWORD
	v_and_b32_e32 v40, 0x7f800000, v2
	v_mov_b32_e32 v41, v39
	v_and_b32_e32 v38, 0x7fffff, v2
	v_or_b32_e32 v55, 0x7e, v28
	v_cmp_ne_u64_e32 vcc, s[38:39], v[40:41]
	s_and_saveexec_b64 s[20:21], vcc
	s_xor_b64 s[54:55], exec, s[20:21]
	s_cbranch_execz .LBB6_8298
; %bb.8285:                             ;   in Loop: Header=BB6_7723 Depth=2
	v_and_b32_e32 v40, 0x7fffffff, v2
	v_mov_b32_e32 v41, v39
	v_cmp_gt_u64_e32 vcc, s[40:41], v[40:41]
	s_and_saveexec_b64 s[20:21], vcc
	s_xor_b64 s[56:57], exec, s[20:21]
	s_cbranch_execz .LBB6_8297
; %bb.8286:                             ;   in Loop: Header=BB6_7723 Depth=2
	v_cmp_ne_u32_e32 vcc, 0, v2
	v_mov_b32_e32 v55, 0
	s_and_saveexec_b64 s[58:59], vcc
	s_cbranch_execz .LBB6_8296
; %bb.8287:                             ;   in Loop: Header=BB6_7723 Depth=2
	v_bfe_u32 v2, v2, 23, 8
	v_sub_u32_e32 v29, 0x79, v2
	v_cmp_gt_u32_e32 vcc, s70, v2
	v_add_u32_e32 v3, 0xffffff81, v2
	v_cndmask_b32_e32 v29, 0, v29, vcc
	v_cmp_eq_u32_e32 vcc, 0, v2
	v_mov_b32_e32 v2, 0xffffff82
	v_cndmask_b32_e32 v44, v3, v2, vcc
	v_mov_b32_e32 v2, 0x78
	v_cndmask_b32_e32 v29, v29, v2, vcc
	v_or_b32_e32 v55, 0x800000, v38
	v_add_u32_e32 v2, 20, v29
	v_cndmask_b32_e32 v38, v55, v38, vcc
	v_lshlrev_b64 v[2:3], v2, -1
	v_not_b32_e32 v2, v2
	v_lshrrev_b64 v[42:43], v29, v[38:39]
	v_not_b32_e32 v3, v3
	v_and_b32_e32 v2, v38, v2
	v_add_u32_e32 v55, 19, v29
	v_lshrrev_b32_e32 v38, 23, v42
	v_and_b32_e32 v3, 0, v3
	v_lshlrev_b64 v[40:41], v55, 1
	v_add3_u32 v55, v29, v44, v38
	v_bfe_u32 v29, v42, 20, 1
	v_add_u32_e32 v29, -1, v29
	v_cmp_eq_u64_e32 vcc, v[2:3], v[40:41]
	v_cndmask_b32_e32 v2, 0, v29, vcc
	v_add_u32_e32 v2, v2, v42
	v_and_b32_e32 v2, 0xfffff, v2
	v_add_co_u32_e32 v2, vcc, v2, v42
	v_add_u32_e32 v38, 6, v55
	v_addc_co_u32_e32 v3, vcc, 0, v43, vcc
	v_cmp_ne_u32_e32 vcc, 0, v38
                                        ; implicit-def: $vgpr29
	s_and_saveexec_b64 s[20:21], vcc
	s_xor_b64 s[20:21], exec, s[20:21]
; %bb.8288:                             ;   in Loop: Header=BB6_7723 Depth=2
	v_add_u32_e32 v29, 7, v55
	v_cmp_lt_u64_e32 vcc, s[44:45], v[2:3]
	v_cndmask_b32_e32 v29, v38, v29, vcc
	v_cndmask_b32_e64 v38, 0, 1, vcc
	v_lshrrev_b64 v[2:3], v38, v[2:3]
; %bb.8289:                             ;   in Loop: Header=BB6_7723 Depth=2
	s_andn2_saveexec_b64 s[20:21], s[20:21]
; %bb.8290:                             ;   in Loop: Header=BB6_7723 Depth=2
	v_bfe_u32 v29, v2, 23, 1
; %bb.8291:                             ;   in Loop: Header=BB6_7723 Depth=2
	s_or_b64 exec, exec, s[20:21]
	v_lshrrev_b64 v[2:3], 20, v[2:3]
	v_cmp_gt_i32_e32 vcc, 16, v29
	v_cndmask_b32_e32 v3, 0, v3, vcc
	v_cndmask_b32_e32 v2, 7, v2, vcc
	v_cmp_ne_u32_e32 vcc, 0, v29
	v_cmp_ne_u64_e64 s[20:21], 0, v[2:3]
	s_or_b64 s[20:21], vcc, s[20:21]
                                        ; implicit-def: $vgpr55
	s_and_saveexec_b64 vcc, s[20:21]
	s_xor_b64 s[20:21], exec, vcc
; %bb.8292:                             ;   in Loop: Header=BB6_7723 Depth=2
	v_min_i32_e32 v3, 15, v29
	v_lshl_or_b32 v3, v3, 3, v28
	v_and_or_b32 v55, v2, 7, v3
                                        ; implicit-def: $vgpr28
; %bb.8293:                             ;   in Loop: Header=BB6_7723 Depth=2
	s_andn2_saveexec_b64 s[20:21], s[20:21]
; %bb.8294:                             ;   in Loop: Header=BB6_7723 Depth=2
	v_mov_b32_e32 v55, v28
; %bb.8295:                             ;   in Loop: Header=BB6_7723 Depth=2
	s_or_b64 exec, exec, s[20:21]
.LBB6_8296:                             ;   in Loop: Header=BB6_7723 Depth=2
	s_or_b64 exec, exec, s[58:59]
.LBB6_8297:                             ;   in Loop: Header=BB6_7723 Depth=2
	s_andn2_saveexec_b64 s[20:21], s[56:57]
	s_or_b64 exec, exec, s[20:21]
                                        ; implicit-def: $vgpr2
.LBB6_8298:                             ;   in Loop: Header=BB6_7723 Depth=2
	s_andn2_saveexec_b64 s[20:21], s[54:55]
; %bb.8299:                             ;   in Loop: Header=BB6_7723 Depth=2
	v_or_b32_sdwa v2, v2, s68 dst_sel:DWORD dst_unused:UNUSED_PAD src0_sel:BYTE_3 src1_sel:DWORD
	v_cmp_eq_u64_e32 vcc, 0, v[38:39]
	v_cndmask_b32_e32 v55, v2, v55, vcc
; %bb.8300:                             ;   in Loop: Header=BB6_7723 Depth=2
	s_or_b64 exec, exec, s[20:21]
	flat_load_ubyte v3, v[16:17] offset:1664 glc slc
	v_mov_b32_e32 v28, 0
	s_waitcnt vmcnt(0) lgkmcnt(0)
	v_cmp_ne_u16_e32 vcc, 0, v3
	s_and_saveexec_b64 s[20:21], vcc
	s_cbranch_execz .LBB6_8306
; %bb.8301:                             ;   in Loop: Header=BB6_7723 Depth=2
	v_cmp_ne_u16_e32 vcc, s69, v3
	v_bfrev_b32_e32 v28, 1
	s_and_saveexec_b64 s[54:55], vcc
	s_cbranch_execz .LBB6_8305
; %bb.8302:                             ;   in Loop: Header=BB6_7723 Depth=2
	v_and_b32_e32 v2, 0xffff, v3
	v_and_b32_e32 v29, 0x7f, v2
	v_cmp_ne_u32_e32 vcc, s68, v29
	v_mov_b32_e32 v28, 0x7f800001
	s_and_saveexec_b64 s[56:57], vcc
	s_cbranch_execz .LBB6_8304
; %bb.8303:                             ;   in Loop: Header=BB6_7723 Depth=2
	v_and_b32_e32 v28, 7, v2
	v_ffbh_u32_e32 v40, v28
	v_min_u32_e32 v42, 32, v40
	v_subrev_u32_e32 v40, 28, v42
	v_lshlrev_b64 v[40:41], v40, v[2:3]
	v_lshrrev_b32_e32 v38, 3, v29
	v_sub_u32_e32 v2, 29, v42
	v_and_b32_e32 v40, 7, v40
	v_cmp_gt_u32_e32 vcc, 8, v29
	v_cndmask_b32_e32 v2, v38, v2, vcc
	v_cndmask_b32_e32 v28, v28, v40, vcc
	v_lshlrev_b32_e32 v3, 24, v3
	v_bfrev_b32_e32 v29, 60
	v_lshlrev_b32_e32 v28, 20, v28
	v_and_b32_e32 v3, 0x80000000, v3
	v_lshl_add_u32 v2, v2, 23, v29
	v_or3_b32 v28, v3, v2, v28
.LBB6_8304:                             ;   in Loop: Header=BB6_7723 Depth=2
	s_or_b64 exec, exec, s[56:57]
.LBB6_8305:                             ;   in Loop: Header=BB6_7723 Depth=2
	s_or_b64 exec, exec, s[54:55]
.LBB6_8306:                             ;   in Loop: Header=BB6_7723 Depth=2
	s_or_b64 exec, exec, s[20:21]
	v_mul_f32_e32 v2, s60, v28
	v_and_b32_sdwa v29, v2, s69 dst_sel:DWORD dst_unused:UNUSED_PAD src0_sel:BYTE_3 src1_sel:DWORD
	v_and_b32_e32 v40, 0x7f800000, v2
	v_mov_b32_e32 v41, v39
	v_and_b32_e32 v38, 0x7fffff, v2
	v_or_b32_e32 v28, 0x7e, v29
	v_cmp_ne_u64_e32 vcc, s[38:39], v[40:41]
	s_and_saveexec_b64 s[20:21], vcc
	s_xor_b64 s[54:55], exec, s[20:21]
	s_cbranch_execz .LBB6_8320
; %bb.8307:                             ;   in Loop: Header=BB6_7723 Depth=2
	v_and_b32_e32 v40, 0x7fffffff, v2
	v_mov_b32_e32 v41, v39
	v_cmp_gt_u64_e32 vcc, s[40:41], v[40:41]
	s_and_saveexec_b64 s[20:21], vcc
	s_xor_b64 s[56:57], exec, s[20:21]
	s_cbranch_execz .LBB6_8319
; %bb.8308:                             ;   in Loop: Header=BB6_7723 Depth=2
	v_cmp_ne_u32_e32 vcc, 0, v2
	v_mov_b32_e32 v28, 0
	s_and_saveexec_b64 s[58:59], vcc
	s_cbranch_execz .LBB6_8318
; %bb.8309:                             ;   in Loop: Header=BB6_7723 Depth=2
	v_bfe_u32 v2, v2, 23, 8
	v_sub_u32_e32 v28, 0x79, v2
	v_cmp_gt_u32_e32 vcc, s70, v2
	v_add_u32_e32 v3, 0xffffff81, v2
	v_cndmask_b32_e32 v28, 0, v28, vcc
	v_cmp_eq_u32_e32 vcc, 0, v2
	v_mov_b32_e32 v2, 0xffffff82
	v_cndmask_b32_e32 v41, v3, v2, vcc
	v_mov_b32_e32 v2, 0x78
	v_cndmask_b32_e32 v28, v28, v2, vcc
	v_or_b32_e32 v40, 0x800000, v38
	v_add_u32_e32 v2, 20, v28
	v_cndmask_b32_e32 v38, v40, v38, vcc
	v_lshlrev_b64 v[2:3], v2, -1
	v_not_b32_e32 v2, v2
	v_lshrrev_b64 v[44:45], v28, v[38:39]
	v_not_b32_e32 v3, v3
	v_and_b32_e32 v2, v38, v2
	v_add_u32_e32 v40, 19, v28
	v_lshrrev_b32_e32 v38, 23, v44
	v_and_b32_e32 v3, 0, v3
	v_lshlrev_b64 v[42:43], v40, 1
	v_add3_u32 v40, v28, v41, v38
	v_bfe_u32 v38, v44, 20, 1
	v_add_u32_e32 v38, -1, v38
	v_cmp_eq_u64_e32 vcc, v[2:3], v[42:43]
	v_cndmask_b32_e32 v2, 0, v38, vcc
	v_add_u32_e32 v2, v2, v44
	v_and_b32_e32 v2, 0xfffff, v2
	v_add_co_u32_e32 v2, vcc, v2, v44
	v_add_u32_e32 v28, 6, v40
	v_addc_co_u32_e32 v3, vcc, 0, v45, vcc
	v_cmp_ne_u32_e32 vcc, 0, v28
                                        ; implicit-def: $vgpr38
	s_and_saveexec_b64 s[20:21], vcc
	s_xor_b64 s[20:21], exec, s[20:21]
; %bb.8310:                             ;   in Loop: Header=BB6_7723 Depth=2
	v_add_u32_e32 v38, 7, v40
	v_cmp_lt_u64_e32 vcc, s[44:45], v[2:3]
	v_cndmask_b32_e32 v38, v28, v38, vcc
	v_cndmask_b32_e64 v28, 0, 1, vcc
	v_lshrrev_b64 v[2:3], v28, v[2:3]
; %bb.8311:                             ;   in Loop: Header=BB6_7723 Depth=2
	s_andn2_saveexec_b64 s[20:21], s[20:21]
; %bb.8312:                             ;   in Loop: Header=BB6_7723 Depth=2
	v_bfe_u32 v38, v2, 23, 1
; %bb.8313:                             ;   in Loop: Header=BB6_7723 Depth=2
	s_or_b64 exec, exec, s[20:21]
	v_lshrrev_b64 v[2:3], 20, v[2:3]
	v_cmp_gt_i32_e32 vcc, 16, v38
	v_cndmask_b32_e32 v3, 0, v3, vcc
	v_cndmask_b32_e32 v2, 7, v2, vcc
	v_cmp_ne_u32_e32 vcc, 0, v38
	v_cmp_ne_u64_e64 s[20:21], 0, v[2:3]
	s_or_b64 s[20:21], vcc, s[20:21]
                                        ; implicit-def: $vgpr28
	s_and_saveexec_b64 vcc, s[20:21]
	s_xor_b64 s[20:21], exec, vcc
; %bb.8314:                             ;   in Loop: Header=BB6_7723 Depth=2
	v_min_i32_e32 v3, 15, v38
	v_lshl_or_b32 v3, v3, 3, v29
	v_and_or_b32 v28, v2, 7, v3
                                        ; implicit-def: $vgpr29
; %bb.8315:                             ;   in Loop: Header=BB6_7723 Depth=2
	s_andn2_saveexec_b64 s[20:21], s[20:21]
; %bb.8316:                             ;   in Loop: Header=BB6_7723 Depth=2
	v_mov_b32_e32 v28, v29
; %bb.8317:                             ;   in Loop: Header=BB6_7723 Depth=2
	s_or_b64 exec, exec, s[20:21]
.LBB6_8318:                             ;   in Loop: Header=BB6_7723 Depth=2
	s_or_b64 exec, exec, s[58:59]
.LBB6_8319:                             ;   in Loop: Header=BB6_7723 Depth=2
	s_andn2_saveexec_b64 s[20:21], s[56:57]
	s_or_b64 exec, exec, s[20:21]
                                        ; implicit-def: $vgpr2
.LBB6_8320:                             ;   in Loop: Header=BB6_7723 Depth=2
	s_andn2_saveexec_b64 s[20:21], s[54:55]
; %bb.8321:                             ;   in Loop: Header=BB6_7723 Depth=2
	v_or_b32_sdwa v2, v2, s68 dst_sel:DWORD dst_unused:UNUSED_PAD src0_sel:BYTE_3 src1_sel:DWORD
	v_cmp_eq_u64_e32 vcc, 0, v[38:39]
	v_cndmask_b32_e32 v28, v2, v28, vcc
; %bb.8322:                             ;   in Loop: Header=BB6_7723 Depth=2
	s_or_b64 exec, exec, s[20:21]
	flat_load_ubyte v3, v[16:17] offset:1728 glc slc
	v_mov_b32_e32 v29, 0
	s_waitcnt vmcnt(0) lgkmcnt(0)
	v_cmp_ne_u16_e32 vcc, 0, v3
	s_and_saveexec_b64 s[20:21], vcc
	s_cbranch_execz .LBB6_8328
; %bb.8323:                             ;   in Loop: Header=BB6_7723 Depth=2
	v_cmp_ne_u16_e32 vcc, s69, v3
	v_bfrev_b32_e32 v29, 1
	s_and_saveexec_b64 s[54:55], vcc
	s_cbranch_execz .LBB6_8327
; %bb.8324:                             ;   in Loop: Header=BB6_7723 Depth=2
	v_and_b32_e32 v2, 0xffff, v3
	v_and_b32_e32 v38, 0x7f, v2
	v_cmp_ne_u32_e32 vcc, s68, v38
	v_mov_b32_e32 v29, 0x7f800001
	s_and_saveexec_b64 s[56:57], vcc
	s_cbranch_execz .LBB6_8326
; %bb.8325:                             ;   in Loop: Header=BB6_7723 Depth=2
	v_and_b32_e32 v29, 7, v2
	v_ffbh_u32_e32 v40, v29
	v_min_u32_e32 v43, 32, v40
	v_subrev_u32_e32 v40, 28, v43
	v_lshlrev_b64 v[40:41], v40, v[2:3]
	v_lshrrev_b32_e32 v42, 3, v38
	v_sub_u32_e32 v2, 29, v43
	v_and_b32_e32 v40, 7, v40
	v_cmp_gt_u32_e32 vcc, 8, v38
	v_cndmask_b32_e32 v2, v42, v2, vcc
	v_cndmask_b32_e32 v29, v29, v40, vcc
	v_lshlrev_b32_e32 v3, 24, v3
	v_bfrev_b32_e32 v38, 60
	v_lshlrev_b32_e32 v29, 20, v29
	v_and_b32_e32 v3, 0x80000000, v3
	v_lshl_add_u32 v2, v2, 23, v38
	v_or3_b32 v29, v3, v2, v29
.LBB6_8326:                             ;   in Loop: Header=BB6_7723 Depth=2
	s_or_b64 exec, exec, s[56:57]
.LBB6_8327:                             ;   in Loop: Header=BB6_7723 Depth=2
	s_or_b64 exec, exec, s[54:55]
.LBB6_8328:                             ;   in Loop: Header=BB6_7723 Depth=2
	s_or_b64 exec, exec, s[20:21]
	v_mul_f32_e32 v2, s60, v29
	v_and_b32_sdwa v40, v2, s69 dst_sel:DWORD dst_unused:UNUSED_PAD src0_sel:BYTE_3 src1_sel:DWORD
	v_and_b32_e32 v42, 0x7f800000, v2
	v_mov_b32_e32 v43, v39
	v_and_b32_e32 v38, 0x7fffff, v2
	v_or_b32_e32 v29, 0x7e, v40
	v_cmp_ne_u64_e32 vcc, s[38:39], v[42:43]
	s_and_saveexec_b64 s[20:21], vcc
	s_xor_b64 s[54:55], exec, s[20:21]
	s_cbranch_execz .LBB6_8342
; %bb.8329:                             ;   in Loop: Header=BB6_7723 Depth=2
	v_and_b32_e32 v42, 0x7fffffff, v2
	v_mov_b32_e32 v43, v39
	v_cmp_gt_u64_e32 vcc, s[40:41], v[42:43]
	s_and_saveexec_b64 s[20:21], vcc
	s_xor_b64 s[56:57], exec, s[20:21]
	s_cbranch_execz .LBB6_8341
; %bb.8330:                             ;   in Loop: Header=BB6_7723 Depth=2
	v_cmp_ne_u32_e32 vcc, 0, v2
	v_mov_b32_e32 v29, 0
	s_and_saveexec_b64 s[58:59], vcc
	s_cbranch_execz .LBB6_8340
; %bb.8331:                             ;   in Loop: Header=BB6_7723 Depth=2
	v_bfe_u32 v2, v2, 23, 8
	v_sub_u32_e32 v29, 0x79, v2
	v_cmp_gt_u32_e32 vcc, s70, v2
	v_add_u32_e32 v3, 0xffffff81, v2
	v_cndmask_b32_e32 v29, 0, v29, vcc
	v_cmp_eq_u32_e32 vcc, 0, v2
	v_mov_b32_e32 v2, 0xffffff82
	v_cndmask_b32_e32 v46, v3, v2, vcc
	v_mov_b32_e32 v2, 0x78
	v_cndmask_b32_e32 v29, v29, v2, vcc
	v_or_b32_e32 v41, 0x800000, v38
	v_add_u32_e32 v2, 20, v29
	v_cndmask_b32_e32 v38, v41, v38, vcc
	v_lshlrev_b64 v[2:3], v2, -1
	v_not_b32_e32 v2, v2
	v_lshrrev_b64 v[44:45], v29, v[38:39]
	v_not_b32_e32 v3, v3
	v_and_b32_e32 v2, v38, v2
	v_add_u32_e32 v41, 19, v29
	v_lshrrev_b32_e32 v38, 23, v44
	v_and_b32_e32 v3, 0, v3
	v_lshlrev_b64 v[42:43], v41, 1
	v_add3_u32 v41, v29, v46, v38
	v_bfe_u32 v38, v44, 20, 1
	v_add_u32_e32 v38, -1, v38
	v_cmp_eq_u64_e32 vcc, v[2:3], v[42:43]
	v_cndmask_b32_e32 v2, 0, v38, vcc
	v_add_u32_e32 v2, v2, v44
	v_and_b32_e32 v2, 0xfffff, v2
	v_add_co_u32_e32 v2, vcc, v2, v44
	v_add_u32_e32 v29, 6, v41
	v_addc_co_u32_e32 v3, vcc, 0, v45, vcc
	v_cmp_ne_u32_e32 vcc, 0, v29
                                        ; implicit-def: $vgpr38
	s_and_saveexec_b64 s[20:21], vcc
	s_xor_b64 s[20:21], exec, s[20:21]
; %bb.8332:                             ;   in Loop: Header=BB6_7723 Depth=2
	v_add_u32_e32 v38, 7, v41
	v_cmp_lt_u64_e32 vcc, s[44:45], v[2:3]
	v_cndmask_b32_e32 v38, v29, v38, vcc
	v_cndmask_b32_e64 v29, 0, 1, vcc
	v_lshrrev_b64 v[2:3], v29, v[2:3]
; %bb.8333:                             ;   in Loop: Header=BB6_7723 Depth=2
	s_andn2_saveexec_b64 s[20:21], s[20:21]
; %bb.8334:                             ;   in Loop: Header=BB6_7723 Depth=2
	v_bfe_u32 v38, v2, 23, 1
; %bb.8335:                             ;   in Loop: Header=BB6_7723 Depth=2
	s_or_b64 exec, exec, s[20:21]
	v_lshrrev_b64 v[2:3], 20, v[2:3]
	v_cmp_gt_i32_e32 vcc, 16, v38
	v_cndmask_b32_e32 v3, 0, v3, vcc
	v_cndmask_b32_e32 v2, 7, v2, vcc
	v_cmp_ne_u32_e32 vcc, 0, v38
	v_cmp_ne_u64_e64 s[20:21], 0, v[2:3]
	s_or_b64 s[20:21], vcc, s[20:21]
                                        ; implicit-def: $vgpr29
	s_mov_b64 vcc, exec
	s_and_b64 s[62:63], vcc, s[20:21]
	s_xor_b64 s[20:21], s[62:63], vcc
	v_accvgpr_read_b32 v46, a46
	s_mov_b64 exec, s[62:63]
; %bb.8336:                             ;   in Loop: Header=BB6_7723 Depth=2
	v_min_i32_e32 v3, 15, v38
	v_lshl_or_b32 v3, v3, 3, v40
	v_and_or_b32 v29, v2, 7, v3
                                        ; implicit-def: $vgpr40
; %bb.8337:                             ;   in Loop: Header=BB6_7723 Depth=2
	s_andn2_saveexec_b64 s[20:21], s[20:21]
; %bb.8338:                             ;   in Loop: Header=BB6_7723 Depth=2
	v_mov_b32_e32 v29, v40
; %bb.8339:                             ;   in Loop: Header=BB6_7723 Depth=2
	s_or_b64 exec, exec, s[20:21]
.LBB6_8340:                             ;   in Loop: Header=BB6_7723 Depth=2
	s_or_b64 exec, exec, s[58:59]
.LBB6_8341:                             ;   in Loop: Header=BB6_7723 Depth=2
	s_andn2_saveexec_b64 s[20:21], s[56:57]
	s_or_b64 exec, exec, s[20:21]
                                        ; implicit-def: $vgpr2
.LBB6_8342:                             ;   in Loop: Header=BB6_7723 Depth=2
	s_andn2_saveexec_b64 s[20:21], s[54:55]
; %bb.8343:                             ;   in Loop: Header=BB6_7723 Depth=2
	v_or_b32_sdwa v2, v2, s68 dst_sel:DWORD dst_unused:UNUSED_PAD src0_sel:BYTE_3 src1_sel:DWORD
	v_cmp_eq_u64_e32 vcc, 0, v[38:39]
	v_cndmask_b32_e32 v29, v2, v29, vcc
; %bb.8344:                             ;   in Loop: Header=BB6_7723 Depth=2
	s_or_b64 exec, exec, s[20:21]
	flat_load_ubyte v3, v[16:17] offset:1792 glc slc
	v_mov_b32_e32 v38, 0
	s_waitcnt vmcnt(0) lgkmcnt(0)
	v_cmp_ne_u16_e32 vcc, 0, v3
	s_and_saveexec_b64 s[20:21], vcc
	s_cbranch_execz .LBB6_8350
; %bb.8345:                             ;   in Loop: Header=BB6_7723 Depth=2
	v_cmp_ne_u16_e32 vcc, s69, v3
	v_bfrev_b32_e32 v38, 1
	s_and_saveexec_b64 s[54:55], vcc
	s_cbranch_execz .LBB6_8349
; %bb.8346:                             ;   in Loop: Header=BB6_7723 Depth=2
	v_and_b32_e32 v2, 0xffff, v3
	v_and_b32_e32 v40, 0x7f, v2
	v_cmp_ne_u32_e32 vcc, s68, v40
	v_mov_b32_e32 v38, 0x7f800001
	s_and_saveexec_b64 s[56:57], vcc
	s_cbranch_execz .LBB6_8348
; %bb.8347:                             ;   in Loop: Header=BB6_7723 Depth=2
	v_and_b32_e32 v38, 7, v2
	v_ffbh_u32_e32 v42, v38
	v_min_u32_e32 v44, 32, v42
	v_subrev_u32_e32 v42, 28, v44
	v_lshlrev_b64 v[42:43], v42, v[2:3]
	v_lshrrev_b32_e32 v41, 3, v40
	v_sub_u32_e32 v2, 29, v44
	v_and_b32_e32 v42, 7, v42
	v_cmp_gt_u32_e32 vcc, 8, v40
	v_cndmask_b32_e32 v2, v41, v2, vcc
	v_cndmask_b32_e32 v38, v38, v42, vcc
	v_lshlrev_b32_e32 v3, 24, v3
	v_bfrev_b32_e32 v40, 60
	v_lshlrev_b32_e32 v38, 20, v38
	v_and_b32_e32 v3, 0x80000000, v3
	v_lshl_add_u32 v2, v2, 23, v40
	v_or3_b32 v38, v3, v2, v38
.LBB6_8348:                             ;   in Loop: Header=BB6_7723 Depth=2
	s_or_b64 exec, exec, s[56:57]
.LBB6_8349:                             ;   in Loop: Header=BB6_7723 Depth=2
	s_or_b64 exec, exec, s[54:55]
.LBB6_8350:                             ;   in Loop: Header=BB6_7723 Depth=2
	s_or_b64 exec, exec, s[20:21]
	v_mul_f32_e32 v2, s60, v38
	v_and_b32_sdwa v41, v2, s69 dst_sel:DWORD dst_unused:UNUSED_PAD src0_sel:BYTE_3 src1_sel:DWORD
	v_and_b32_e32 v42, 0x7f800000, v2
	v_mov_b32_e32 v43, v39
	v_and_b32_e32 v38, 0x7fffff, v2
	v_or_b32_e32 v40, 0x7e, v41
	v_cmp_ne_u64_e32 vcc, s[38:39], v[42:43]
	s_and_saveexec_b64 s[20:21], vcc
	s_xor_b64 s[54:55], exec, s[20:21]
	s_cbranch_execz .LBB6_8364
; %bb.8351:                             ;   in Loop: Header=BB6_7723 Depth=2
	v_and_b32_e32 v42, 0x7fffffff, v2
	v_mov_b32_e32 v43, v39
	v_cmp_gt_u64_e32 vcc, s[40:41], v[42:43]
	s_and_saveexec_b64 s[20:21], vcc
	s_xor_b64 s[56:57], exec, s[20:21]
	s_cbranch_execz .LBB6_8363
; %bb.8352:                             ;   in Loop: Header=BB6_7723 Depth=2
	v_cmp_ne_u32_e32 vcc, 0, v2
	v_mov_b32_e32 v40, 0
	s_and_saveexec_b64 s[58:59], vcc
	s_cbranch_execz .LBB6_8362
; %bb.8353:                             ;   in Loop: Header=BB6_7723 Depth=2
	v_bfe_u32 v2, v2, 23, 8
	v_sub_u32_e32 v40, 0x79, v2
	v_cmp_gt_u32_e32 vcc, s70, v2
	v_add_u32_e32 v3, 0xffffff81, v2
	v_cndmask_b32_e32 v40, 0, v40, vcc
	v_cmp_eq_u32_e32 vcc, 0, v2
	v_mov_b32_e32 v2, 0xffffff82
	v_cndmask_b32_e32 v43, v3, v2, vcc
	v_mov_b32_e32 v2, 0x78
	v_cndmask_b32_e32 v40, v40, v2, vcc
	v_or_b32_e32 v42, 0x800000, v38
	v_add_u32_e32 v2, 20, v40
	v_cndmask_b32_e32 v38, v42, v38, vcc
	v_lshlrev_b64 v[2:3], v2, -1
	v_not_b32_e32 v2, v2
	v_lshrrev_b64 v[46:47], v40, v[38:39]
	v_not_b32_e32 v3, v3
	v_and_b32_e32 v2, v38, v2
	v_add_u32_e32 v42, 19, v40
	v_lshrrev_b32_e32 v38, 23, v46
	v_and_b32_e32 v3, 0, v3
	v_lshlrev_b64 v[44:45], v42, 1
	v_add3_u32 v42, v40, v43, v38
	v_bfe_u32 v38, v46, 20, 1
	v_add_u32_e32 v38, -1, v38
	v_cmp_eq_u64_e32 vcc, v[2:3], v[44:45]
	v_cndmask_b32_e32 v2, 0, v38, vcc
	v_add_u32_e32 v2, v2, v46
	v_and_b32_e32 v2, 0xfffff, v2
	v_add_co_u32_e32 v2, vcc, v2, v46
	v_add_u32_e32 v40, 6, v42
	v_addc_co_u32_e32 v3, vcc, 0, v47, vcc
	v_cmp_ne_u32_e32 vcc, 0, v40
                                        ; implicit-def: $vgpr38
	s_and_saveexec_b64 s[20:21], vcc
	s_xor_b64 s[20:21], exec, s[20:21]
; %bb.8354:                             ;   in Loop: Header=BB6_7723 Depth=2
	v_add_u32_e32 v38, 7, v42
	v_cmp_lt_u64_e32 vcc, s[44:45], v[2:3]
	v_cndmask_b32_e32 v38, v40, v38, vcc
	v_cndmask_b32_e64 v40, 0, 1, vcc
	v_lshrrev_b64 v[2:3], v40, v[2:3]
; %bb.8355:                             ;   in Loop: Header=BB6_7723 Depth=2
	s_andn2_saveexec_b64 s[20:21], s[20:21]
; %bb.8356:                             ;   in Loop: Header=BB6_7723 Depth=2
	v_bfe_u32 v38, v2, 23, 1
; %bb.8357:                             ;   in Loop: Header=BB6_7723 Depth=2
	s_or_b64 exec, exec, s[20:21]
	v_lshrrev_b64 v[2:3], 20, v[2:3]
	v_cmp_gt_i32_e32 vcc, 16, v38
	v_cndmask_b32_e32 v3, 0, v3, vcc
	v_cndmask_b32_e32 v2, 7, v2, vcc
	v_cmp_ne_u32_e32 vcc, 0, v38
	v_cmp_ne_u64_e64 s[20:21], 0, v[2:3]
	s_or_b64 s[20:21], vcc, s[20:21]
                                        ; implicit-def: $vgpr40
	s_mov_b64 vcc, exec
	s_and_b64 s[62:63], vcc, s[20:21]
	s_xor_b64 s[20:21], s[62:63], vcc
	v_accvgpr_read_b32 v46, a46
	s_mov_b64 exec, s[62:63]
; %bb.8358:                             ;   in Loop: Header=BB6_7723 Depth=2
	v_min_i32_e32 v3, 15, v38
	v_lshl_or_b32 v3, v3, 3, v41
	v_and_or_b32 v40, v2, 7, v3
                                        ; implicit-def: $vgpr41
; %bb.8359:                             ;   in Loop: Header=BB6_7723 Depth=2
	s_andn2_saveexec_b64 s[20:21], s[20:21]
; %bb.8360:                             ;   in Loop: Header=BB6_7723 Depth=2
	v_mov_b32_e32 v40, v41
; %bb.8361:                             ;   in Loop: Header=BB6_7723 Depth=2
	s_or_b64 exec, exec, s[20:21]
.LBB6_8362:                             ;   in Loop: Header=BB6_7723 Depth=2
	s_or_b64 exec, exec, s[58:59]
.LBB6_8363:                             ;   in Loop: Header=BB6_7723 Depth=2
	s_andn2_saveexec_b64 s[20:21], s[56:57]
	s_or_b64 exec, exec, s[20:21]
                                        ; implicit-def: $vgpr2
.LBB6_8364:                             ;   in Loop: Header=BB6_7723 Depth=2
	s_andn2_saveexec_b64 s[20:21], s[54:55]
; %bb.8365:                             ;   in Loop: Header=BB6_7723 Depth=2
	v_or_b32_sdwa v2, v2, s68 dst_sel:DWORD dst_unused:UNUSED_PAD src0_sel:BYTE_3 src1_sel:DWORD
	v_cmp_eq_u64_e32 vcc, 0, v[38:39]
	v_cndmask_b32_e32 v40, v2, v40, vcc
; %bb.8366:                             ;   in Loop: Header=BB6_7723 Depth=2
	s_or_b64 exec, exec, s[20:21]
	flat_load_ubyte v3, v[16:17] offset:1856 glc slc
	v_mov_b32_e32 v38, 0
	s_waitcnt vmcnt(0) lgkmcnt(0)
	v_cmp_ne_u16_e32 vcc, 0, v3
	s_and_saveexec_b64 s[20:21], vcc
	s_cbranch_execz .LBB6_8372
; %bb.8367:                             ;   in Loop: Header=BB6_7723 Depth=2
	v_cmp_ne_u16_e32 vcc, s69, v3
	v_bfrev_b32_e32 v38, 1
	s_and_saveexec_b64 s[54:55], vcc
	s_cbranch_execz .LBB6_8371
; %bb.8368:                             ;   in Loop: Header=BB6_7723 Depth=2
	v_and_b32_e32 v2, 0xffff, v3
	v_and_b32_e32 v41, 0x7f, v2
	v_cmp_ne_u32_e32 vcc, s68, v41
	v_mov_b32_e32 v38, 0x7f800001
	s_and_saveexec_b64 s[56:57], vcc
	s_cbranch_execz .LBB6_8370
; %bb.8369:                             ;   in Loop: Header=BB6_7723 Depth=2
	v_and_b32_e32 v38, 7, v2
	v_ffbh_u32_e32 v42, v38
	v_min_u32_e32 v45, 32, v42
	v_subrev_u32_e32 v42, 28, v45
	v_lshlrev_b64 v[42:43], v42, v[2:3]
	v_lshrrev_b32_e32 v44, 3, v41
	v_sub_u32_e32 v2, 29, v45
	v_and_b32_e32 v42, 7, v42
	v_cmp_gt_u32_e32 vcc, 8, v41
	v_cndmask_b32_e32 v2, v44, v2, vcc
	v_cndmask_b32_e32 v38, v38, v42, vcc
	v_lshlrev_b32_e32 v3, 24, v3
	v_bfrev_b32_e32 v41, 60
	v_lshlrev_b32_e32 v38, 20, v38
	v_and_b32_e32 v3, 0x80000000, v3
	v_lshl_add_u32 v2, v2, 23, v41
	v_or3_b32 v38, v3, v2, v38
.LBB6_8370:                             ;   in Loop: Header=BB6_7723 Depth=2
	s_or_b64 exec, exec, s[56:57]
.LBB6_8371:                             ;   in Loop: Header=BB6_7723 Depth=2
	s_or_b64 exec, exec, s[54:55]
.LBB6_8372:                             ;   in Loop: Header=BB6_7723 Depth=2
	s_or_b64 exec, exec, s[20:21]
	v_mul_f32_e32 v2, s60, v38
	v_and_b32_sdwa v42, v2, s69 dst_sel:DWORD dst_unused:UNUSED_PAD src0_sel:BYTE_3 src1_sel:DWORD
	v_and_b32_e32 v44, 0x7f800000, v2
	v_mov_b32_e32 v45, v39
	v_and_b32_e32 v38, 0x7fffff, v2
	v_or_b32_e32 v41, 0x7e, v42
	v_cmp_ne_u64_e32 vcc, s[38:39], v[44:45]
	s_and_saveexec_b64 s[20:21], vcc
	s_xor_b64 s[54:55], exec, s[20:21]
	s_cbranch_execz .LBB6_8386
; %bb.8373:                             ;   in Loop: Header=BB6_7723 Depth=2
	v_and_b32_e32 v44, 0x7fffffff, v2
	v_mov_b32_e32 v45, v39
	v_cmp_gt_u64_e32 vcc, s[40:41], v[44:45]
	s_and_saveexec_b64 s[20:21], vcc
	s_xor_b64 s[56:57], exec, s[20:21]
	s_cbranch_execz .LBB6_8385
; %bb.8374:                             ;   in Loop: Header=BB6_7723 Depth=2
	v_cmp_ne_u32_e32 vcc, 0, v2
	v_mov_b32_e32 v41, 0
	s_and_saveexec_b64 s[58:59], vcc
	s_cbranch_execz .LBB6_8384
; %bb.8375:                             ;   in Loop: Header=BB6_7723 Depth=2
	v_bfe_u32 v2, v2, 23, 8
	v_sub_u32_e32 v41, 0x79, v2
	v_cmp_gt_u32_e32 vcc, s70, v2
	v_add_u32_e32 v3, 0xffffff81, v2
	v_cndmask_b32_e32 v41, 0, v41, vcc
	v_cmp_eq_u32_e32 vcc, 0, v2
	v_mov_b32_e32 v2, 0xffffff82
	v_cndmask_b32_e32 v56, v3, v2, vcc
	v_mov_b32_e32 v2, 0x78
	v_cndmask_b32_e32 v41, v41, v2, vcc
	v_or_b32_e32 v43, 0x800000, v38
	v_add_u32_e32 v2, 20, v41
	v_cndmask_b32_e32 v38, v43, v38, vcc
	v_lshlrev_b64 v[2:3], v2, -1
	v_not_b32_e32 v2, v2
	v_lshrrev_b64 v[46:47], v41, v[38:39]
	v_not_b32_e32 v3, v3
	v_and_b32_e32 v2, v38, v2
	v_add_u32_e32 v43, 19, v41
	v_lshrrev_b32_e32 v38, 23, v46
	v_and_b32_e32 v3, 0, v3
	v_lshlrev_b64 v[44:45], v43, 1
	v_add3_u32 v43, v41, v56, v38
	v_bfe_u32 v38, v46, 20, 1
	v_add_u32_e32 v38, -1, v38
	v_cmp_eq_u64_e32 vcc, v[2:3], v[44:45]
	v_cndmask_b32_e32 v2, 0, v38, vcc
	v_add_u32_e32 v2, v2, v46
	v_and_b32_e32 v2, 0xfffff, v2
	v_add_co_u32_e32 v2, vcc, v2, v46
	v_add_u32_e32 v41, 6, v43
	v_addc_co_u32_e32 v3, vcc, 0, v47, vcc
	v_cmp_ne_u32_e32 vcc, 0, v41
                                        ; implicit-def: $vgpr38
	s_and_saveexec_b64 s[20:21], vcc
	s_xor_b64 s[20:21], exec, s[20:21]
; %bb.8376:                             ;   in Loop: Header=BB6_7723 Depth=2
	v_add_u32_e32 v38, 7, v43
	v_cmp_lt_u64_e32 vcc, s[44:45], v[2:3]
	v_cndmask_b32_e32 v38, v41, v38, vcc
	v_cndmask_b32_e64 v41, 0, 1, vcc
	v_lshrrev_b64 v[2:3], v41, v[2:3]
; %bb.8377:                             ;   in Loop: Header=BB6_7723 Depth=2
	s_andn2_saveexec_b64 s[20:21], s[20:21]
; %bb.8378:                             ;   in Loop: Header=BB6_7723 Depth=2
	v_bfe_u32 v38, v2, 23, 1
; %bb.8379:                             ;   in Loop: Header=BB6_7723 Depth=2
	s_or_b64 exec, exec, s[20:21]
	v_lshrrev_b64 v[2:3], 20, v[2:3]
	v_cmp_gt_i32_e32 vcc, 16, v38
	v_cndmask_b32_e32 v3, 0, v3, vcc
	v_cndmask_b32_e32 v2, 7, v2, vcc
	v_cmp_ne_u32_e32 vcc, 0, v38
	v_cmp_ne_u64_e64 s[20:21], 0, v[2:3]
	s_or_b64 s[20:21], vcc, s[20:21]
                                        ; implicit-def: $vgpr41
	s_mov_b64 vcc, exec
	s_and_b64 s[62:63], vcc, s[20:21]
	s_xor_b64 s[20:21], s[62:63], vcc
	v_accvgpr_read_b32 v46, a46
	s_mov_b64 exec, s[62:63]
; %bb.8380:                             ;   in Loop: Header=BB6_7723 Depth=2
	v_min_i32_e32 v3, 15, v38
	v_lshl_or_b32 v3, v3, 3, v42
	v_and_or_b32 v41, v2, 7, v3
                                        ; implicit-def: $vgpr42
; %bb.8381:                             ;   in Loop: Header=BB6_7723 Depth=2
	s_andn2_saveexec_b64 s[20:21], s[20:21]
; %bb.8382:                             ;   in Loop: Header=BB6_7723 Depth=2
	v_mov_b32_e32 v41, v42
; %bb.8383:                             ;   in Loop: Header=BB6_7723 Depth=2
	s_or_b64 exec, exec, s[20:21]
.LBB6_8384:                             ;   in Loop: Header=BB6_7723 Depth=2
	s_or_b64 exec, exec, s[58:59]
.LBB6_8385:                             ;   in Loop: Header=BB6_7723 Depth=2
	s_andn2_saveexec_b64 s[20:21], s[56:57]
	s_or_b64 exec, exec, s[20:21]
                                        ; implicit-def: $vgpr2
.LBB6_8386:                             ;   in Loop: Header=BB6_7723 Depth=2
	s_andn2_saveexec_b64 s[20:21], s[54:55]
; %bb.8387:                             ;   in Loop: Header=BB6_7723 Depth=2
	v_or_b32_sdwa v2, v2, s68 dst_sel:DWORD dst_unused:UNUSED_PAD src0_sel:BYTE_3 src1_sel:DWORD
	v_cmp_eq_u64_e32 vcc, 0, v[38:39]
	v_cndmask_b32_e32 v41, v2, v41, vcc
; %bb.8388:                             ;   in Loop: Header=BB6_7723 Depth=2
	s_or_b64 exec, exec, s[20:21]
	flat_load_ubyte v3, v[16:17] offset:1920 glc slc
	v_mov_b32_e32 v38, 0
	s_waitcnt vmcnt(0) lgkmcnt(0)
	v_cmp_ne_u16_e32 vcc, 0, v3
	s_and_saveexec_b64 s[20:21], vcc
	s_cbranch_execz .LBB6_8394
; %bb.8389:                             ;   in Loop: Header=BB6_7723 Depth=2
	v_cmp_ne_u16_e32 vcc, s69, v3
	v_bfrev_b32_e32 v38, 1
	s_and_saveexec_b64 s[54:55], vcc
	s_cbranch_execz .LBB6_8393
; %bb.8390:                             ;   in Loop: Header=BB6_7723 Depth=2
	v_and_b32_e32 v2, 0xffff, v3
	v_and_b32_e32 v42, 0x7f, v2
	v_cmp_ne_u32_e32 vcc, s68, v42
	v_mov_b32_e32 v38, 0x7f800001
	s_and_saveexec_b64 s[56:57], vcc
	s_cbranch_execz .LBB6_8392
; %bb.8391:                             ;   in Loop: Header=BB6_7723 Depth=2
	v_and_b32_e32 v38, 7, v2
	v_ffbh_u32_e32 v44, v38
	v_min_u32_e32 v46, 32, v44
	v_subrev_u32_e32 v44, 28, v46
	v_lshlrev_b64 v[44:45], v44, v[2:3]
	v_lshrrev_b32_e32 v43, 3, v42
	v_sub_u32_e32 v2, 29, v46
	v_and_b32_e32 v44, 7, v44
	v_cmp_gt_u32_e32 vcc, 8, v42
	v_cndmask_b32_e32 v2, v43, v2, vcc
	v_cndmask_b32_e32 v38, v38, v44, vcc
	v_lshlrev_b32_e32 v3, 24, v3
	v_bfrev_b32_e32 v42, 60
	v_lshlrev_b32_e32 v38, 20, v38
	v_and_b32_e32 v3, 0x80000000, v3
	v_lshl_add_u32 v2, v2, 23, v42
	v_accvgpr_read_b32 v46, a46
	v_or3_b32 v38, v3, v2, v38
.LBB6_8392:                             ;   in Loop: Header=BB6_7723 Depth=2
	s_or_b64 exec, exec, s[56:57]
.LBB6_8393:                             ;   in Loop: Header=BB6_7723 Depth=2
	s_or_b64 exec, exec, s[54:55]
.LBB6_8394:                             ;   in Loop: Header=BB6_7723 Depth=2
	s_or_b64 exec, exec, s[20:21]
	v_mul_f32_e32 v2, s60, v38
	v_and_b32_sdwa v43, v2, s69 dst_sel:DWORD dst_unused:UNUSED_PAD src0_sel:BYTE_3 src1_sel:DWORD
	v_and_b32_e32 v44, 0x7f800000, v2
	v_mov_b32_e32 v45, v39
	v_and_b32_e32 v38, 0x7fffff, v2
	v_or_b32_e32 v42, 0x7e, v43
	v_cmp_ne_u64_e32 vcc, s[38:39], v[44:45]
	s_and_saveexec_b64 s[20:21], vcc
	s_xor_b64 s[54:55], exec, s[20:21]
	s_cbranch_execz .LBB6_8408
; %bb.8395:                             ;   in Loop: Header=BB6_7723 Depth=2
	v_and_b32_e32 v44, 0x7fffffff, v2
	v_mov_b32_e32 v45, v39
	v_cmp_gt_u64_e32 vcc, s[40:41], v[44:45]
	s_and_saveexec_b64 s[20:21], vcc
	s_xor_b64 s[56:57], exec, s[20:21]
	s_cbranch_execz .LBB6_8407
; %bb.8396:                             ;   in Loop: Header=BB6_7723 Depth=2
	v_cmp_ne_u32_e32 vcc, 0, v2
	v_mov_b32_e32 v42, 0
	s_and_saveexec_b64 s[58:59], vcc
	s_cbranch_execz .LBB6_8406
; %bb.8397:                             ;   in Loop: Header=BB6_7723 Depth=2
	v_bfe_u32 v2, v2, 23, 8
	v_sub_u32_e32 v42, 0x79, v2
	v_cmp_gt_u32_e32 vcc, s70, v2
	v_add_u32_e32 v3, 0xffffff81, v2
	v_cndmask_b32_e32 v42, 0, v42, vcc
	v_cmp_eq_u32_e32 vcc, 0, v2
	v_mov_b32_e32 v2, 0xffffff82
	v_cndmask_b32_e32 v45, v3, v2, vcc
	v_mov_b32_e32 v2, 0x78
	v_cndmask_b32_e32 v42, v42, v2, vcc
	v_or_b32_e32 v44, 0x800000, v38
	v_add_u32_e32 v2, 20, v42
	v_cndmask_b32_e32 v38, v44, v38, vcc
	v_lshlrev_b64 v[2:3], v2, -1
	v_not_b32_e32 v2, v2
	v_lshrrev_b64 v[56:57], v42, v[38:39]
	v_not_b32_e32 v3, v3
	v_and_b32_e32 v2, v38, v2
	v_add_u32_e32 v44, 19, v42
	v_lshrrev_b32_e32 v38, 23, v56
	v_and_b32_e32 v3, 0, v3
	v_lshlrev_b64 v[46:47], v44, 1
	v_add3_u32 v44, v42, v45, v38
	v_bfe_u32 v38, v56, 20, 1
	v_add_u32_e32 v38, -1, v38
	v_cmp_eq_u64_e32 vcc, v[2:3], v[46:47]
	v_cndmask_b32_e32 v2, 0, v38, vcc
	v_add_u32_e32 v2, v2, v56
	v_and_b32_e32 v2, 0xfffff, v2
	v_add_co_u32_e32 v2, vcc, v2, v56
	v_add_u32_e32 v42, 6, v44
	v_addc_co_u32_e32 v3, vcc, 0, v57, vcc
	v_cmp_ne_u32_e32 vcc, 0, v42
                                        ; implicit-def: $vgpr38
	s_and_saveexec_b64 s[20:21], vcc
	s_xor_b64 s[20:21], exec, s[20:21]
; %bb.8398:                             ;   in Loop: Header=BB6_7723 Depth=2
	v_add_u32_e32 v38, 7, v44
	v_cmp_lt_u64_e32 vcc, s[44:45], v[2:3]
	v_cndmask_b32_e32 v38, v42, v38, vcc
	v_cndmask_b32_e64 v42, 0, 1, vcc
	v_lshrrev_b64 v[2:3], v42, v[2:3]
; %bb.8399:                             ;   in Loop: Header=BB6_7723 Depth=2
	s_andn2_saveexec_b64 s[20:21], s[20:21]
; %bb.8400:                             ;   in Loop: Header=BB6_7723 Depth=2
	v_bfe_u32 v38, v2, 23, 1
; %bb.8401:                             ;   in Loop: Header=BB6_7723 Depth=2
	s_or_b64 exec, exec, s[20:21]
	v_lshrrev_b64 v[2:3], 20, v[2:3]
	v_cmp_gt_i32_e32 vcc, 16, v38
	v_cndmask_b32_e32 v3, 0, v3, vcc
	v_cndmask_b32_e32 v2, 7, v2, vcc
	v_cmp_ne_u32_e32 vcc, 0, v38
	v_cmp_ne_u64_e64 s[20:21], 0, v[2:3]
	s_or_b64 s[20:21], vcc, s[20:21]
                                        ; implicit-def: $vgpr42
	s_mov_b64 vcc, exec
	s_and_b64 s[62:63], vcc, s[20:21]
	s_xor_b64 s[20:21], s[62:63], vcc
	v_accvgpr_read_b32 v46, a46
	s_mov_b64 exec, s[62:63]
; %bb.8402:                             ;   in Loop: Header=BB6_7723 Depth=2
	v_min_i32_e32 v3, 15, v38
	v_lshl_or_b32 v3, v3, 3, v43
	v_and_or_b32 v42, v2, 7, v3
                                        ; implicit-def: $vgpr43
; %bb.8403:                             ;   in Loop: Header=BB6_7723 Depth=2
	s_andn2_saveexec_b64 s[20:21], s[20:21]
; %bb.8404:                             ;   in Loop: Header=BB6_7723 Depth=2
	v_mov_b32_e32 v42, v43
; %bb.8405:                             ;   in Loop: Header=BB6_7723 Depth=2
	s_or_b64 exec, exec, s[20:21]
.LBB6_8406:                             ;   in Loop: Header=BB6_7723 Depth=2
	s_or_b64 exec, exec, s[58:59]
.LBB6_8407:                             ;   in Loop: Header=BB6_7723 Depth=2
	s_andn2_saveexec_b64 s[20:21], s[56:57]
	s_or_b64 exec, exec, s[20:21]
                                        ; implicit-def: $vgpr2
.LBB6_8408:                             ;   in Loop: Header=BB6_7723 Depth=2
	s_andn2_saveexec_b64 s[20:21], s[54:55]
; %bb.8409:                             ;   in Loop: Header=BB6_7723 Depth=2
	v_or_b32_sdwa v2, v2, s68 dst_sel:DWORD dst_unused:UNUSED_PAD src0_sel:BYTE_3 src1_sel:DWORD
	v_cmp_eq_u64_e32 vcc, 0, v[38:39]
	v_cndmask_b32_e32 v42, v2, v42, vcc
; %bb.8410:                             ;   in Loop: Header=BB6_7723 Depth=2
	s_or_b64 exec, exec, s[20:21]
	flat_load_ubyte v3, v[16:17] offset:1984 glc slc
	v_mov_b32_e32 v16, 0
	s_waitcnt vmcnt(0) lgkmcnt(0)
	v_cmp_ne_u16_e32 vcc, 0, v3
	s_and_saveexec_b64 s[20:21], vcc
	s_cbranch_execz .LBB6_8416
; %bb.8411:                             ;   in Loop: Header=BB6_7723 Depth=2
	v_cmp_ne_u16_e32 vcc, s69, v3
	v_bfrev_b32_e32 v16, 1
	s_and_saveexec_b64 s[54:55], vcc
	s_cbranch_execz .LBB6_8415
; %bb.8412:                             ;   in Loop: Header=BB6_7723 Depth=2
	v_and_b32_e32 v2, 0xffff, v3
	v_and_b32_e32 v17, 0x7f, v2
	v_cmp_ne_u32_e32 vcc, s68, v17
	v_mov_b32_e32 v16, 0x7f800001
	s_and_saveexec_b64 s[56:57], vcc
	s_cbranch_execz .LBB6_8414
; %bb.8413:                             ;   in Loop: Header=BB6_7723 Depth=2
	v_and_b32_e32 v16, 7, v2
	v_ffbh_u32_e32 v43, v16
	v_min_u32_e32 v43, 32, v43
	v_subrev_u32_e32 v44, 28, v43
	v_lshlrev_b64 v[44:45], v44, v[2:3]
	v_lshrrev_b32_e32 v38, 3, v17
	v_sub_u32_e32 v2, 29, v43
	v_and_b32_e32 v43, 7, v44
	v_cmp_gt_u32_e32 vcc, 8, v17
	v_cndmask_b32_e32 v2, v38, v2, vcc
	v_cndmask_b32_e32 v16, v16, v43, vcc
	v_lshlrev_b32_e32 v3, 24, v3
	v_bfrev_b32_e32 v17, 60
	v_lshlrev_b32_e32 v16, 20, v16
	v_and_b32_e32 v3, 0x80000000, v3
	v_lshl_add_u32 v2, v2, 23, v17
	v_or3_b32 v16, v3, v2, v16
.LBB6_8414:                             ;   in Loop: Header=BB6_7723 Depth=2
	s_or_b64 exec, exec, s[56:57]
.LBB6_8415:                             ;   in Loop: Header=BB6_7723 Depth=2
	s_or_b64 exec, exec, s[54:55]
.LBB6_8416:                             ;   in Loop: Header=BB6_7723 Depth=2
	s_or_b64 exec, exec, s[20:21]
	v_mul_f32_e32 v2, s60, v16
	v_and_b32_sdwa v16, v2, s69 dst_sel:DWORD dst_unused:UNUSED_PAD src0_sel:BYTE_3 src1_sel:DWORD
	v_and_b32_e32 v44, 0x7f800000, v2
	v_mov_b32_e32 v45, v39
	v_and_b32_e32 v38, 0x7fffff, v2
	v_or_b32_e32 v3, 0x7e, v16
	v_cmp_ne_u64_e32 vcc, s[38:39], v[44:45]
	s_and_saveexec_b64 s[20:21], vcc
	s_xor_b64 s[54:55], exec, s[20:21]
	s_cbranch_execz .LBB6_8430
; %bb.8417:                             ;   in Loop: Header=BB6_7723 Depth=2
	v_and_b32_e32 v44, 0x7fffffff, v2
	v_mov_b32_e32 v45, v39
	v_cmp_gt_u64_e32 vcc, s[40:41], v[44:45]
	s_and_saveexec_b64 s[20:21], vcc
	s_xor_b64 s[56:57], exec, s[20:21]
	s_cbranch_execz .LBB6_8429
; %bb.8418:                             ;   in Loop: Header=BB6_7723 Depth=2
	v_cmp_ne_u32_e32 vcc, 0, v2
	v_mov_b32_e32 v3, 0
	s_and_saveexec_b64 s[58:59], vcc
	s_cbranch_execz .LBB6_8428
; %bb.8419:                             ;   in Loop: Header=BB6_7723 Depth=2
	v_bfe_u32 v2, v2, 23, 8
	v_sub_u32_e32 v17, 0x79, v2
	v_cmp_gt_u32_e32 vcc, s70, v2
	v_add_u32_e32 v3, 0xffffff81, v2
	v_cndmask_b32_e32 v17, 0, v17, vcc
	v_cmp_eq_u32_e32 vcc, 0, v2
	v_mov_b32_e32 v2, 0xffffff82
	v_cndmask_b32_e32 v56, v3, v2, vcc
	v_mov_b32_e32 v2, 0x78
	v_cndmask_b32_e32 v17, v17, v2, vcc
	v_or_b32_e32 v43, 0x800000, v38
	v_add_u32_e32 v2, 20, v17
	v_cndmask_b32_e32 v38, v43, v38, vcc
	v_lshlrev_b64 v[2:3], v2, -1
	v_not_b32_e32 v2, v2
	v_lshrrev_b64 v[46:47], v17, v[38:39]
	v_not_b32_e32 v3, v3
	v_and_b32_e32 v2, v38, v2
	v_add_u32_e32 v43, 19, v17
	v_lshrrev_b32_e32 v38, 23, v46
	v_and_b32_e32 v3, 0, v3
	v_lshlrev_b64 v[44:45], v43, 1
	v_add3_u32 v43, v17, v56, v38
	v_bfe_u32 v17, v46, 20, 1
	v_add_u32_e32 v17, -1, v17
	v_cmp_eq_u64_e32 vcc, v[2:3], v[44:45]
	v_cndmask_b32_e32 v2, 0, v17, vcc
	v_add_u32_e32 v2, v2, v46
	v_and_b32_e32 v2, 0xfffff, v2
	v_add_co_u32_e32 v2, vcc, v2, v46
	v_add_u32_e32 v38, 6, v43
	v_addc_co_u32_e32 v3, vcc, 0, v47, vcc
	v_cmp_ne_u32_e32 vcc, 0, v38
                                        ; implicit-def: $vgpr17
	s_and_saveexec_b64 s[20:21], vcc
	s_xor_b64 s[20:21], exec, s[20:21]
; %bb.8420:                             ;   in Loop: Header=BB6_7723 Depth=2
	v_add_u32_e32 v17, 7, v43
	v_cmp_lt_u64_e32 vcc, s[44:45], v[2:3]
	v_cndmask_b32_e32 v17, v38, v17, vcc
	v_cndmask_b32_e64 v38, 0, 1, vcc
	v_lshrrev_b64 v[2:3], v38, v[2:3]
; %bb.8421:                             ;   in Loop: Header=BB6_7723 Depth=2
	s_andn2_saveexec_b64 s[20:21], s[20:21]
; %bb.8422:                             ;   in Loop: Header=BB6_7723 Depth=2
	v_bfe_u32 v17, v2, 23, 1
; %bb.8423:                             ;   in Loop: Header=BB6_7723 Depth=2
	s_or_b64 exec, exec, s[20:21]
	v_lshrrev_b64 v[2:3], 20, v[2:3]
	v_cmp_gt_i32_e32 vcc, 16, v17
	v_cndmask_b32_e32 v3, 0, v3, vcc
	v_cndmask_b32_e32 v2, 7, v2, vcc
	v_cmp_ne_u32_e32 vcc, 0, v17
	v_cmp_ne_u64_e64 s[20:21], 0, v[2:3]
	s_or_b64 s[20:21], vcc, s[20:21]
                                        ; implicit-def: $vgpr3
	s_mov_b64 vcc, exec
	s_and_b64 s[60:61], vcc, s[20:21]
	s_xor_b64 s[20:21], s[60:61], vcc
	v_accvgpr_read_b32 v46, a46
	s_mov_b64 exec, s[60:61]
; %bb.8424:                             ;   in Loop: Header=BB6_7723 Depth=2
	v_min_i32_e32 v3, 15, v17
	v_lshl_or_b32 v3, v3, 3, v16
	v_and_or_b32 v3, v2, 7, v3
                                        ; implicit-def: $vgpr16
; %bb.8425:                             ;   in Loop: Header=BB6_7723 Depth=2
	s_andn2_saveexec_b64 s[20:21], s[20:21]
; %bb.8426:                             ;   in Loop: Header=BB6_7723 Depth=2
	v_mov_b32_e32 v3, v16
; %bb.8427:                             ;   in Loop: Header=BB6_7723 Depth=2
	s_or_b64 exec, exec, s[20:21]
.LBB6_8428:                             ;   in Loop: Header=BB6_7723 Depth=2
	s_or_b64 exec, exec, s[58:59]
.LBB6_8429:                             ;   in Loop: Header=BB6_7723 Depth=2
	s_andn2_saveexec_b64 s[20:21], s[56:57]
	s_or_b64 exec, exec, s[20:21]
                                        ; implicit-def: $vgpr2
.LBB6_8430:                             ;   in Loop: Header=BB6_7723 Depth=2
	s_andn2_saveexec_b64 s[20:21], s[54:55]
	s_cbranch_execz .LBB6_7722
; %bb.8431:                             ;   in Loop: Header=BB6_7723 Depth=2
	v_or_b32_sdwa v2, v2, s68 dst_sel:DWORD dst_unused:UNUSED_PAD src0_sel:BYTE_3 src1_sel:DWORD
	v_cmp_eq_u64_e32 vcc, 0, v[38:39]
	v_cndmask_b32_e32 v3, v2, v3, vcc
	s_branch .LBB6_7722
.LBB6_8432:                             ;   in Loop: Header=BB6_6181 Depth=1
	s_or_b64 exec, exec, s[52:53]
.LBB6_8433:                             ;   in Loop: Header=BB6_6181 Depth=1
	s_or_b64 exec, exec, s[50:51]
	v_lshlrev_b32_e32 v2, 11, v19
	v_cmp_ne_u32_e32 vcc, v1, v2
	s_and_b64 exec, exec, vcc
	s_cbranch_execz .LBB6_8464
; %bb.8434:                             ;   in Loop: Header=BB6_6181 Depth=1
	v_add_u32_e32 v3, v4, v18
	v_and_b32_e32 v3, 0xffffffc0, v3
	v_sub_u32_e32 v3, v4, v3
	v_lshlrev_b32_e32 v4, 6, v5
	v_sub_u32_e32 v3, v3, v4
	v_add_u32_e32 v4, v2, v3
	v_sub_u32_e32 v1, v1, v4
	v_cmp_lt_i32_e32 vcc, 0, v1
	s_and_b64 exec, exec, vcc
	s_cbranch_execz .LBB6_8464
; %bb.8435:                             ;   in Loop: Header=BB6_6181 Depth=1
	s_trap 2
	ds_read_b64 v[2:3], v0
	v_add_u32_e32 v10, v4, v0
	v_ashrrev_i32_e32 v11, 31, v10
	s_mov_b64 s[50:51], 0
	s_branch .LBB6_8437
.LBB6_8436:                             ;   in Loop: Header=BB6_8437 Depth=2
	s_or_b64 exec, exec, s[20:21]
	v_accvgpr_read_b32 v0, a42
	v_sub_u32_e32 v1, v1, v0
	v_cmp_gt_i32_e32 vcc, 1, v1
	s_or_b64 s[50:51], vcc, s[50:51]
	v_add_co_u32_e32 v10, vcc, v10, v0
	v_accvgpr_read_b32 v5, a43
	v_addc_co_u32_e32 v11, vcc, v11, v5, vcc
	flat_store_byte v[12:13], v4 glc slc
	s_andn2_b64 exec, exec, s[50:51]
	s_cbranch_execz .LBB6_8464
.LBB6_8437:                             ;   Parent Loop BB6_6181 Depth=1
                                        ; =>  This Inner Loop Header: Depth=2
	s_trap 2
	ds_read_b64 v[12:13], v0
	s_waitcnt lgkmcnt(0)
	v_cmp_eq_u16_sdwa vcc, v12, v39 src0_sel:BYTE_0 src1_sel:DWORD
	v_readfirstlane_b32 s20, v12
	v_readfirstlane_b32 s21, v13
	s_and_b64 vcc, exec, vcc
	s_cbranch_vccnz .LBB6_8441
; %bb.8438:                             ;   in Loop: Header=BB6_8437 Depth=2
	v_cmp_eq_u32_sdwa vcc, v12, s69 src0_sel:BYTE_0 src1_sel:DWORD
	s_and_b64 vcc, exec, vcc
	s_brev_b32 s56, 1
	s_cbranch_vccnz .LBB6_8442
; %bb.8439:                             ;   in Loop: Header=BB6_8437 Depth=2
	s_and_b32 vcc_lo, s20, 0x7f
	s_cmpk_eq_i32 vcc_lo, 0x7f
	s_mov_b32 s56, 0x7f800001
	s_cbranch_scc1 .LBB6_8442
; %bb.8440:                             ;   in Loop: Header=BB6_8437 Depth=2
	s_and_b32 vcc_hi, s20, 7
	s_flbit_i32_b32 vcc_hi, vcc_hi
	s_min_u32 vcc_hi, vcc_hi, 32
	s_lshr_b32 s52, vcc_lo, 3
	s_sub_i32 s53, vcc_hi, 28
	s_sub_i32 vcc_hi, 29, vcc_hi
	s_cmp_lt_u32 vcc_lo, 8
	s_cselect_b32 vcc_lo, s53, 0
	s_cselect_b32 s52, vcc_hi, s52
	s_lshl_b64 vcc, s[20:21], vcc_lo
	s_lshl_b32 s21, vcc_lo, 20
	s_lshl_b32 s20, s20, 24
	s_lshl_b32 vcc_lo, s52, 23
	s_and_b32 s20, s20, 0x80000000
	s_add_i32 vcc_lo, vcc_lo, 0x3c000000
	s_and_b32 s21, s21, 0x700000
	s_or_b32 s20, s20, vcc_lo
	s_or_b32 s56, s20, s21
	s_branch .LBB6_8442
.LBB6_8441:                             ;   in Loop: Header=BB6_8437 Depth=2
	s_mov_b32 s56, 0
.LBB6_8442:                             ;   in Loop: Header=BB6_8437 Depth=2
	v_add_co_u32_e32 v12, vcc, v2, v10
	v_addc_co_u32_e32 v13, vcc, v3, v11, vcc
	flat_load_ubyte v0, v[12:13] glc slc
	v_mov_b32_e32 v4, 0
	s_waitcnt vmcnt(0) lgkmcnt(0)
	v_cmp_ne_u16_e32 vcc, 0, v0
	s_and_saveexec_b64 s[20:21], vcc
	s_cbranch_execz .LBB6_8448
; %bb.8443:                             ;   in Loop: Header=BB6_8437 Depth=2
	v_cmp_ne_u16_e32 vcc, s69, v0
	v_bfrev_b32_e32 v4, 1
	s_and_saveexec_b64 s[52:53], vcc
	s_cbranch_execz .LBB6_8447
; %bb.8444:                             ;   in Loop: Header=BB6_8437 Depth=2
	v_and_b32_e32 v14, 0xffff, v0
	v_and_b32_e32 v5, 0x7f, v14
	v_cmp_ne_u32_e32 vcc, s68, v5
	v_mov_b32_e32 v4, 0x7f800001
	s_and_saveexec_b64 s[54:55], vcc
	s_cbranch_execz .LBB6_8446
; %bb.8445:                             ;   in Loop: Header=BB6_8437 Depth=2
	v_and_b32_e32 v4, 7, v14
	v_ffbh_u32_e32 v6, v4
	v_min_u32_e32 v9, 32, v6
	v_subrev_u32_e32 v6, 28, v9
	v_lshlrev_b64 v[6:7], v6, v[14:15]
	v_lshrrev_b32_e32 v8, 3, v5
	v_sub_u32_e32 v7, 29, v9
	v_and_b32_e32 v6, 7, v6
	v_cmp_gt_u32_e32 vcc, 8, v5
	v_cndmask_b32_e32 v5, v8, v7, vcc
	v_cndmask_b32_e32 v4, v4, v6, vcc
	v_lshlrev_b32_e32 v0, 24, v0
	v_bfrev_b32_e32 v6, 60
	v_lshlrev_b32_e32 v4, 20, v4
	v_and_b32_e32 v0, 0x80000000, v0
	v_lshl_add_u32 v5, v5, 23, v6
	v_or3_b32 v4, v0, v5, v4
.LBB6_8446:                             ;   in Loop: Header=BB6_8437 Depth=2
	s_or_b64 exec, exec, s[54:55]
.LBB6_8447:                             ;   in Loop: Header=BB6_8437 Depth=2
	s_or_b64 exec, exec, s[52:53]
.LBB6_8448:                             ;   in Loop: Header=BB6_8437 Depth=2
	s_or_b64 exec, exec, s[20:21]
	v_mul_f32_e32 v5, s56, v4
	v_and_b32_sdwa v0, v5, s69 dst_sel:DWORD dst_unused:UNUSED_PAD src0_sel:BYTE_3 src1_sel:DWORD
	v_and_b32_e32 v6, 0x7f800000, v5
	v_mov_b32_e32 v7, v39
	v_and_b32_e32 v38, 0x7fffff, v5
	v_or_b32_e32 v4, 0x7e, v0
	v_cmp_ne_u64_e32 vcc, s[38:39], v[6:7]
	s_and_saveexec_b64 s[20:21], vcc
	s_xor_b64 s[52:53], exec, s[20:21]
	s_cbranch_execz .LBB6_8462
; %bb.8449:                             ;   in Loop: Header=BB6_8437 Depth=2
	v_and_b32_e32 v6, 0x7fffffff, v5
	v_mov_b32_e32 v7, v39
	v_cmp_gt_u64_e32 vcc, s[40:41], v[6:7]
	s_and_saveexec_b64 s[20:21], vcc
	s_xor_b64 s[54:55], exec, s[20:21]
	s_cbranch_execz .LBB6_8461
; %bb.8450:                             ;   in Loop: Header=BB6_8437 Depth=2
	v_cmp_ne_u32_e32 vcc, 0, v5
	v_mov_b32_e32 v4, 0
	s_and_saveexec_b64 s[56:57], vcc
	s_cbranch_execz .LBB6_8460
; %bb.8451:                             ;   in Loop: Header=BB6_8437 Depth=2
	v_bfe_u32 v4, v5, 23, 8
	v_sub_u32_e32 v6, 0x79, v4
	v_cmp_gt_u32_e32 vcc, s70, v4
	v_add_u32_e32 v5, 0xffffff81, v4
	v_cndmask_b32_e32 v6, 0, v6, vcc
	v_cmp_eq_u32_e32 vcc, 0, v4
	v_mov_b32_e32 v4, 0xffffff82
	v_cndmask_b32_e32 v18, v5, v4, vcc
	v_mov_b32_e32 v4, 0x78
	v_cndmask_b32_e32 v6, v6, v4, vcc
	v_add_u32_e32 v4, 20, v6
	v_or_b32_e32 v7, 0x800000, v38
	v_lshlrev_b64 v[4:5], v4, -1
	v_cndmask_b32_e32 v38, v7, v38, vcc
	v_not_b32_e32 v4, v4
	v_not_b32_e32 v5, v5
	v_and_b32_e32 v8, v38, v4
	v_add_u32_e32 v4, 19, v6
	v_lshrrev_b64 v[16:17], v6, v[38:39]
	v_and_b32_e32 v9, 0, v5
	v_lshlrev_b64 v[14:15], v4, 1
	v_bfe_u32 v5, v16, 20, 1
	v_add_u32_e32 v5, -1, v5
	v_cmp_eq_u64_e32 vcc, v[8:9], v[14:15]
	v_cndmask_b32_e32 v5, 0, v5, vcc
	v_add_u32_e32 v5, v5, v16
	v_lshrrev_b32_e32 v4, 23, v16
	v_and_b32_e32 v5, 0xfffff, v5
	v_add3_u32 v6, v6, v18, v4
	v_add_co_u32_e32 v14, vcc, v5, v16
	v_add_u32_e32 v4, 6, v6
	v_addc_co_u32_e32 v15, vcc, 0, v17, vcc
	v_cmp_ne_u32_e32 vcc, 0, v4
                                        ; implicit-def: $vgpr5
	s_and_saveexec_b64 s[20:21], vcc
	s_xor_b64 s[20:21], exec, s[20:21]
; %bb.8452:                             ;   in Loop: Header=BB6_8437 Depth=2
	v_add_u32_e32 v5, 7, v6
	v_cmp_lt_u64_e32 vcc, s[44:45], v[14:15]
	v_cndmask_b32_e32 v5, v4, v5, vcc
	v_cndmask_b32_e64 v4, 0, 1, vcc
	v_lshrrev_b64 v[14:15], v4, v[14:15]
; %bb.8453:                             ;   in Loop: Header=BB6_8437 Depth=2
	s_andn2_saveexec_b64 s[20:21], s[20:21]
; %bb.8454:                             ;   in Loop: Header=BB6_8437 Depth=2
	v_bfe_u32 v5, v14, 23, 1
; %bb.8455:                             ;   in Loop: Header=BB6_8437 Depth=2
	s_or_b64 exec, exec, s[20:21]
	v_lshrrev_b64 v[6:7], 20, v[14:15]
	v_cmp_gt_i32_e32 vcc, 16, v5
	v_cndmask_b32_e32 v15, 0, v7, vcc
	v_cndmask_b32_e32 v14, 7, v6, vcc
	v_cmp_ne_u32_e32 vcc, 0, v5
	v_cmp_ne_u64_e64 s[20:21], 0, v[14:15]
	s_or_b64 s[20:21], vcc, s[20:21]
                                        ; implicit-def: $vgpr4
	s_and_saveexec_b64 vcc, s[20:21]
	s_xor_b64 s[20:21], exec, vcc
; %bb.8456:                             ;   in Loop: Header=BB6_8437 Depth=2
	v_min_i32_e32 v4, 15, v5
	v_lshl_or_b32 v0, v4, 3, v0
	v_and_or_b32 v4, v14, 7, v0
                                        ; implicit-def: $vgpr0
; %bb.8457:                             ;   in Loop: Header=BB6_8437 Depth=2
	s_andn2_saveexec_b64 s[20:21], s[20:21]
; %bb.8458:                             ;   in Loop: Header=BB6_8437 Depth=2
	v_mov_b32_e32 v4, v0
; %bb.8459:                             ;   in Loop: Header=BB6_8437 Depth=2
	s_or_b64 exec, exec, s[20:21]
.LBB6_8460:                             ;   in Loop: Header=BB6_8437 Depth=2
	s_or_b64 exec, exec, s[56:57]
.LBB6_8461:                             ;   in Loop: Header=BB6_8437 Depth=2
	s_andn2_saveexec_b64 s[20:21], s[54:55]
	s_or_b64 exec, exec, s[20:21]
                                        ; implicit-def: $vgpr5
.LBB6_8462:                             ;   in Loop: Header=BB6_8437 Depth=2
	s_andn2_saveexec_b64 s[20:21], s[52:53]
	s_cbranch_execz .LBB6_8436
; %bb.8463:                             ;   in Loop: Header=BB6_8437 Depth=2
	v_or_b32_sdwa v0, v5, s68 dst_sel:DWORD dst_unused:UNUSED_PAD src0_sel:BYTE_3 src1_sel:DWORD
	v_cmp_eq_u64_e32 vcc, 0, v[38:39]
	v_cndmask_b32_e32 v4, v0, v4, vcc
	s_branch .LBB6_8436
.LBB6_8464:                             ;   in Loop: Header=BB6_6181 Depth=1
	s_or_b64 exec, exec, s[22:23]
	v_accvgpr_read_b32 v0, a45
	v_accvgpr_read_b32 v19, a7
	v_cmp_ne_u32_e64 s[20:21], 0, v0
	v_accvgpr_read_b32 v18, a6
.LBB6_8465:                             ;   in Loop: Header=BB6_6181 Depth=1
	s_and_saveexec_b64 s[22:23], s[10:11]
	s_cbranch_execz .LBB6_8484
; %bb.8466:                             ;   in Loop: Header=BB6_6181 Depth=1
	s_and_saveexec_b64 vcc, s[34:35]
	s_xor_b64 s[50:51], exec, vcc
	s_cbranch_execz .LBB6_8481
; %bb.8467:                             ;   in Loop: Header=BB6_6181 Depth=1
	s_and_saveexec_b64 s[52:53], s[12:13]
	s_cbranch_execz .LBB6_8480
; %bb.8468:                             ;   in Loop: Header=BB6_6181 Depth=1
	s_mov_b64 s[56:57], exec
	v_mbcnt_lo_u32_b32 v0, s56, 0
	v_mbcnt_hi_u32_b32 v0, s57, v0
	v_cmp_eq_u32_e32 vcc, 0, v0
	s_waitcnt vmcnt(0) lgkmcnt(0)
	buffer_wbinvl1_vol
	s_and_saveexec_b64 s[54:55], vcc
	s_cbranch_execz .LBB6_8470
; %bb.8469:                             ;   in Loop: Header=BB6_6181 Depth=1
	s_bcnt1_i32_b64 vcc_lo, s[56:57]
	v_mov_b32_e32 v38, vcc_lo
	ds_add_u64 v0, v[38:39]
	s_trap 2
.LBB6_8470:                             ;   in Loop: Header=BB6_6181 Depth=1
	s_or_b64 exec, exec, s[54:55]
	s_trap 2
	ds_read_b64 v[0:1], v0
	v_accvgpr_read_b32 v2, a26
	v_accvgpr_read_b32 v4, a32
	;; [unrolled: 1-line block ×3, first 2 shown]
	v_add_co_u32_e32 v2, vcc, v2, v4
	v_addc_co_u32_e32 v3, vcc, 0, v3, vcc
	v_accvgpr_write_b32 a27, v3
	v_accvgpr_write_b32 a26, v2
	s_waitcnt lgkmcnt(0)
	v_cmp_lt_u64_e32 vcc, v[0:1], v[2:3]
	s_and_saveexec_b64 s[54:55], vcc
	s_cbranch_execz .LBB6_8479
; %bb.8471:                             ;   in Loop: Header=BB6_6181 Depth=1
	s_mov_b32 s73, 0
	s_mov_b64 s[56:57], 0
                                        ; implicit-def: $sgpr58_sgpr59
                                        ; implicit-def: $sgpr60_sgpr61
	s_branch .LBB6_8473
.LBB6_8472:                             ;   in Loop: Header=BB6_8473 Depth=2
	s_or_b64 exec, exec, s[64:65]
	s_and_b64 vcc, exec, vcc
	s_or_b64 s[56:57], vcc, s[56:57]
	s_andn2_b64 vcc, s[58:59], exec
	s_and_b64 s[58:59], s[60:61], exec
	s_or_b64 s[58:59], vcc, s[58:59]
	s_andn2_b64 exec, exec, s[56:57]
	s_cbranch_execz .LBB6_8477
.LBB6_8473:                             ;   Parent Loop BB6_6181 Depth=1
                                        ; =>  This Inner Loop Header: Depth=2
	s_add_i32 s73, s73, 1
	s_cmpk_lg_i32 s73, 0x2710
	s_cselect_b64 s[62:63], -1, 0
	s_and_b64 vcc, exec, s[62:63]
                                        ; implicit-def: $sgpr64_sgpr65
	s_cbranch_vccnz .LBB6_8475
; %bb.8474:                             ;   in Loop: Header=BB6_8473 Depth=2
	s_trap 2
	ds_read_b64 v[0:1], v0
	s_andn2_b64 s[62:63], s[62:63], exec
	s_mov_b32 s73, 0
	s_mov_b64 s[64:65], -1
	s_waitcnt lgkmcnt(0)
	flat_load_dword v0, v[0:1] glc
	s_waitcnt vmcnt(0) lgkmcnt(0)
	buffer_invl2
	buffer_wbinvl1_vol
	v_cmp_eq_u32_e32 vcc, 0, v0
	s_and_b64 vcc, vcc, exec
	s_or_b64 s[62:63], s[62:63], vcc
.LBB6_8475:                             ;   in Loop: Header=BB6_8473 Depth=2
	s_andn2_b64 s[60:61], s[60:61], exec
	s_and_b64 s[64:65], s[64:65], exec
	s_mov_b64 vcc, -1
	s_or_b64 s[60:61], s[60:61], s[64:65]
	s_and_saveexec_b64 s[64:65], s[62:63]
	s_cbranch_execz .LBB6_8472
; %bb.8476:                             ;   in Loop: Header=BB6_8473 Depth=2
	s_sleep 1
	s_trap 2
	ds_read_b64 v[0:1], v0
	v_accvgpr_read_b32 v2, a26
	v_accvgpr_read_b32 v3, a27
	s_andn2_b64 s[60:61], s[60:61], exec
	s_waitcnt lgkmcnt(0)
	v_cmp_ge_u64_e32 vcc, v[0:1], v[2:3]
	s_orn2_b64 vcc, vcc, exec
	s_branch .LBB6_8472
.LBB6_8477:                             ;   in Loop: Header=BB6_6181 Depth=1
	s_or_b64 exec, exec, s[56:57]
	s_and_saveexec_b64 vcc, s[58:59]
	s_xor_b64 vcc, exec, vcc
	s_cbranch_execz .LBB6_8479
; %bb.8478:                             ;   in Loop: Header=BB6_6181 Depth=1
	v_mov_b32_e32 v0, 1
	ds_write_b32 v0, v0
	s_trap 2
.LBB6_8479:                             ;   in Loop: Header=BB6_6181 Depth=1
	s_or_b64 exec, exec, s[54:55]
	;;#ASMSTART
	s_wakeup
	;;#ASMEND
.LBB6_8480:                             ;   in Loop: Header=BB6_6181 Depth=1
	s_or_b64 exec, exec, s[52:53]
.LBB6_8481:                             ;   in Loop: Header=BB6_6181 Depth=1
	s_andn2_saveexec_b64 vcc, s[50:51]
	s_cbranch_execz .LBB6_8483
; %bb.8482:                             ;   in Loop: Header=BB6_6181 Depth=1
	s_waitcnt vmcnt(0) lgkmcnt(0)
	buffer_wbinvl1_vol
	s_barrier
.LBB6_8483:                             ;   in Loop: Header=BB6_6181 Depth=1
	s_or_b64 exec, exec, vcc
.LBB6_8484:                             ;   in Loop: Header=BB6_6181 Depth=1
	s_or_b64 exec, exec, s[22:23]
	v_accvgpr_read_b32 v0, a4
	v_and_b32_e32 v0, 16, v0
	v_cmp_ne_u32_e32 vcc, 0, v0
	s_and_b64 s[22:23], vcc, s[20:21]
	s_and_saveexec_b64 s[20:21], s[22:23]
	s_cbranch_execz .LBB6_8486
; %bb.8485:                             ;   in Loop: Header=BB6_6181 Depth=1
	s_waitcnt vmcnt(0) lgkmcnt(0)
	buffer_wbinvl1_vol
.LBB6_8486:                             ;   in Loop: Header=BB6_6181 Depth=1
	s_or_b64 exec, exec, s[20:21]
	v_cmp_ne_u32_e32 vcc, 0, v0
	s_and_saveexec_b64 s[20:21], vcc
	s_cbranch_execz .LBB6_8490
; %bb.8487:                             ;   in Loop: Header=BB6_6181 Depth=1
	s_and_saveexec_b64 s[22:23], s[18:19]
	s_cbranch_execz .LBB6_8489
; %bb.8488:                             ;   in Loop: Header=BB6_6181 Depth=1
	v_accvgpr_read_b32 v0, a30
	v_accvgpr_read_b32 v1, a31
	v_mov_b32_e32 v2, 1
	flat_store_dword v[0:1], v2
.LBB6_8489:                             ;   in Loop: Header=BB6_6181 Depth=1
	s_or_b64 exec, exec, s[22:23]
	v_accvgpr_read_b32 v0, a14
	v_accvgpr_read_b32 v2, a16
	;; [unrolled: 1-line block ×3, first 2 shown]
	v_add_co_u32_e32 v2, vcc, 1, v2
	v_addc_co_u32_e32 v3, vcc, 0, v3, vcc
	v_accvgpr_read_b32 v1, a15
	v_accvgpr_write_b32 a17, v3
	v_accvgpr_write_b32 a16, v2
	;; [unrolled: 1-line block ×4, first 2 shown]
	v_accvgpr_read_b32 v0, a18
	v_accvgpr_read_b32 v1, a19
	flat_store_dwordx2 v[0:1], v[2:3]
.LBB6_8490:                             ;   in Loop: Header=BB6_6181 Depth=1
	s_or_b64 exec, exec, s[20:21]
	v_mov_b32_e32 v0, v46
.LBB6_8491:                             ;   in Loop: Header=BB6_6181 Depth=1
	s_or_b64 exec, exec, s[48:49]
	s_and_saveexec_b64 s[22:23], s[46:47]
	s_cbranch_execz .LBB6_6180
; %bb.8492:                             ;   in Loop: Header=BB6_6181 Depth=1
	v_accvgpr_read_b32 v1, a4
	v_and_b32_e32 v1, 8, v1
	v_cmp_ne_u32_e32 vcc, 0, v1
	s_mov_b64 s[46:47], -1
	s_and_saveexec_b64 s[20:21], vcc
	s_cbranch_execz .LBB6_8504
; %bb.8493:                             ;   in Loop: Header=BB6_6181 Depth=1
	v_accvgpr_read_b32 v2, a24
	v_accvgpr_read_b32 v3, a25
	v_add_co_u32_e32 v4, vcc, 8, v2
	v_accvgpr_read_b32 v6, a14
	v_addc_co_u32_e32 v5, vcc, 0, v3, vcc
	v_accvgpr_read_b32 v8, a16
	v_accvgpr_read_b32 v9, a17
	v_add_co_u32_e32 v2, vcc, 1, v8
	v_addc_co_u32_e32 v3, vcc, 0, v9, vcc
	v_cmp_lt_u64_e32 vcc, v[4:5], v[2:3]
	v_mov_b32_e32 v1, 1
	v_accvgpr_read_b32 v7, a15
	s_and_saveexec_b64 s[46:47], vcc
	s_cbranch_execz .LBB6_8503
; %bb.8494:                             ;   in Loop: Header=BB6_6181 Depth=1
	s_mov_b64 s[48:49], 0
	v_mov_b32_e32 v1, 0
                                        ; implicit-def: $sgpr50_sgpr51
	s_branch .LBB6_8498
.LBB6_8495:                             ;   in Loop: Header=BB6_8498 Depth=2
	s_or_b64 exec, exec, s[58:59]
	v_mov_b32_e32 v4, 0
	s_orn2_b64 s[56:57], s[56:57], exec
.LBB6_8496:                             ;   in Loop: Header=BB6_8498 Depth=2
	s_or_b64 exec, exec, s[54:55]
	s_andn2_b64 vcc, s[50:51], exec
	s_and_b64 s[50:51], s[56:57], exec
	s_or_b64 s[50:51], vcc, s[50:51]
	v_mov_b32_e32 v1, v4
.LBB6_8497:                             ;   in Loop: Header=BB6_8498 Depth=2
	s_or_b64 exec, exec, s[52:53]
	s_waitcnt vmcnt(0) lgkmcnt(0)
	v_accvgpr_read_b32 v4, a24
	v_accvgpr_read_b32 v5, a25
	v_add_co_u32_e32 v4, vcc, 8, v4
	v_addc_co_u32_e32 v5, vcc, 0, v5, vcc
	v_cmp_ge_u64_e32 vcc, v[4:5], v[2:3]
	s_xor_b64 s[52:53], s[50:51], -1
	s_or_b64 vcc, s[52:53], vcc
	s_and_b64 vcc, exec, vcc
	s_or_b64 s[48:49], vcc, s[48:49]
	s_andn2_b64 exec, exec, s[48:49]
	s_cbranch_execz .LBB6_8502
.LBB6_8498:                             ;   Parent Loop BB6_6181 Depth=1
                                        ; =>  This Inner Loop Header: Depth=2
	v_accvgpr_read_b32 v4, a18
	v_accvgpr_read_b32 v5, a19
	s_sleep 1
	flat_load_dwordx2 a[24:25], v[4:5] glc
	v_accvgpr_read_b32 v4, a4
	v_and_b32_e32 v4, 64, v4
	v_cmp_eq_u32_e32 vcc, 0, v4
	s_andn2_b64 s[50:51], s[50:51], exec
	s_and_saveexec_b64 s[52:53], vcc
	s_cbranch_execz .LBB6_8497
; %bb.8499:                             ;   in Loop: Header=BB6_8498 Depth=2
	v_add_u32_e32 v4, 1, v1
	v_cmp_lt_i32_e32 vcc, s67, v1
	s_mov_b64 s[56:57], -1
	s_and_saveexec_b64 s[54:55], vcc
	s_cbranch_execz .LBB6_8496
; %bb.8500:                             ;   in Loop: Header=BB6_8498 Depth=2
	s_trap 2
	ds_read_b64 v[4:5], v0
	s_waitcnt vmcnt(0) lgkmcnt(0)
	flat_load_dword v1, v[4:5] glc
	s_waitcnt vmcnt(0) lgkmcnt(0)
	buffer_invl2
	buffer_wbinvl1_vol
	v_cmp_ne_u32_e32 vcc, 0, v1
	s_and_saveexec_b64 s[58:59], vcc
	s_cbranch_execz .LBB6_8495
; %bb.8501:                             ;   in Loop: Header=BB6_8498 Depth=2
	v_accvgpr_read_b32 v4, a4
	v_or_b32_e32 v4, 64, v4
	v_accvgpr_write_b32 a4, v4
	s_xor_b64 s[56:57], exec, -1
	ds_write_b32 v0, v1
	s_trap 2
	s_branch .LBB6_8495
.LBB6_8502:                             ;   in Loop: Header=BB6_6181 Depth=1
	s_or_b64 exec, exec, s[48:49]
	v_accvgpr_read_b32 v1, a4
	v_and_b32_e32 v1, 8, v1
.LBB6_8503:                             ;   in Loop: Header=BB6_6181 Depth=1
	s_or_b64 exec, exec, s[46:47]
	v_cmp_eq_u32_e32 vcc, 0, v1
	s_orn2_b64 s[46:47], vcc, exec
	;;#ASMSTART
	s_wakeup
	;;#ASMEND
.LBB6_8504:                             ;   in Loop: Header=BB6_6181 Depth=1
	s_or_b64 exec, exec, s[20:21]
	v_accvgpr_read_b32 v2, a44
	v_sub_u32_e32 v0, v2, v0
	s_xor_b64 s[20:21], s[46:47], -1
	v_min_i32_e32 v2, v46, v0
	s_and_saveexec_b64 s[46:47], s[20:21]
	s_cbranch_execz .LBB6_8514
; %bb.8505:                             ;   in Loop: Header=BB6_6181 Depth=1
	v_accvgpr_read_b32 v0, a4
	v_accvgpr_read_b32 v4, a14
	v_and_b32_e32 v0, 0x100, v0
	v_accvgpr_read_b32 v6, a16
	v_cmp_ne_u32_e32 vcc, 0, v0
	v_and_b32_e32 v0, 7, v6
	s_mov_b64 s[20:21], -1
	v_accvgpr_read_b32 v5, a15
	v_accvgpr_read_b32 v7, a17
                                        ; implicit-def: $vgpr10_vgpr11
	s_and_saveexec_b64 s[48:49], vcc
	s_cbranch_execz .LBB6_8509
; %bb.8506:                             ;   in Loop: Header=BB6_6181 Depth=1
	v_accvgpr_read_b32 v4, a14
	v_accvgpr_read_b32 v5, a15
	v_mad_u64_u32 v[12:13], s[20:21], v0, 24, v[4:5]
	flat_load_dword v1, v[12:13]
	v_ashrrev_i32_e32 v3, 31, v2
	v_accvgpr_read_b32 v6, a16
	v_accvgpr_read_b32 v7, a17
	flat_store_dwordx2 v[12:13], v[2:3] offset:8
                                        ; implicit-def: $vgpr10_vgpr11
	s_waitcnt vmcnt(0) lgkmcnt(0)
	v_cmp_ne_u32_e32 vcc, 1, v1
	v_cmp_eq_u32_e64 s[20:21], 1, v1
	s_and_saveexec_b64 s[50:51], s[20:21]
	s_cbranch_execz .LBB6_8508
; %bb.8507:                             ;   in Loop: Header=BB6_6181 Depth=1
	flat_load_dword v10, v[12:13] offset:4 glc
	s_waitcnt vmcnt(0) lgkmcnt(0)
	v_ashrrev_i32_e32 v11, 31, v10
.LBB6_8508:                             ;   in Loop: Header=BB6_6181 Depth=1
	s_or_b64 exec, exec, s[50:51]
	s_orn2_b64 s[20:21], vcc, exec
.LBB6_8509:                             ;   in Loop: Header=BB6_6181 Depth=1
	s_or_b64 exec, exec, s[48:49]
	s_and_saveexec_b64 vcc, s[20:21]
; %bb.8510:                             ;   in Loop: Header=BB6_6181 Depth=1
	v_accvgpr_read_b32 v4, a20
	v_mad_i64_i32 v[10:11], s[20:21], v0, v4, 0
; %bb.8511:                             ;   in Loop: Header=BB6_6181 Depth=1
	s_or_b64 exec, exec, vcc
	v_accvgpr_read_b32 v0, a22
	v_accvgpr_read_b32 v1, a23
	v_add_co_u32_e32 v0, vcc, v0, v10
	v_addc_co_u32_e32 v1, vcc, v1, v11, vcc
	ds_write_b64 v0, v[0:1] offset:784
	v_accvgpr_read_b32 v0, a4
	v_and_b32_e32 v0, 0x2000, v0
	v_cmp_ne_u32_e32 vcc, 0, v0
	s_and_saveexec_b64 s[20:21], vcc
	s_cbranch_execz .LBB6_8513
; %bb.8512:                             ;   in Loop: Header=BB6_6181 Depth=1
	ds_read_b64 v[0:1], v0 offset:584
	s_waitcnt lgkmcnt(0)
	v_add_co_u32_e32 v0, vcc, 1, v0
	v_addc_co_u32_e32 v1, vcc, 0, v1, vcc
	ds_write_b64 v0, v[0:1] offset:584
.LBB6_8513:                             ;   in Loop: Header=BB6_6181 Depth=1
	s_or_b64 exec, exec, s[20:21]
	v_accvgpr_read_b32 v4, a14
	v_accvgpr_read_b32 v6, a16
	;; [unrolled: 1-line block ×3, first 2 shown]
	v_add_co_u32_e32 v6, vcc, 1, v6
	v_addc_co_u32_e32 v7, vcc, 0, v7, vcc
	v_accvgpr_read_b32 v5, a15
	v_accvgpr_write_b32 a17, v7
	v_accvgpr_write_b32 a16, v6
	;; [unrolled: 1-line block ×4, first 2 shown]
.LBB6_8514:                             ;   in Loop: Header=BB6_6181 Depth=1
	s_or_b64 exec, exec, s[46:47]
	s_and_saveexec_b64 s[20:21], s[10:11]
	s_cbranch_execz .LBB6_8533
; %bb.8515:                             ;   in Loop: Header=BB6_6181 Depth=1
	s_and_saveexec_b64 vcc, s[34:35]
	s_xor_b64 s[46:47], exec, vcc
	s_cbranch_execz .LBB6_8530
; %bb.8516:                             ;   in Loop: Header=BB6_6181 Depth=1
	s_and_saveexec_b64 s[48:49], s[12:13]
	s_cbranch_execz .LBB6_8529
; %bb.8517:                             ;   in Loop: Header=BB6_6181 Depth=1
	s_mov_b64 s[52:53], exec
	v_mbcnt_lo_u32_b32 v0, s52, 0
	v_mbcnt_hi_u32_b32 v0, s53, v0
	v_cmp_eq_u32_e32 vcc, 0, v0
	s_waitcnt vmcnt(0) lgkmcnt(0)
	buffer_wbinvl1_vol
	s_and_saveexec_b64 s[50:51], vcc
	s_cbranch_execz .LBB6_8519
; %bb.8518:                             ;   in Loop: Header=BB6_6181 Depth=1
	s_bcnt1_i32_b64 vcc_lo, s[52:53]
	v_mov_b32_e32 v38, vcc_lo
	ds_add_u64 v0, v[38:39]
	s_trap 2
.LBB6_8519:                             ;   in Loop: Header=BB6_6181 Depth=1
	s_or_b64 exec, exec, s[50:51]
	s_trap 2
	ds_read_b64 v[0:1], v0
	v_accvgpr_read_b32 v4, a26
	v_accvgpr_read_b32 v6, a32
	;; [unrolled: 1-line block ×3, first 2 shown]
	v_add_co_u32_e32 v4, vcc, v4, v6
	v_addc_co_u32_e32 v5, vcc, 0, v5, vcc
	v_accvgpr_write_b32 a27, v5
	v_accvgpr_write_b32 a26, v4
	s_waitcnt lgkmcnt(0)
	v_cmp_lt_u64_e32 vcc, v[0:1], v[4:5]
	s_and_saveexec_b64 s[50:51], vcc
	s_cbranch_execz .LBB6_8528
; %bb.8520:                             ;   in Loop: Header=BB6_6181 Depth=1
	s_mov_b32 s62, 0
	s_mov_b64 s[52:53], 0
                                        ; implicit-def: $sgpr54_sgpr55
                                        ; implicit-def: $sgpr56_sgpr57
	s_branch .LBB6_8522
.LBB6_8521:                             ;   in Loop: Header=BB6_8522 Depth=2
	s_or_b64 exec, exec, s[60:61]
	s_and_b64 vcc, exec, vcc
	s_or_b64 s[52:53], vcc, s[52:53]
	s_andn2_b64 vcc, s[54:55], exec
	s_and_b64 s[54:55], s[56:57], exec
	s_or_b64 s[54:55], vcc, s[54:55]
	s_andn2_b64 exec, exec, s[52:53]
	s_cbranch_execz .LBB6_8526
.LBB6_8522:                             ;   Parent Loop BB6_6181 Depth=1
                                        ; =>  This Inner Loop Header: Depth=2
	s_add_i32 s62, s62, 1
	s_cmpk_lg_i32 s62, 0x2710
	s_cselect_b64 s[58:59], -1, 0
	s_and_b64 vcc, exec, s[58:59]
                                        ; implicit-def: $sgpr60_sgpr61
	s_cbranch_vccnz .LBB6_8524
; %bb.8523:                             ;   in Loop: Header=BB6_8522 Depth=2
	s_trap 2
	ds_read_b64 v[0:1], v0
	s_andn2_b64 s[58:59], s[58:59], exec
	s_mov_b32 s62, 0
	s_mov_b64 s[60:61], -1
	s_waitcnt lgkmcnt(0)
	flat_load_dword v0, v[0:1] glc
	s_waitcnt vmcnt(0) lgkmcnt(0)
	buffer_invl2
	buffer_wbinvl1_vol
	v_cmp_eq_u32_e32 vcc, 0, v0
	s_and_b64 vcc, vcc, exec
	s_or_b64 s[58:59], s[58:59], vcc
.LBB6_8524:                             ;   in Loop: Header=BB6_8522 Depth=2
	s_andn2_b64 s[56:57], s[56:57], exec
	s_and_b64 s[60:61], s[60:61], exec
	s_mov_b64 vcc, -1
	s_or_b64 s[56:57], s[56:57], s[60:61]
	s_and_saveexec_b64 s[60:61], s[58:59]
	s_cbranch_execz .LBB6_8521
; %bb.8525:                             ;   in Loop: Header=BB6_8522 Depth=2
	s_sleep 1
	s_trap 2
	ds_read_b64 v[0:1], v0
	v_accvgpr_read_b32 v4, a26
	v_accvgpr_read_b32 v5, a27
	s_andn2_b64 s[56:57], s[56:57], exec
	s_waitcnt lgkmcnt(0)
	v_cmp_ge_u64_e32 vcc, v[0:1], v[4:5]
	s_orn2_b64 vcc, vcc, exec
	s_branch .LBB6_8521
.LBB6_8526:                             ;   in Loop: Header=BB6_6181 Depth=1
	s_or_b64 exec, exec, s[52:53]
	s_and_saveexec_b64 vcc, s[54:55]
	s_xor_b64 vcc, exec, vcc
	s_cbranch_execz .LBB6_8528
; %bb.8527:                             ;   in Loop: Header=BB6_6181 Depth=1
	v_mov_b32_e32 v0, 1
	ds_write_b32 v0, v0
	s_trap 2
.LBB6_8528:                             ;   in Loop: Header=BB6_6181 Depth=1
	s_or_b64 exec, exec, s[50:51]
	;;#ASMSTART
	s_wakeup
	;;#ASMEND
.LBB6_8529:                             ;   in Loop: Header=BB6_6181 Depth=1
	s_or_b64 exec, exec, s[48:49]
.LBB6_8530:                             ;   in Loop: Header=BB6_6181 Depth=1
	s_andn2_saveexec_b64 vcc, s[46:47]
	s_cbranch_execz .LBB6_8532
; %bb.8531:                             ;   in Loop: Header=BB6_6181 Depth=1
	s_waitcnt vmcnt(0) lgkmcnt(0)
	buffer_wbinvl1_vol
	s_barrier
.LBB6_8532:                             ;   in Loop: Header=BB6_6181 Depth=1
	s_or_b64 exec, exec, vcc
.LBB6_8533:                             ;   in Loop: Header=BB6_6181 Depth=1
	s_or_b64 exec, exec, s[20:21]
	s_trap 2
	ds_read_b32 v1, v0
	v_accvgpr_read_b32 v0, a4
	v_cmp_lt_i32_e32 vcc, 0, v2
	v_and_b32_e32 v0, 16, v0
	s_waitcnt lgkmcnt(0)
	v_readfirstlane_b32 s20, v1
	s_cmp_eq_u32 s20, 0
	s_cselect_b64 s[20:21], -1, 0
	s_and_b64 s[20:21], vcc, s[20:21]
	v_cmp_ne_u32_e32 vcc, 0, v0
	s_and_b64 vcc, vcc, s[20:21]
	s_and_saveexec_b64 s[20:21], vcc
	s_cbranch_execz .LBB6_8535
; %bb.8534:                             ;   in Loop: Header=BB6_6181 Depth=1
	s_waitcnt vmcnt(0)
	buffer_wbinvl1_vol
.LBB6_8535:                             ;   in Loop: Header=BB6_6181 Depth=1
	s_or_b64 exec, exec, s[20:21]
	v_cmp_ne_u32_e32 vcc, 0, v0
	s_and_saveexec_b64 s[20:21], vcc
	s_cbranch_execz .LBB6_6179
; %bb.8536:                             ;   in Loop: Header=BB6_6181 Depth=1
	s_and_saveexec_b64 vcc, s[18:19]
	s_cbranch_execz .LBB6_6178
; %bb.8537:                             ;   in Loop: Header=BB6_6181 Depth=1
	v_accvgpr_read_b32 v0, a30
	v_accvgpr_read_b32 v1, a31
	v_mov_b32_e32 v2, 1
	flat_store_dword v[0:1], v2
	s_branch .LBB6_6178
.LBB6_8538:
	s_or_b64 exec, exec, s[30:31]
	v_accvgpr_read_b32 v23, a17
	v_accvgpr_read_b32 v22, a16
	;; [unrolled: 1-line block ×4, first 2 shown]
.LBB6_8539:
	s_or_b64 exec, exec, s[28:29]
.LBB6_8540:
	s_or_b64 exec, exec, s[24:25]
	v_accvgpr_read_b32 v1, a4
	v_and_b32_e32 v0, 0x800, v1
	v_cmp_eq_u32_e32 vcc, 0, v0
	s_and_saveexec_b64 s[4:5], vcc
	s_cbranch_execz .LBB6_8575
; %bb.8541:
	v_and_b32_e32 v0, 48, v1
	v_cmp_ne_u32_e32 vcc, 0, v0
	s_and_saveexec_b64 s[6:7], vcc
	s_cbranch_execz .LBB6_8543
; %bb.8542:
	v_accvgpr_read_b32 v0, a12
	v_accvgpr_read_b32 v1, a13
	s_waitcnt vmcnt(0) lgkmcnt(0)
	flat_store_dwordx2 v[0:1], v[22:23] offset:104
.LBB6_8543:
	s_or_b64 exec, exec, s[6:7]
	v_accvgpr_read_b32 v0, a4
	s_movk_i32 s6, 0x88
	v_and_b32_e32 v0, 0x88, v0
	v_cmp_eq_u32_e32 vcc, s6, v0
	s_and_saveexec_b64 s[6:7], vcc
	s_cbranch_execz .LBB6_8555
; %bb.8544:
	s_waitcnt vmcnt(0) lgkmcnt(0)
	v_add_u32_e32 v0, -1, v22
	v_and_b32_e32 v0, 7, v0
	v_mad_u64_u32 v[0:1], s[10:11], v0, 24, v[20:21]
	v_add_co_u32_e32 v2, vcc, 8, v0
	v_addc_co_u32_e32 v3, vcc, 0, v1, vcc
	s_mov_b64 s[10:11], 0
	v_mov_b32_e32 v0, 0
	s_movk_i32 s24, 0x270e
                                        ; implicit-def: $sgpr12_sgpr13
	s_branch .LBB6_8549
.LBB6_8545:                             ;   in Loop: Header=BB6_8549 Depth=1
	s_or_b64 exec, exec, s[22:23]
	v_mov_b32_e32 v1, 0
	s_orn2_b64 s[20:21], s[20:21], exec
.LBB6_8546:                             ;   in Loop: Header=BB6_8549 Depth=1
	s_or_b64 exec, exec, s[18:19]
	s_and_b64 s[18:19], s[20:21], exec
	v_mov_b32_e32 v0, v1
.LBB6_8547:                             ;   in Loop: Header=BB6_8549 Depth=1
	s_or_b64 exec, exec, s[16:17]
	s_xor_b64 s[16:17], s[18:19], -1
	s_andn2_b64 s[12:13], s[12:13], exec
	s_and_b64 s[16:17], s[16:17], exec
	s_or_b64 s[12:13], s[12:13], s[16:17]
.LBB6_8548:                             ;   in Loop: Header=BB6_8549 Depth=1
	s_or_b64 exec, exec, s[14:15]
	s_and_b64 s[14:15], exec, s[12:13]
	s_or_b64 s[10:11], s[14:15], s[10:11]
	s_andn2_b64 exec, exec, s[10:11]
	s_cbranch_execz .LBB6_8554
.LBB6_8549:                             ; =>This Inner Loop Header: Depth=1
	flat_load_dwordx2 v[4:5], v[2:3] glc
	s_waitcnt vmcnt(0)
	s_or_b64 s[12:13], s[12:13], exec
	s_waitcnt lgkmcnt(0)
	v_cmp_ne_u64_e32 vcc, -1, v[4:5]
	s_and_saveexec_b64 s[14:15], vcc
	s_cbranch_execz .LBB6_8548
; %bb.8550:                             ;   in Loop: Header=BB6_8549 Depth=1
	v_accvgpr_read_b32 v1, a4
	v_and_b32_e32 v1, 64, v1
	v_cmp_eq_u32_e32 vcc, 0, v1
	s_mov_b64 s[18:19], 0
	s_and_saveexec_b64 s[16:17], vcc
	s_cbranch_execz .LBB6_8547
; %bb.8551:                             ;   in Loop: Header=BB6_8549 Depth=1
	v_add_u32_e32 v1, 1, v0
	v_cmp_lt_i32_e32 vcc, s24, v0
	s_mov_b64 s[20:21], -1
	s_and_saveexec_b64 s[18:19], vcc
	s_cbranch_execz .LBB6_8546
; %bb.8552:                             ;   in Loop: Header=BB6_8549 Depth=1
	s_trap 2
	ds_read_b64 v[0:1], v0
	s_waitcnt lgkmcnt(0)
	flat_load_dword v0, v[0:1] glc
	s_waitcnt vmcnt(0) lgkmcnt(0)
	buffer_invl2
	buffer_wbinvl1_vol
	v_cmp_ne_u32_e32 vcc, 0, v0
	s_and_saveexec_b64 s[22:23], vcc
	s_cbranch_execz .LBB6_8545
; %bb.8553:                             ;   in Loop: Header=BB6_8549 Depth=1
	v_accvgpr_read_b32 v1, a4
	v_or_b32_e32 v1, 64, v1
	v_accvgpr_write_b32 a4, v1
	s_xor_b64 s[20:21], exec, -1
	ds_write_b32 v0, v0
	s_trap 2
	s_branch .LBB6_8545
.LBB6_8554:
	s_or_b64 exec, exec, s[10:11]
.LBB6_8555:
	s_or_b64 exec, exec, s[6:7]
	v_accvgpr_read_b32 v0, a4
	v_and_b32_e32 v0, 0x2000, v0
	v_cmp_ne_u32_e32 vcc, 0, v0
	s_and_saveexec_b64 s[6:7], vcc
	s_cbranch_execz .LBB6_8557
; %bb.8556:
	s_trap 2
	ds_read_b64 v[0:1], v0
	v_accvgpr_read_b32 v2, a10
	v_accvgpr_read_b32 v3, a11
	s_waitcnt lgkmcnt(0)
	flat_store_dwordx2 v[2:3], v[0:1] offset:16
.LBB6_8557:
	s_or_b64 exec, exec, s[6:7]
	v_accvgpr_read_b32 v0, a0
	v_cmp_ne_u32_e32 vcc, 64, v0
	s_and_b64 exec, exec, vcc
	s_cbranch_execz .LBB6_8575
; %bb.8558:
	v_accvgpr_read_b32 v0, a0
	s_waitcnt vmcnt(0)
	v_accvgpr_read_b32 v1, a2
	v_cmp_ne_u32_sdwa s[6:7], v1, v0 src0_sel:WORD_0 src1_sel:DWORD
	s_and_saveexec_b64 s[10:11], s[6:7]
	s_xor_b64 s[6:7], exec, s[10:11]
	s_cbranch_execz .LBB6_8573
; %bb.8559:
	v_accvgpr_read_b32 v0, a1
	v_and_b32_e32 v0, 63, v0
	v_cmp_eq_u32_e32 vcc, 0, v0
	s_and_saveexec_b64 s[10:11], vcc
	s_cbranch_execz .LBB6_8572
; %bb.8560:
	s_mov_b64 s[14:15], exec
	v_mbcnt_lo_u32_b32 v0, s14, 0
	v_mbcnt_hi_u32_b32 v0, s15, v0
	v_cmp_eq_u32_e32 vcc, 0, v0
	s_waitcnt lgkmcnt(0)
	buffer_wbinvl1_vol
	s_and_saveexec_b64 s[12:13], vcc
	s_cbranch_execz .LBB6_8562
; %bb.8561:
	s_bcnt1_i32_b64 s14, s[14:15]
	v_mov_b32_e32 v0, s14
	v_mov_b32_e32 v1, 0
	ds_add_u64 v0, v[0:1]
	s_trap 2
.LBB6_8562:
	s_or_b64 exec, exec, s[12:13]
	v_accvgpr_read_b32 v1, a0
	v_ashrrev_i32_e32 v0, 31, v1
	v_lshrrev_b32_e32 v0, 26, v0
	v_add_u32_e32 v0, v1, v0
	v_ashrrev_i32_e32 v0, 6, v0
	s_trap 2
	ds_read_b64 v[2:3], v0
	v_accvgpr_read_b32 v4, a26
	v_ashrrev_i32_e32 v1, 31, v0
	v_accvgpr_read_b32 v5, a27
	v_add_co_u32_e32 v0, vcc, v4, v0
	v_addc_co_u32_e32 v1, vcc, v5, v1, vcc
	s_waitcnt lgkmcnt(0)
	v_cmp_lt_u64_e32 vcc, v[2:3], v[0:1]
	s_and_saveexec_b64 s[12:13], vcc
	s_cbranch_execz .LBB6_8571
; %bb.8563:
	s_mov_b32 s28, 0
	s_mov_b64 s[14:15], 0
                                        ; implicit-def: $sgpr16_sgpr17
                                        ; implicit-def: $sgpr18_sgpr19
	s_branch .LBB6_8565
.LBB6_8564:                             ;   in Loop: Header=BB6_8565 Depth=1
	s_or_b64 exec, exec, s[24:25]
	s_and_b64 s[20:21], exec, s[22:23]
	s_or_b64 s[14:15], s[20:21], s[14:15]
	s_andn2_b64 s[16:17], s[16:17], exec
	s_and_b64 s[20:21], s[18:19], exec
	s_or_b64 s[16:17], s[16:17], s[20:21]
	s_andn2_b64 exec, exec, s[14:15]
	s_cbranch_execz .LBB6_8569
.LBB6_8565:                             ; =>This Inner Loop Header: Depth=1
	s_add_i32 s28, s28, 1
	s_cmpk_lg_i32 s28, 0x2710
	s_cselect_b64 s[20:21], -1, 0
	s_and_b64 vcc, exec, s[20:21]
                                        ; implicit-def: $sgpr24_sgpr25
	s_cbranch_vccnz .LBB6_8567
; %bb.8566:                             ;   in Loop: Header=BB6_8565 Depth=1
	s_trap 2
	ds_read_b64 v[2:3], v0
	s_andn2_b64 s[20:21], s[20:21], exec
	s_mov_b32 s28, 0
	s_mov_b64 s[24:25], -1
	s_waitcnt lgkmcnt(0)
	flat_load_dword v2, v[2:3] glc
	s_waitcnt vmcnt(0) lgkmcnt(0)
	buffer_invl2
	buffer_wbinvl1_vol
	v_cmp_eq_u32_e32 vcc, 0, v2
	s_and_b64 s[22:23], vcc, exec
	s_or_b64 s[20:21], s[20:21], s[22:23]
.LBB6_8567:                             ;   in Loop: Header=BB6_8565 Depth=1
	s_andn2_b64 s[18:19], s[18:19], exec
	s_and_b64 s[24:25], s[24:25], exec
	s_mov_b64 s[22:23], -1
	s_or_b64 s[18:19], s[18:19], s[24:25]
	s_and_saveexec_b64 s[24:25], s[20:21]
	s_cbranch_execz .LBB6_8564
; %bb.8568:                             ;   in Loop: Header=BB6_8565 Depth=1
	s_sleep 1
	s_trap 2
	ds_read_b64 v[2:3], v0
	s_andn2_b64 s[18:19], s[18:19], exec
	s_waitcnt lgkmcnt(0)
	v_cmp_ge_u64_e32 vcc, v[2:3], v[0:1]
	s_orn2_b64 s[22:23], vcc, exec
	s_branch .LBB6_8564
.LBB6_8569:
	s_or_b64 exec, exec, s[14:15]
	s_and_saveexec_b64 s[14:15], s[16:17]
	s_xor_b64 s[14:15], exec, s[14:15]
	s_cbranch_execz .LBB6_8571
; %bb.8570:
	v_mov_b32_e32 v0, 1
	ds_write_b32 v0, v0
	s_trap 2
.LBB6_8571:
	s_or_b64 exec, exec, s[12:13]
	;;#ASMSTART
	s_wakeup
	;;#ASMEND
.LBB6_8572:
	s_or_b64 exec, exec, s[10:11]
.LBB6_8573:
	s_andn2_saveexec_b64 s[6:7], s[6:7]
	s_cbranch_execz .LBB6_8575
; %bb.8574:
	s_waitcnt lgkmcnt(0)
	buffer_wbinvl1_vol
	s_barrier
.LBB6_8575:
	s_or_b64 exec, exec, s[4:5]
.LBB6_8576:
	s_andn2_saveexec_b64 s[26:27], s[26:27]
	s_cbranch_execz .LBB6_8578
; %bb.8577:
	s_getpc_b64 s[4:5]
	s_add_u32 s4, s4, __PRETTY_FUNCTION__._ZN10PrimitivesI14__hip_fp8_e4m313FuncPreMulSumIS0_E12FanSymmetricILi1EELi0E11ProtoSimpleILi1ELi1ELi0ELi4ELi0ELi0EELi0ELb0ELi0ELi0ELi0EEC2EiiPKiS9_PKvPvmhhhP15ncclDevWorkCollP14ncclDevWorkP2pii@rel32@lo+4
	s_addc_u32 s5, s5, __PRETTY_FUNCTION__._ZN10PrimitivesI14__hip_fp8_e4m313FuncPreMulSumIS0_E12FanSymmetricILi1EELi0E11ProtoSimpleILi1ELi1ELi0ELi4ELi0ELi0EELi0ELb0ELi0ELi0ELi0EEC2EiiPKiS9_PKvPvmhhhP15ncclDevWorkCollP14ncclDevWorkP2pii@rel32@hi+12
	v_mov_b32_e32 v0, s4
	v_mov_b32_e32 v1, s5
	s_getpc_b64 s[6:7]
	s_add_u32 s6, s6, __assert_fail@rel32@lo+4
	s_addc_u32 s7, s7, __assert_fail@rel32@hi+12
	s_swappc_b64 s[30:31], s[6:7]
	; divergent unreachable
.LBB6_8578:
	s_or_b64 exec, exec, s[26:27]
	buffer_load_dword a50, off, s[0:3], s33 ; 4-byte Folded Reload
	buffer_load_dword a49, off, s[0:3], s33 offset:4 ; 4-byte Folded Reload
	buffer_load_dword a48, off, s[0:3], s33 offset:8 ; 4-byte Folded Reload
	;; [unrolled: 1-line block ×33, first 2 shown]
	v_readlane_b32 s30, v63, 48
	v_readlane_b32 s31, v63, 49
	v_readlane_b32 s81, v63, 47
	v_readlane_b32 s80, v63, 46
	v_readlane_b32 s79, v63, 45
	v_readlane_b32 s78, v63, 44
	v_readlane_b32 s77, v63, 43
	v_readlane_b32 s76, v63, 42
	v_readlane_b32 s75, v63, 41
	v_readlane_b32 s74, v63, 40
	v_readlane_b32 s73, v63, 39
	v_readlane_b32 s72, v63, 38
	v_readlane_b32 s71, v63, 37
	v_readlane_b32 s70, v63, 36
	v_readlane_b32 s69, v63, 35
	v_readlane_b32 s68, v63, 34
	v_readlane_b32 s67, v63, 33
	v_readlane_b32 s66, v63, 32
	v_readlane_b32 s65, v63, 31
	v_readlane_b32 s64, v63, 30
	v_readlane_b32 s63, v63, 29
	v_readlane_b32 s62, v63, 28
	v_readlane_b32 s61, v63, 27
	v_readlane_b32 s60, v63, 26
	v_readlane_b32 s59, v63, 25
	v_readlane_b32 s58, v63, 24
	v_readlane_b32 s57, v63, 23
	v_readlane_b32 s56, v63, 22
	v_readlane_b32 s55, v63, 21
	v_readlane_b32 s54, v63, 20
	v_readlane_b32 s53, v63, 19
	v_readlane_b32 s52, v63, 18
	v_readlane_b32 s51, v63, 17
	v_readlane_b32 s50, v63, 16
	v_readlane_b32 s49, v63, 15
	v_readlane_b32 s48, v63, 14
	v_readlane_b32 s47, v63, 13
	v_readlane_b32 s46, v63, 12
	v_readlane_b32 s45, v63, 11
	v_readlane_b32 s44, v63, 10
	v_readlane_b32 s43, v63, 9
	v_readlane_b32 s42, v63, 8
	v_readlane_b32 s41, v63, 7
	v_readlane_b32 s40, v63, 6
	v_readlane_b32 s39, v63, 5
	v_readlane_b32 s38, v63, 4
	v_readlane_b32 s37, v63, 3
	v_readlane_b32 s36, v63, 2
	v_readlane_b32 s35, v63, 1
	v_readlane_b32 s34, v63, 0
	v_readlane_b32 s4, v63, 50
	s_or_saveexec_b64 s[6:7], -1
	buffer_load_dword v63, off, s[0:3], s33 offset:212 ; 4-byte Folded Reload
	s_mov_b64 exec, s[6:7]
	s_addk_i32 s32, 0xc800
	s_mov_b32 s33, s4
	s_waitcnt vmcnt(0) lgkmcnt(0)
	s_setpc_b64 s[30:31]
.Lfunc_end6:
	.size	_ZN12_GLOBAL__N_17runRingI14__hip_fp8_e4m313FuncPreMulSumIS1_E11ProtoSimpleILi1ELi1ELi0ELi4ELi0ELi0EELi0ELi4ELi0EEEviiP15ncclDevWorkColl, .Lfunc_end6-_ZN12_GLOBAL__N_17runRingI14__hip_fp8_e4m313FuncPreMulSumIS1_E11ProtoSimpleILi1ELi1ELi0ELi4ELi0ELi0EELi0ELi4ELi0EEEviiP15ncclDevWorkColl
                                        ; -- End function
	.section	.AMDGPU.csdata,"",@progbits
; Function info:
; codeLenInByte = 273568
; NumSgprs: 88
; NumVgprs: 64
; NumAgprs: 51
; TotalNumVgprs: 115
; ScratchSize: 288
; MemoryBound: 1
	.text
	.p2align	2                               ; -- Begin function _Z53ncclDevFunc_Reduce_RING_SIMPLE_PreMulSum_f8e4m3_0_0_4v
	.type	_Z53ncclDevFunc_Reduce_RING_SIMPLE_PreMulSum_f8e4m3_0_0_4v,@function
_Z53ncclDevFunc_Reduce_RING_SIMPLE_PreMulSum_f8e4m3_0_0_4v: ; @_Z53ncclDevFunc_Reduce_RING_SIMPLE_PreMulSum_f8e4m3_0_0_4v
; %bb.0:
	s_waitcnt vmcnt(0) expcnt(0) lgkmcnt(0)
	s_mov_b32 s4, s33
	s_mov_b32 s33, s32
	s_or_saveexec_b64 s[6:7], -1
	buffer_store_dword v43, off, s[0:3], s33 offset:16 ; 4-byte Folded Spill
	s_mov_b64 exec, s[6:7]
	v_writelane_b32 v43, s4, 60
	s_addk_i32 s32, 0x800
	buffer_store_dword v40, off, s[0:3], s33 offset:12 ; 4-byte Folded Spill
	buffer_store_dword v41, off, s[0:3], s33 offset:8 ; 4-byte Folded Spill
	;; [unrolled: 1-line block ×3, first 2 shown]
	buffer_store_dword v63, off, s[0:3], s33 ; 4-byte Folded Spill
	v_writelane_b32 v43, s34, 0
	v_writelane_b32 v43, s35, 1
	;; [unrolled: 1-line block ×60, first 2 shown]
	s_trap 2
	ds_read_b32 v0, v0
	v_mov_b32_e32 v40, v31
	v_and_b32_e32 v41, 0x3ff, v40
	s_mov_b32 s86, s12
	s_mov_b64 s[84:85], s[8:9]
	s_waitcnt lgkmcnt(0)
	v_cmp_lt_i32_e32 vcc, v41, v0
	s_and_saveexec_b64 s[4:5], vcc
	s_cbranch_execz .LBB7_5
; %bb.1:
	s_load_dword s6, s[84:85], 0x0
	v_mov_b32_e32 v1, 0
	s_mov_b32 s10, 0
	v_mov_b32_e32 v4, v41
                                        ; implicit-def: $vgpr2
	s_waitcnt lgkmcnt(0)
	s_cmp_lt_u32 s86, s6
	s_cselect_b32 s6, 12, 18
	s_add_u32 s6, s84, s6
	s_addc_u32 s7, s85, 0
	global_load_ushort v1, v1, s[6:7]
	s_trap 2
	ds_read_b32 v3, v0
	s_mov_b64 s[6:7], 0
	s_waitcnt vmcnt(0) lgkmcnt(0)
	v_mul_lo_u32 v3, v3, v1
	s_branch .LBB7_3
.LBB7_2:                                ;   in Loop: Header=BB7_3 Depth=1
	s_or_b64 exec, exec, s[8:9]
	v_add_u32_e32 v4, v4, v1
	v_cmp_ge_i32_e32 vcc, v4, v0
	s_or_b64 s[6:7], vcc, s[6:7]
	v_add_u32_e32 v2, v2, v3
	s_andn2_b64 exec, exec, s[6:7]
	s_cbranch_execz .LBB7_5
.LBB7_3:                                ; =>This Inner Loop Header: Depth=1
	ds_read_b32 v5, v2
	s_waitcnt lgkmcnt(0)
	v_and_b32_e32 v5, 0x1000000, v5
	v_cmp_ne_u32_e32 vcc, 0, v5
	s_and_saveexec_b64 s[8:9], vcc
	s_cbranch_execz .LBB7_2
; %bb.4:                                ;   in Loop: Header=BB7_3 Depth=1
	ds_read_b64 v[6:7], v2 offset:104
	s_waitcnt lgkmcnt(0)
	flat_load_ubyte v5, v[6:7]
	v_mov_b32_e32 v7, s10
	s_waitcnt vmcnt(0) lgkmcnt(0)
	v_and_b32_e32 v6, 0xffff, v5
	ds_write_b64 v2, v[6:7] offset:104
	s_branch .LBB7_2
.LBB7_5:
	s_or_b64 exec, exec, s[4:5]
	s_waitcnt lgkmcnt(0)
	s_barrier
	s_trap 2
	ds_read_b32 v0, v0
	s_waitcnt lgkmcnt(0)
	v_cmp_gt_i32_e32 vcc, 1, v0
	s_cbranch_vccnz .LBB7_13
; %bb.6:
	s_mov_b32 s87, 0
	s_mov_b64 s[88:89], src_shared_base
	v_mov_b32_e32 v42, 6
	s_branch .LBB7_8
.LBB7_7:                                ;   in Loop: Header=BB7_8 Depth=1
	s_or_b64 exec, exec, s[90:91]
	s_trap 2
	ds_read_b32 v0, v0
	s_add_i32 s87, s87, 1
	s_waitcnt lgkmcnt(0)
	v_cmp_lt_i32_e32 vcc, s87, v0
	s_cbranch_vccz .LBB7_13
.LBB7_8:                                ; =>This Inner Loop Header: Depth=1
	s_trap 2
	ds_read_b32 v0, v0
	s_cmp_eq_u32 s87, 0
	s_cbranch_scc1 .LBB7_11
; %bb.9:                                ;   in Loop: Header=BB7_8 Depth=1
	s_trap 2
	s_waitcnt lgkmcnt(0)
	ds_read_b32 v1, v0
	s_waitcnt lgkmcnt(0)
	v_xor_b32_e32 v1, v1, v0
	v_and_b32_e32 v1, 0xff0000, v1
	v_cmp_eq_u32_e32 vcc, 0, v1
	s_cbranch_vccnz .LBB7_11
; %bb.10:                               ;   in Loop: Header=BB7_8 Depth=1
	s_barrier
	ds_read_b32 v0, v0
.LBB7_11:                               ;   in Loop: Header=BB7_8 Depth=1
	s_waitcnt lgkmcnt(0)
	v_lshlrev_b32_sdwa v1, v42, v0 dst_sel:DWORD dst_unused:UNUSED_PAD src0_sel:DWORD src1_sel:BYTE_2
	v_cmp_lt_u32_e32 vcc, v41, v1
	s_and_saveexec_b64 s[90:91], vcc
	s_cbranch_execz .LBB7_7
; %bb.12:                               ;   in Loop: Header=BB7_8 Depth=1
	s_mov_b64 s[8:9], s[84:85]
	s_mov_b32 s12, s86
	v_mov_b32_e32 v31, v40
	v_mov_b32_e32 v0, v41
	;; [unrolled: 1-line block ×3, first 2 shown]
	s_getpc_b64 s[4:5]
	s_add_u32 s4, s4, _ZN12_GLOBAL__N_17runRingI14__hip_fp8_e4m313FuncPreMulSumIS1_E11ProtoSimpleILi1ELi1ELi0ELi4ELi0ELi0EELi0ELi4ELi0EEEviiP15ncclDevWorkColl@rel32@lo+4
	s_addc_u32 s5, s5, _ZN12_GLOBAL__N_17runRingI14__hip_fp8_e4m313FuncPreMulSumIS1_E11ProtoSimpleILi1ELi1ELi0ELi4ELi0ELi0EELi0ELi4ELi0EEEviiP15ncclDevWorkColl@rel32@hi+12
	s_swappc_b64 s[30:31], s[4:5]
	s_branch .LBB7_7
.LBB7_13:
	buffer_load_dword v63, off, s[0:3], s33 ; 4-byte Folded Reload
	buffer_load_dword v42, off, s[0:3], s33 offset:4 ; 4-byte Folded Reload
	buffer_load_dword v41, off, s[0:3], s33 offset:8 ; 4-byte Folded Reload
	;; [unrolled: 1-line block ×3, first 2 shown]
	v_readlane_b32 s30, v43, 58
	v_readlane_b32 s31, v43, 59
	;; [unrolled: 1-line block ×61, first 2 shown]
	s_or_saveexec_b64 s[6:7], -1
	buffer_load_dword v43, off, s[0:3], s33 offset:16 ; 4-byte Folded Reload
	s_mov_b64 exec, s[6:7]
	s_addk_i32 s32, 0xf800
	s_mov_b32 s33, s4
	s_waitcnt vmcnt(0)
	s_setpc_b64 s[30:31]
.Lfunc_end7:
	.size	_Z53ncclDevFunc_Reduce_RING_SIMPLE_PreMulSum_f8e4m3_0_0_4v, .Lfunc_end7-_Z53ncclDevFunc_Reduce_RING_SIMPLE_PreMulSum_f8e4m3_0_0_4v
                                        ; -- End function
	.section	.AMDGPU.csdata,"",@progbits
; Function info:
; codeLenInByte = 1568
; NumSgprs: 96
; NumVgprs: 64
; NumAgprs: 51
; TotalNumVgprs: 115
; ScratchSize: 320
; MemoryBound: 0
	.text
	.p2alignl 6, 3212836864
	.fill 256, 4, 3212836864
	.type	__const.__assert_fail.fmt,@object ; @__const.__assert_fail.fmt
	.section	.rodata.str1.16,"aMS",@progbits,1
	.p2align	4, 0x0
__const.__assert_fail.fmt:
	.asciz	"%s:%u: %s: Device-side assertion `%s' failed.\n"
	.size	__const.__assert_fail.fmt, 47

	.type	.str.1,@object                  ; @.str.1
	.section	.rodata.str1.1,"aMS",@progbits,1
.str.1:
	.asciz	"2*(nrecv+nsend) <= nthreads"
	.size	.str.1, 28

	.type	.str.2,@object                  ; @.str.2
.str.2:
	.asciz	"/root/src/amdgpu-assembly/repos/ROCm__rccl/hipify/src/device/prims_simple.h"
	.size	.str.2, 76

	.type	__PRETTY_FUNCTION__._ZN10PrimitivesI14__hip_fp8_e4m313FuncPreMulSumIS0_E12FanSymmetricILi1EELi0E11ProtoSimpleILi1ELi1ELi0ELi1ELi0ELi0EELi0ELb0ELi0ELi0ELi0EEC2EiiPKiS9_PKvPvmhhhP15ncclDevWorkCollP14ncclDevWorkP2pii,@object ; @__PRETTY_FUNCTION__._ZN10PrimitivesI14__hip_fp8_e4m313FuncPreMulSumIS0_E12FanSymmetricILi1EELi0E11ProtoSimpleILi1ELi1ELi0ELi1ELi0ELi0EELi0ELb0ELi0ELi0ELi0EEC2EiiPKiS9_PKvPvmhhhP15ncclDevWorkCollP14ncclDevWorkP2pii
__PRETTY_FUNCTION__._ZN10PrimitivesI14__hip_fp8_e4m313FuncPreMulSumIS0_E12FanSymmetricILi1EELi0E11ProtoSimpleILi1ELi1ELi0ELi1ELi0ELi0EELi0ELb0ELi0ELi0ELi0EEC2EiiPKiS9_PKvPvmhhhP15ncclDevWorkCollP14ncclDevWorkP2pii:
	.asciz	"Primitives<__hip_fp8_e4m3, FuncPreMulSum<rccl_float8>, FanSymmetric<1>, 0, ProtoSimple<1, 1, 0, 1>, 0>::Primitives(int, int, const int *, const int *, const void *, void *, uint64_t, uint8_t, uint8_t, uint8_t, struct ncclDevWorkColl *, struct ncclDevWorkP2p *, int, int) [T = __hip_fp8_e4m3, RedOp = FuncPreMulSum<rccl_float8>, Fan = FanSymmetric<1>, Direct = 0, Proto = ProtoSimple<1, 1, 0, 1>, P2p = 0, isNetOffload = false, Metadata = 0, Pipeline = 0, useAcc = 0]"
	.size	__PRETTY_FUNCTION__._ZN10PrimitivesI14__hip_fp8_e4m313FuncPreMulSumIS0_E12FanSymmetricILi1EELi0E11ProtoSimpleILi1ELi1ELi0ELi1ELi0ELi0EELi0ELb0ELi0ELi0ELi0EEC2EiiPKiS9_PKvPvmhhhP15ncclDevWorkCollP14ncclDevWorkP2pii, 467

	.type	__PRETTY_FUNCTION__._ZN10PrimitivesI14__hip_fp8_e4m313FuncPreMulSumIS0_E12FanSymmetricILi1EELi0E11ProtoSimpleILi1ELi1ELi0ELi2ELi0ELi0EELi0ELb0ELi0ELi0ELi0EEC2EiiPKiS9_PKvPvmhhhP15ncclDevWorkCollP14ncclDevWorkP2pii,@object ; @__PRETTY_FUNCTION__._ZN10PrimitivesI14__hip_fp8_e4m313FuncPreMulSumIS0_E12FanSymmetricILi1EELi0E11ProtoSimpleILi1ELi1ELi0ELi2ELi0ELi0EELi0ELb0ELi0ELi0ELi0EEC2EiiPKiS9_PKvPvmhhhP15ncclDevWorkCollP14ncclDevWorkP2pii
__PRETTY_FUNCTION__._ZN10PrimitivesI14__hip_fp8_e4m313FuncPreMulSumIS0_E12FanSymmetricILi1EELi0E11ProtoSimpleILi1ELi1ELi0ELi2ELi0ELi0EELi0ELb0ELi0ELi0ELi0EEC2EiiPKiS9_PKvPvmhhhP15ncclDevWorkCollP14ncclDevWorkP2pii:
	.asciz	"Primitives<__hip_fp8_e4m3, FuncPreMulSum<rccl_float8>, FanSymmetric<1>, 0, ProtoSimple<1, 1, 0, 2>, 0>::Primitives(int, int, const int *, const int *, const void *, void *, uint64_t, uint8_t, uint8_t, uint8_t, struct ncclDevWorkColl *, struct ncclDevWorkP2p *, int, int) [T = __hip_fp8_e4m3, RedOp = FuncPreMulSum<rccl_float8>, Fan = FanSymmetric<1>, Direct = 0, Proto = ProtoSimple<1, 1, 0, 2>, P2p = 0, isNetOffload = false, Metadata = 0, Pipeline = 0, useAcc = 0]"
	.size	__PRETTY_FUNCTION__._ZN10PrimitivesI14__hip_fp8_e4m313FuncPreMulSumIS0_E12FanSymmetricILi1EELi0E11ProtoSimpleILi1ELi1ELi0ELi2ELi0ELi0EELi0ELb0ELi0ELi0ELi0EEC2EiiPKiS9_PKvPvmhhhP15ncclDevWorkCollP14ncclDevWorkP2pii, 467

	.type	__PRETTY_FUNCTION__._ZN10PrimitivesI14__hip_fp8_e4m313FuncPreMulSumIS0_E12FanSymmetricILi1EELi0E11ProtoSimpleILi1ELi1ELi0ELi4ELi0ELi0EELi0ELb0ELi0ELi0ELi0EEC2EiiPKiS9_PKvPvmhhhP15ncclDevWorkCollP14ncclDevWorkP2pii,@object ; @__PRETTY_FUNCTION__._ZN10PrimitivesI14__hip_fp8_e4m313FuncPreMulSumIS0_E12FanSymmetricILi1EELi0E11ProtoSimpleILi1ELi1ELi0ELi4ELi0ELi0EELi0ELb0ELi0ELi0ELi0EEC2EiiPKiS9_PKvPvmhhhP15ncclDevWorkCollP14ncclDevWorkP2pii
__PRETTY_FUNCTION__._ZN10PrimitivesI14__hip_fp8_e4m313FuncPreMulSumIS0_E12FanSymmetricILi1EELi0E11ProtoSimpleILi1ELi1ELi0ELi4ELi0ELi0EELi0ELb0ELi0ELi0ELi0EEC2EiiPKiS9_PKvPvmhhhP15ncclDevWorkCollP14ncclDevWorkP2pii:
	.asciz	"Primitives<__hip_fp8_e4m3, FuncPreMulSum<rccl_float8>, FanSymmetric<1>, 0, ProtoSimple<1, 1, 0, 4>, 0>::Primitives(int, int, const int *, const int *, const void *, void *, uint64_t, uint8_t, uint8_t, uint8_t, struct ncclDevWorkColl *, struct ncclDevWorkP2p *, int, int) [T = __hip_fp8_e4m3, RedOp = FuncPreMulSum<rccl_float8>, Fan = FanSymmetric<1>, Direct = 0, Proto = ProtoSimple<1, 1, 0, 4>, P2p = 0, isNetOffload = false, Metadata = 0, Pipeline = 0, useAcc = 0]"
	.size	__PRETTY_FUNCTION__._ZN10PrimitivesI14__hip_fp8_e4m313FuncPreMulSumIS0_E12FanSymmetricILi1EELi0E11ProtoSimpleILi1ELi1ELi0ELi4ELi0ELi0EELi0ELb0ELi0ELi0ELi0EEC2EiiPKiS9_PKvPvmhhhP15ncclDevWorkCollP14ncclDevWorkP2pii, 467

	.type	__hip_cuid_8bb84aaa43f6ad42,@object ; @__hip_cuid_8bb84aaa43f6ad42
	.section	.bss,"aw",@nobits
	.globl	__hip_cuid_8bb84aaa43f6ad42
__hip_cuid_8bb84aaa43f6ad42:
	.byte	0                               ; 0x0
	.size	__hip_cuid_8bb84aaa43f6ad42, 1

	.ident	"AMD clang version 19.0.0git (https://github.com/RadeonOpenCompute/llvm-project roc-6.4.0 25133 c7fe45cf4b819c5991fe208aaa96edf142730f1d)"
	.section	".note.GNU-stack","",@progbits
	.addrsig
	.addrsig_sym _Z53ncclDevFunc_Reduce_RING_SIMPLE_PreMulSum_f8e4m3_0_0_1v
	.addrsig_sym _Z53ncclDevFunc_Reduce_RING_SIMPLE_PreMulSum_f8e4m3_0_0_2v
	.addrsig_sym _Z53ncclDevFunc_Reduce_RING_SIMPLE_PreMulSum_f8e4m3_0_0_4v
	.addrsig_sym ncclShmem
	.addrsig_sym __hip_cuid_8bb84aaa43f6ad42
	.amdgpu_metadata
---
amdhsa.kernels:  []
amdhsa.target:   amdgcn-amd-amdhsa--gfx90a
amdhsa.version:
  - 1
  - 2
...

	.end_amdgpu_metadata
